;; amdgpu-corpus repo=ROCm/rccl kind=compiled arch=gfx906 opt=O3
	.amdgcn_target "amdgcn-amd-amdhsa--gfx906"
	.amdhsa_code_object_version 6
	.text
	.p2align	2                               ; -- Begin function __ockl_fprintf_append_string_n
	.type	__ockl_fprintf_append_string_n,@function
__ockl_fprintf_append_string_n:         ; @__ockl_fprintf_append_string_n
; %bb.0:
	s_waitcnt vmcnt(0) expcnt(0) lgkmcnt(0)
	v_or_b32_e32 v2, 2, v0
	v_cmp_eq_u32_e32 vcc, 0, v6
	s_getpc_b64 s[4:5]
	s_add_u32 s4, s4, .str.3@rel32@lo+4
	s_addc_u32 s5, s5, .str.3@rel32@hi+12
	s_mov_b32 s20, 0
	v_cndmask_b32_e32 v36, v2, v0, vcc
	s_mov_b64 s[6:7], 0
	s_cmp_lg_u64 s[4:5], 0
	v_mbcnt_lo_u32_b32 v37, -1, 0
	s_cbranch_scc0 .LBB0_112
; %bb.1:
	s_load_dwordx2 s[10:11], s[8:9], 0x50
	s_getpc_b64 s[4:5]
	s_add_u32 s4, s4, .str.3@rel32@lo+4
	s_addc_u32 s5, s5, .str.3@rel32@hi+12
	v_and_b32_e32 v0, -3, v36
	v_mov_b32_e32 v31, s5
	v_mov_b32_e32 v11, v1
	v_and_b32_e32 v38, 2, v36
	v_mov_b32_e32 v3, 0
	v_mbcnt_hi_u32_b32 v39, -1, v37
	v_mov_b32_e32 v30, s4
	s_movk_i32 s21, 0x1e0
	v_mov_b32_e32 v8, 2
	v_mov_b32_e32 v9, 1
	;; [unrolled: 1-line block ×3, first 2 shown]
	s_branch .LBB0_3
.LBB0_2:                                ;   in Loop: Header=BB0_3 Depth=1
	s_or_b64 exec, exec, s[14:15]
	v_sub_co_u32_e32 v4, vcc, v4, v32
	v_subb_co_u32_e32 v5, vcc, v5, v33, vcc
	v_cmp_eq_u64_e32 vcc, 0, v[4:5]
	s_or_b64 s[6:7], vcc, s[6:7]
	v_add_co_u32_e32 v30, vcc, v30, v32
	v_addc_co_u32_e32 v31, vcc, v31, v33, vcc
	s_andn2_b64 exec, exec, s[6:7]
	s_cbranch_execz .LBB0_85
.LBB0_3:                                ; =>This Loop Header: Depth=1
                                        ;     Child Loop BB0_6 Depth 2
                                        ;     Child Loop BB0_14 Depth 2
	;; [unrolled: 1-line block ×11, first 2 shown]
	v_cmp_gt_u64_e32 vcc, 56, v[4:5]
	v_add_co_u32_e64 v16, s[4:5], 8, v30
	v_cndmask_b32_e32 v33, 0, v5, vcc
	v_cndmask_b32_e32 v32, 56, v4, vcc
	v_cmp_gt_u64_e32 vcc, 8, v[4:5]
	v_addc_co_u32_e64 v17, s[4:5], 0, v31, s[4:5]
	s_and_saveexec_b64 s[4:5], vcc
	s_xor_b64 s[4:5], exec, s[4:5]
	s_cbranch_execz .LBB0_9
; %bb.4:                                ;   in Loop: Header=BB0_3 Depth=1
	s_waitcnt vmcnt(0)
	v_mov_b32_e32 v12, 0
	v_cmp_ne_u64_e32 vcc, 0, v[4:5]
	v_mov_b32_e32 v13, 0
	s_and_saveexec_b64 s[12:13], vcc
	s_cbranch_execz .LBB0_8
; %bb.5:                                ;   in Loop: Header=BB0_3 Depth=1
	v_lshlrev_b64 v[6:7], 3, v[32:33]
	v_mov_b32_e32 v12, 0
	v_mov_b32_e32 v14, v30
	s_mov_b64 s[14:15], 0
	v_mov_b32_e32 v13, 0
	v_mov_b32_e32 v15, v31
	s_mov_b64 s[16:17], 0
.LBB0_6:                                ;   Parent Loop BB0_3 Depth=1
                                        ; =>  This Inner Loop Header: Depth=2
	global_load_ubyte v0, v[14:15], off
	v_mov_b32_e32 v17, s20
	v_add_co_u32_e32 v14, vcc, 1, v14
	v_addc_co_u32_e32 v15, vcc, 0, v15, vcc
	s_waitcnt vmcnt(0)
	v_and_b32_e32 v16, 0xffff, v0
	v_lshlrev_b64 v[16:17], s16, v[16:17]
	s_add_u32 s16, s16, 8
	s_addc_u32 s17, s17, 0
	v_cmp_eq_u32_e32 vcc, s16, v6
	v_or_b32_e32 v13, v17, v13
	s_or_b64 s[14:15], vcc, s[14:15]
	v_or_b32_e32 v12, v16, v12
	s_andn2_b64 exec, exec, s[14:15]
	s_cbranch_execnz .LBB0_6
; %bb.7:                                ;   in Loop: Header=BB0_3 Depth=1
	s_or_b64 exec, exec, s[14:15]
.LBB0_8:                                ;   in Loop: Header=BB0_3 Depth=1
	s_or_b64 exec, exec, s[12:13]
	v_mov_b32_e32 v16, v30
	v_mov_b32_e32 v17, v31
.LBB0_9:                                ;   in Loop: Header=BB0_3 Depth=1
	s_or_saveexec_b64 s[4:5], s[4:5]
	v_mov_b32_e32 v0, 0
	s_xor_b64 exec, exec, s[4:5]
	s_cbranch_execz .LBB0_11
; %bb.10:                               ;   in Loop: Header=BB0_3 Depth=1
	global_load_dwordx2 v[12:13], v[30:31], off
	v_add_u32_e32 v0, -8, v32
.LBB0_11:                               ;   in Loop: Header=BB0_3 Depth=1
	s_or_b64 exec, exec, s[4:5]
	v_add_co_u32_e64 v6, s[4:5], 8, v16
	v_cmp_gt_u32_e32 vcc, 8, v0
	v_addc_co_u32_e64 v7, s[4:5], 0, v17, s[4:5]
                                        ; implicit-def: $vgpr14_vgpr15
	s_and_saveexec_b64 s[4:5], vcc
	s_xor_b64 s[4:5], exec, s[4:5]
	s_cbranch_execz .LBB0_17
; %bb.12:                               ;   in Loop: Header=BB0_3 Depth=1
	v_mov_b32_e32 v14, 0
	v_mov_b32_e32 v15, 0
	v_cmp_ne_u32_e32 vcc, 0, v0
	s_and_saveexec_b64 s[12:13], vcc
	s_cbranch_execz .LBB0_16
; %bb.13:                               ;   in Loop: Header=BB0_3 Depth=1
	v_mov_b32_e32 v14, 0
	s_mov_b64 s[14:15], 0
	v_mov_b32_e32 v15, 0
	s_mov_b64 s[16:17], 0
	s_mov_b64 s[18:19], 0
.LBB0_14:                               ;   Parent Loop BB0_3 Depth=1
                                        ; =>  This Inner Loop Header: Depth=2
	v_mov_b32_e32 v2, s19
	v_add_co_u32_e32 v6, vcc, s18, v16
	v_addc_co_u32_e32 v7, vcc, v17, v2, vcc
	global_load_ubyte v2, v[6:7], off
	s_add_u32 s18, s18, 1
	v_mov_b32_e32 v7, s20
	s_addc_u32 s19, s19, 0
	v_cmp_eq_u32_e32 vcc, s18, v0
	s_waitcnt vmcnt(0)
	v_and_b32_e32 v6, 0xffff, v2
	v_lshlrev_b64 v[6:7], s16, v[6:7]
	s_add_u32 s16, s16, 8
	s_addc_u32 s17, s17, 0
	v_or_b32_e32 v15, v7, v15
	s_or_b64 s[14:15], vcc, s[14:15]
	v_or_b32_e32 v14, v6, v14
	s_andn2_b64 exec, exec, s[14:15]
	s_cbranch_execnz .LBB0_14
; %bb.15:                               ;   in Loop: Header=BB0_3 Depth=1
	s_or_b64 exec, exec, s[14:15]
.LBB0_16:                               ;   in Loop: Header=BB0_3 Depth=1
	s_or_b64 exec, exec, s[12:13]
	v_mov_b32_e32 v6, v16
	v_mov_b32_e32 v7, v17
                                        ; implicit-def: $vgpr0
.LBB0_17:                               ;   in Loop: Header=BB0_3 Depth=1
	s_or_saveexec_b64 s[4:5], s[4:5]
	v_mov_b32_e32 v2, 0
	s_xor_b64 exec, exec, s[4:5]
	s_cbranch_execz .LBB0_19
; %bb.18:                               ;   in Loop: Header=BB0_3 Depth=1
	global_load_dwordx2 v[14:15], v[16:17], off
	v_add_u32_e32 v2, -8, v0
.LBB0_19:                               ;   in Loop: Header=BB0_3 Depth=1
	s_or_b64 exec, exec, s[4:5]
	v_add_co_u32_e64 v20, s[4:5], 8, v6
	v_cmp_gt_u32_e32 vcc, 8, v2
	v_addc_co_u32_e64 v21, s[4:5], 0, v7, s[4:5]
	s_and_saveexec_b64 s[4:5], vcc
	s_xor_b64 s[4:5], exec, s[4:5]
	s_cbranch_execz .LBB0_25
; %bb.20:                               ;   in Loop: Header=BB0_3 Depth=1
	v_mov_b32_e32 v16, 0
	v_mov_b32_e32 v17, 0
	v_cmp_ne_u32_e32 vcc, 0, v2
	s_and_saveexec_b64 s[12:13], vcc
	s_cbranch_execz .LBB0_24
; %bb.21:                               ;   in Loop: Header=BB0_3 Depth=1
	v_mov_b32_e32 v16, 0
	s_mov_b64 s[14:15], 0
	v_mov_b32_e32 v17, 0
	s_mov_b64 s[16:17], 0
	s_mov_b64 s[18:19], 0
.LBB0_22:                               ;   Parent Loop BB0_3 Depth=1
                                        ; =>  This Inner Loop Header: Depth=2
	v_mov_b32_e32 v0, s19
	v_add_co_u32_e32 v18, vcc, s18, v6
	v_addc_co_u32_e32 v19, vcc, v7, v0, vcc
	global_load_ubyte v0, v[18:19], off
	s_add_u32 s18, s18, 1
	v_mov_b32_e32 v19, s20
	s_addc_u32 s19, s19, 0
	v_cmp_eq_u32_e32 vcc, s18, v2
	s_waitcnt vmcnt(0)
	v_and_b32_e32 v18, 0xffff, v0
	v_lshlrev_b64 v[18:19], s16, v[18:19]
	s_add_u32 s16, s16, 8
	s_addc_u32 s17, s17, 0
	v_or_b32_e32 v17, v19, v17
	s_or_b64 s[14:15], vcc, s[14:15]
	v_or_b32_e32 v16, v18, v16
	s_andn2_b64 exec, exec, s[14:15]
	s_cbranch_execnz .LBB0_22
; %bb.23:                               ;   in Loop: Header=BB0_3 Depth=1
	s_or_b64 exec, exec, s[14:15]
.LBB0_24:                               ;   in Loop: Header=BB0_3 Depth=1
	s_or_b64 exec, exec, s[12:13]
	v_mov_b32_e32 v21, v7
	v_mov_b32_e32 v20, v6
                                        ; implicit-def: $vgpr2
.LBB0_25:                               ;   in Loop: Header=BB0_3 Depth=1
	s_or_saveexec_b64 s[4:5], s[4:5]
	v_mov_b32_e32 v0, 0
	s_xor_b64 exec, exec, s[4:5]
	s_cbranch_execz .LBB0_27
; %bb.26:                               ;   in Loop: Header=BB0_3 Depth=1
	global_load_dwordx2 v[16:17], v[6:7], off
	v_add_u32_e32 v0, -8, v2
.LBB0_27:                               ;   in Loop: Header=BB0_3 Depth=1
	s_or_b64 exec, exec, s[4:5]
	v_add_co_u32_e64 v6, s[4:5], 8, v20
	v_cmp_gt_u32_e32 vcc, 8, v0
	v_addc_co_u32_e64 v7, s[4:5], 0, v21, s[4:5]
                                        ; implicit-def: $vgpr18_vgpr19
	s_and_saveexec_b64 s[4:5], vcc
	s_xor_b64 s[4:5], exec, s[4:5]
	s_cbranch_execz .LBB0_33
; %bb.28:                               ;   in Loop: Header=BB0_3 Depth=1
	v_mov_b32_e32 v18, 0
	v_mov_b32_e32 v19, 0
	v_cmp_ne_u32_e32 vcc, 0, v0
	s_and_saveexec_b64 s[12:13], vcc
	s_cbranch_execz .LBB0_32
; %bb.29:                               ;   in Loop: Header=BB0_3 Depth=1
	v_mov_b32_e32 v18, 0
	s_mov_b64 s[14:15], 0
	v_mov_b32_e32 v19, 0
	s_mov_b64 s[16:17], 0
	s_mov_b64 s[18:19], 0
.LBB0_30:                               ;   Parent Loop BB0_3 Depth=1
                                        ; =>  This Inner Loop Header: Depth=2
	v_mov_b32_e32 v2, s19
	v_add_co_u32_e32 v6, vcc, s18, v20
	v_addc_co_u32_e32 v7, vcc, v21, v2, vcc
	global_load_ubyte v2, v[6:7], off
	s_add_u32 s18, s18, 1
	v_mov_b32_e32 v7, s20
	s_addc_u32 s19, s19, 0
	v_cmp_eq_u32_e32 vcc, s18, v0
	s_waitcnt vmcnt(0)
	v_and_b32_e32 v6, 0xffff, v2
	v_lshlrev_b64 v[6:7], s16, v[6:7]
	s_add_u32 s16, s16, 8
	s_addc_u32 s17, s17, 0
	v_or_b32_e32 v19, v7, v19
	s_or_b64 s[14:15], vcc, s[14:15]
	v_or_b32_e32 v18, v6, v18
	s_andn2_b64 exec, exec, s[14:15]
	s_cbranch_execnz .LBB0_30
; %bb.31:                               ;   in Loop: Header=BB0_3 Depth=1
	s_or_b64 exec, exec, s[14:15]
.LBB0_32:                               ;   in Loop: Header=BB0_3 Depth=1
	s_or_b64 exec, exec, s[12:13]
	v_mov_b32_e32 v6, v20
	v_mov_b32_e32 v7, v21
                                        ; implicit-def: $vgpr0
.LBB0_33:                               ;   in Loop: Header=BB0_3 Depth=1
	s_or_saveexec_b64 s[4:5], s[4:5]
	v_mov_b32_e32 v2, 0
	s_xor_b64 exec, exec, s[4:5]
	s_cbranch_execz .LBB0_35
; %bb.34:                               ;   in Loop: Header=BB0_3 Depth=1
	global_load_dwordx2 v[18:19], v[20:21], off
	v_add_u32_e32 v2, -8, v0
.LBB0_35:                               ;   in Loop: Header=BB0_3 Depth=1
	s_or_b64 exec, exec, s[4:5]
	v_add_co_u32_e64 v24, s[4:5], 8, v6
	v_cmp_gt_u32_e32 vcc, 8, v2
	v_addc_co_u32_e64 v25, s[4:5], 0, v7, s[4:5]
	s_and_saveexec_b64 s[4:5], vcc
	s_xor_b64 s[4:5], exec, s[4:5]
	s_cbranch_execz .LBB0_41
; %bb.36:                               ;   in Loop: Header=BB0_3 Depth=1
	v_mov_b32_e32 v20, 0
	v_mov_b32_e32 v21, 0
	v_cmp_ne_u32_e32 vcc, 0, v2
	s_and_saveexec_b64 s[12:13], vcc
	s_cbranch_execz .LBB0_40
; %bb.37:                               ;   in Loop: Header=BB0_3 Depth=1
	v_mov_b32_e32 v20, 0
	s_mov_b64 s[14:15], 0
	v_mov_b32_e32 v21, 0
	s_mov_b64 s[16:17], 0
	s_mov_b64 s[18:19], 0
.LBB0_38:                               ;   Parent Loop BB0_3 Depth=1
                                        ; =>  This Inner Loop Header: Depth=2
	v_mov_b32_e32 v0, s19
	v_add_co_u32_e32 v22, vcc, s18, v6
	v_addc_co_u32_e32 v23, vcc, v7, v0, vcc
	global_load_ubyte v0, v[22:23], off
	s_add_u32 s18, s18, 1
	v_mov_b32_e32 v23, s20
	s_addc_u32 s19, s19, 0
	v_cmp_eq_u32_e32 vcc, s18, v2
	s_waitcnt vmcnt(0)
	v_and_b32_e32 v22, 0xffff, v0
	v_lshlrev_b64 v[22:23], s16, v[22:23]
	s_add_u32 s16, s16, 8
	s_addc_u32 s17, s17, 0
	v_or_b32_e32 v21, v23, v21
	s_or_b64 s[14:15], vcc, s[14:15]
	v_or_b32_e32 v20, v22, v20
	s_andn2_b64 exec, exec, s[14:15]
	s_cbranch_execnz .LBB0_38
; %bb.39:                               ;   in Loop: Header=BB0_3 Depth=1
	s_or_b64 exec, exec, s[14:15]
.LBB0_40:                               ;   in Loop: Header=BB0_3 Depth=1
	s_or_b64 exec, exec, s[12:13]
	v_mov_b32_e32 v25, v7
	v_mov_b32_e32 v24, v6
                                        ; implicit-def: $vgpr2
.LBB0_41:                               ;   in Loop: Header=BB0_3 Depth=1
	s_or_saveexec_b64 s[4:5], s[4:5]
	v_mov_b32_e32 v0, 0
	s_xor_b64 exec, exec, s[4:5]
	s_cbranch_execz .LBB0_43
; %bb.42:                               ;   in Loop: Header=BB0_3 Depth=1
	global_load_dwordx2 v[20:21], v[6:7], off
	v_add_u32_e32 v0, -8, v2
.LBB0_43:                               ;   in Loop: Header=BB0_3 Depth=1
	s_or_b64 exec, exec, s[4:5]
	v_add_co_u32_e64 v6, s[4:5], 8, v24
	v_cmp_gt_u32_e32 vcc, 8, v0
	v_addc_co_u32_e64 v7, s[4:5], 0, v25, s[4:5]
                                        ; implicit-def: $vgpr22_vgpr23
	s_and_saveexec_b64 s[4:5], vcc
	s_xor_b64 s[4:5], exec, s[4:5]
	s_cbranch_execz .LBB0_49
; %bb.44:                               ;   in Loop: Header=BB0_3 Depth=1
	v_mov_b32_e32 v22, 0
	v_mov_b32_e32 v23, 0
	v_cmp_ne_u32_e32 vcc, 0, v0
	s_and_saveexec_b64 s[12:13], vcc
	s_cbranch_execz .LBB0_48
; %bb.45:                               ;   in Loop: Header=BB0_3 Depth=1
	v_mov_b32_e32 v22, 0
	s_mov_b64 s[14:15], 0
	v_mov_b32_e32 v23, 0
	s_mov_b64 s[16:17], 0
	s_mov_b64 s[18:19], 0
.LBB0_46:                               ;   Parent Loop BB0_3 Depth=1
                                        ; =>  This Inner Loop Header: Depth=2
	v_mov_b32_e32 v2, s19
	v_add_co_u32_e32 v6, vcc, s18, v24
	v_addc_co_u32_e32 v7, vcc, v25, v2, vcc
	global_load_ubyte v2, v[6:7], off
	s_add_u32 s18, s18, 1
	v_mov_b32_e32 v7, s20
	s_addc_u32 s19, s19, 0
	v_cmp_eq_u32_e32 vcc, s18, v0
	s_waitcnt vmcnt(0)
	v_and_b32_e32 v6, 0xffff, v2
	v_lshlrev_b64 v[6:7], s16, v[6:7]
	s_add_u32 s16, s16, 8
	s_addc_u32 s17, s17, 0
	v_or_b32_e32 v23, v7, v23
	s_or_b64 s[14:15], vcc, s[14:15]
	v_or_b32_e32 v22, v6, v22
	s_andn2_b64 exec, exec, s[14:15]
	s_cbranch_execnz .LBB0_46
; %bb.47:                               ;   in Loop: Header=BB0_3 Depth=1
	s_or_b64 exec, exec, s[14:15]
.LBB0_48:                               ;   in Loop: Header=BB0_3 Depth=1
	s_or_b64 exec, exec, s[12:13]
	v_mov_b32_e32 v6, v24
	v_mov_b32_e32 v7, v25
                                        ; implicit-def: $vgpr0
.LBB0_49:                               ;   in Loop: Header=BB0_3 Depth=1
	s_or_saveexec_b64 s[4:5], s[4:5]
	v_mov_b32_e32 v2, 0
	s_xor_b64 exec, exec, s[4:5]
	s_cbranch_execz .LBB0_51
; %bb.50:                               ;   in Loop: Header=BB0_3 Depth=1
	global_load_dwordx2 v[22:23], v[24:25], off
	v_add_u32_e32 v2, -8, v0
.LBB0_51:                               ;   in Loop: Header=BB0_3 Depth=1
	s_or_b64 exec, exec, s[4:5]
	v_cmp_gt_u32_e32 vcc, 8, v2
	s_and_saveexec_b64 s[4:5], vcc
	s_xor_b64 s[4:5], exec, s[4:5]
	s_cbranch_execz .LBB0_57
; %bb.52:                               ;   in Loop: Header=BB0_3 Depth=1
	v_mov_b32_e32 v24, 0
	v_mov_b32_e32 v25, 0
	v_cmp_ne_u32_e32 vcc, 0, v2
	s_and_saveexec_b64 s[12:13], vcc
	s_cbranch_execz .LBB0_56
; %bb.53:                               ;   in Loop: Header=BB0_3 Depth=1
	v_mov_b32_e32 v24, 0
	s_mov_b64 s[14:15], 0
	v_mov_b32_e32 v25, 0
	s_mov_b64 s[16:17], 0
.LBB0_54:                               ;   Parent Loop BB0_3 Depth=1
                                        ; =>  This Inner Loop Header: Depth=2
	global_load_ubyte v0, v[6:7], off
	v_mov_b32_e32 v27, s20
	v_add_co_u32_e32 v6, vcc, 1, v6
	v_add_u32_e32 v2, -1, v2
	v_addc_co_u32_e32 v7, vcc, 0, v7, vcc
	v_cmp_eq_u32_e32 vcc, 0, v2
	s_waitcnt vmcnt(0)
	v_and_b32_e32 v26, 0xffff, v0
	v_lshlrev_b64 v[26:27], s16, v[26:27]
	s_add_u32 s16, s16, 8
	s_addc_u32 s17, s17, 0
	v_or_b32_e32 v25, v27, v25
	s_or_b64 s[14:15], vcc, s[14:15]
	v_or_b32_e32 v24, v26, v24
	s_andn2_b64 exec, exec, s[14:15]
	s_cbranch_execnz .LBB0_54
; %bb.55:                               ;   in Loop: Header=BB0_3 Depth=1
	s_or_b64 exec, exec, s[14:15]
.LBB0_56:                               ;   in Loop: Header=BB0_3 Depth=1
	s_or_b64 exec, exec, s[12:13]
                                        ; implicit-def: $vgpr6_vgpr7
.LBB0_57:                               ;   in Loop: Header=BB0_3 Depth=1
	s_andn2_saveexec_b64 s[4:5], s[4:5]
	s_cbranch_execz .LBB0_59
; %bb.58:                               ;   in Loop: Header=BB0_3 Depth=1
	global_load_dwordx2 v[24:25], v[6:7], off
.LBB0_59:                               ;   in Loop: Header=BB0_3 Depth=1
	s_or_b64 exec, exec, s[4:5]
	v_readfirstlane_b32 s4, v39
	v_mov_b32_e32 v6, 0
	v_mov_b32_e32 v7, 0
	v_cmp_eq_u32_e64 s[4:5], s4, v39
	s_and_saveexec_b64 s[12:13], s[4:5]
	s_cbranch_execz .LBB0_65
; %bb.60:                               ;   in Loop: Header=BB0_3 Depth=1
	s_waitcnt lgkmcnt(0)
	global_load_dwordx2 v[28:29], v3, s[10:11] offset:24 glc
	s_waitcnt vmcnt(0)
	buffer_wbinvl1_vol
	global_load_dwordx2 v[6:7], v3, s[10:11] offset:40
	global_load_dwordx2 v[26:27], v3, s[10:11]
	s_waitcnt vmcnt(1)
	v_and_b32_e32 v0, v6, v28
	v_and_b32_e32 v2, v7, v29
	v_mul_lo_u32 v2, v2, 24
	v_mul_hi_u32 v6, v0, 24
	v_mul_lo_u32 v0, v0, 24
	v_add_u32_e32 v2, v6, v2
	s_waitcnt vmcnt(0)
	v_add_co_u32_e32 v6, vcc, v26, v0
	v_addc_co_u32_e32 v7, vcc, v27, v2, vcc
	global_load_dwordx2 v[26:27], v[6:7], off glc
	s_waitcnt vmcnt(0)
	global_atomic_cmpswap_x2 v[6:7], v3, v[26:29], s[10:11] offset:24 glc
	s_waitcnt vmcnt(0)
	buffer_wbinvl1_vol
	v_cmp_ne_u64_e32 vcc, v[6:7], v[28:29]
	s_and_saveexec_b64 s[14:15], vcc
	s_cbranch_execz .LBB0_64
; %bb.61:                               ;   in Loop: Header=BB0_3 Depth=1
	s_mov_b64 s[16:17], 0
.LBB0_62:                               ;   Parent Loop BB0_3 Depth=1
                                        ; =>  This Inner Loop Header: Depth=2
	s_sleep 1
	global_load_dwordx2 v[26:27], v3, s[10:11] offset:40
	global_load_dwordx2 v[34:35], v3, s[10:11]
	v_mov_b32_e32 v29, v7
	v_mov_b32_e32 v28, v6
	s_waitcnt vmcnt(1)
	v_and_b32_e32 v0, v26, v28
	s_waitcnt vmcnt(0)
	v_mad_u64_u32 v[6:7], s[18:19], v0, 24, v[34:35]
	v_and_b32_e32 v2, v27, v29
	v_mov_b32_e32 v0, v7
	v_mad_u64_u32 v[26:27], s[18:19], v2, 24, v[0:1]
	v_mov_b32_e32 v7, v26
	global_load_dwordx2 v[26:27], v[6:7], off glc
	s_waitcnt vmcnt(0)
	global_atomic_cmpswap_x2 v[6:7], v3, v[26:29], s[10:11] offset:24 glc
	s_waitcnt vmcnt(0)
	buffer_wbinvl1_vol
	v_cmp_eq_u64_e32 vcc, v[6:7], v[28:29]
	s_or_b64 s[16:17], vcc, s[16:17]
	s_andn2_b64 exec, exec, s[16:17]
	s_cbranch_execnz .LBB0_62
; %bb.63:                               ;   in Loop: Header=BB0_3 Depth=1
	s_or_b64 exec, exec, s[16:17]
.LBB0_64:                               ;   in Loop: Header=BB0_3 Depth=1
	s_or_b64 exec, exec, s[14:15]
.LBB0_65:                               ;   in Loop: Header=BB0_3 Depth=1
	s_or_b64 exec, exec, s[12:13]
	s_waitcnt lgkmcnt(0)
	global_load_dwordx2 v[34:35], v3, s[10:11] offset:40
	global_load_dwordx4 v[26:29], v3, s[10:11]
	v_readfirstlane_b32 s13, v7
	v_readfirstlane_b32 s12, v6
	s_mov_b64 s[14:15], exec
	s_waitcnt vmcnt(1)
	v_readfirstlane_b32 s16, v34
	v_readfirstlane_b32 s17, v35
	s_and_b64 s[16:17], s[16:17], s[12:13]
	s_mul_i32 s18, s17, 24
	s_mul_hi_u32 s19, s16, 24
	s_mul_i32 s22, s16, 24
	s_add_i32 s18, s19, s18
	v_mov_b32_e32 v0, s18
	s_waitcnt vmcnt(0)
	v_add_co_u32_e32 v34, vcc, s22, v26
	v_addc_co_u32_e32 v35, vcc, v27, v0, vcc
	s_and_saveexec_b64 s[18:19], s[4:5]
	s_cbranch_execz .LBB0_67
; %bb.66:                               ;   in Loop: Header=BB0_3 Depth=1
	v_mov_b32_e32 v6, s14
	v_mov_b32_e32 v7, s15
	global_store_dwordx4 v[34:35], v[6:9], off offset:8
.LBB0_67:                               ;   in Loop: Header=BB0_3 Depth=1
	s_or_b64 exec, exec, s[18:19]
	s_lshl_b64 s[14:15], s[16:17], 12
	v_mov_b32_e32 v2, s15
	v_add_co_u32_e32 v0, vcc, s14, v28
	v_addc_co_u32_e32 v28, vcc, v29, v2, vcc
	v_cmp_gt_u64_e32 vcc, 57, v[4:5]
	v_and_b32_e32 v7, 0xffffff1f, v10
	v_cndmask_b32_e32 v2, 0, v38, vcc
	v_lshl_add_u32 v6, v32, 2, 28
	v_or_b32_e32 v2, v7, v2
	v_and_or_b32 v10, v6, s21, v2
	v_lshlrev_b32_e32 v29, 6, v39
	v_readfirstlane_b32 s14, v0
	v_readfirstlane_b32 s15, v28
	s_nop 4
	global_store_dwordx4 v29, v[10:13], s[14:15]
	global_store_dwordx4 v29, v[14:17], s[14:15] offset:16
	global_store_dwordx4 v29, v[18:21], s[14:15] offset:32
	;; [unrolled: 1-line block ×3, first 2 shown]
	s_and_saveexec_b64 s[14:15], s[4:5]
	s_cbranch_execz .LBB0_75
; %bb.68:                               ;   in Loop: Header=BB0_3 Depth=1
	global_load_dwordx2 v[14:15], v3, s[10:11] offset:32 glc
	global_load_dwordx2 v[6:7], v3, s[10:11] offset:40
	v_mov_b32_e32 v12, s12
	v_mov_b32_e32 v13, s13
	s_waitcnt vmcnt(0)
	v_readfirstlane_b32 s16, v6
	v_readfirstlane_b32 s17, v7
	s_and_b64 s[16:17], s[16:17], s[12:13]
	s_mul_i32 s17, s17, 24
	s_mul_hi_u32 s18, s16, 24
	s_mul_i32 s16, s16, 24
	s_add_i32 s17, s18, s17
	v_mov_b32_e32 v2, s17
	v_add_co_u32_e32 v6, vcc, s16, v26
	v_addc_co_u32_e32 v7, vcc, v27, v2, vcc
	global_store_dwordx2 v[6:7], v[14:15], off
	s_waitcnt vmcnt(0)
	global_atomic_cmpswap_x2 v[12:13], v3, v[12:15], s[10:11] offset:32 glc
	s_waitcnt vmcnt(0)
	v_cmp_ne_u64_e32 vcc, v[12:13], v[14:15]
	s_and_saveexec_b64 s[16:17], vcc
	s_cbranch_execz .LBB0_71
; %bb.69:                               ;   in Loop: Header=BB0_3 Depth=1
	s_mov_b64 s[18:19], 0
.LBB0_70:                               ;   Parent Loop BB0_3 Depth=1
                                        ; =>  This Inner Loop Header: Depth=2
	s_sleep 1
	global_store_dwordx2 v[6:7], v[12:13], off
	v_mov_b32_e32 v10, s12
	v_mov_b32_e32 v11, s13
	s_waitcnt vmcnt(0)
	global_atomic_cmpswap_x2 v[10:11], v3, v[10:13], s[10:11] offset:32 glc
	s_waitcnt vmcnt(0)
	v_cmp_eq_u64_e32 vcc, v[10:11], v[12:13]
	v_mov_b32_e32 v13, v11
	s_or_b64 s[18:19], vcc, s[18:19]
	v_mov_b32_e32 v12, v10
	s_andn2_b64 exec, exec, s[18:19]
	s_cbranch_execnz .LBB0_70
.LBB0_71:                               ;   in Loop: Header=BB0_3 Depth=1
	s_or_b64 exec, exec, s[16:17]
	global_load_dwordx2 v[6:7], v3, s[10:11] offset:16
	s_mov_b64 s[18:19], exec
	v_mbcnt_lo_u32_b32 v2, s18, 0
	v_mbcnt_hi_u32_b32 v2, s19, v2
	v_cmp_eq_u32_e32 vcc, 0, v2
	s_and_saveexec_b64 s[16:17], vcc
	s_cbranch_execz .LBB0_73
; %bb.72:                               ;   in Loop: Header=BB0_3 Depth=1
	s_bcnt1_i32_b64 s18, s[18:19]
	v_mov_b32_e32 v2, s18
	s_waitcnt vmcnt(0)
	global_atomic_add_x2 v[6:7], v[2:3], off offset:8
.LBB0_73:                               ;   in Loop: Header=BB0_3 Depth=1
	s_or_b64 exec, exec, s[16:17]
	s_waitcnt vmcnt(0)
	global_load_dwordx2 v[10:11], v[6:7], off offset:16
	s_waitcnt vmcnt(0)
	v_cmp_eq_u64_e32 vcc, 0, v[10:11]
	s_cbranch_vccnz .LBB0_75
; %bb.74:                               ;   in Loop: Header=BB0_3 Depth=1
	global_load_dword v2, v[6:7], off offset:24
	s_waitcnt vmcnt(0)
	v_readfirstlane_b32 s16, v2
	s_and_b32 m0, s16, 0xffffff
	global_store_dwordx2 v[10:11], v[2:3], off
	s_sendmsg sendmsg(MSG_INTERRUPT)
.LBB0_75:                               ;   in Loop: Header=BB0_3 Depth=1
	s_or_b64 exec, exec, s[14:15]
	v_add_co_u32_e32 v6, vcc, v0, v29
	v_addc_co_u32_e32 v7, vcc, 0, v28, vcc
	s_branch .LBB0_79
.LBB0_76:                               ;   in Loop: Header=BB0_79 Depth=2
	s_or_b64 exec, exec, s[14:15]
	v_readfirstlane_b32 s14, v0
	s_cmp_eq_u32 s14, 0
	s_cbranch_scc1 .LBB0_78
; %bb.77:                               ;   in Loop: Header=BB0_79 Depth=2
	s_sleep 1
	s_cbranch_execnz .LBB0_79
	s_branch .LBB0_81
.LBB0_78:                               ;   in Loop: Header=BB0_3 Depth=1
	s_branch .LBB0_81
.LBB0_79:                               ;   Parent Loop BB0_3 Depth=1
                                        ; =>  This Inner Loop Header: Depth=2
	v_mov_b32_e32 v0, 1
	s_and_saveexec_b64 s[14:15], s[4:5]
	s_cbranch_execz .LBB0_76
; %bb.80:                               ;   in Loop: Header=BB0_79 Depth=2
	global_load_dword v0, v[34:35], off offset:20 glc
	s_waitcnt vmcnt(0)
	buffer_wbinvl1_vol
	v_and_b32_e32 v0, 1, v0
	s_branch .LBB0_76
.LBB0_81:                               ;   in Loop: Header=BB0_3 Depth=1
	global_load_dwordx4 v[10:13], v[6:7], off
	s_and_saveexec_b64 s[14:15], s[4:5]
	s_cbranch_execz .LBB0_2
; %bb.82:                               ;   in Loop: Header=BB0_3 Depth=1
	global_load_dwordx2 v[6:7], v3, s[10:11] offset:40
	global_load_dwordx2 v[16:17], v3, s[10:11] offset:24 glc
	global_load_dwordx2 v[12:13], v3, s[10:11]
	s_waitcnt vmcnt(2)
	v_readfirstlane_b32 s16, v6
	v_readfirstlane_b32 s17, v7
	s_add_u32 s18, s16, 1
	s_addc_u32 s19, s17, 0
	s_add_u32 s4, s18, s12
	s_addc_u32 s5, s19, s13
	s_cmp_eq_u64 s[4:5], 0
	s_cselect_b32 s5, s19, s5
	s_cselect_b32 s4, s18, s4
	s_and_b64 s[12:13], s[4:5], s[16:17]
	s_mul_i32 s13, s13, 24
	s_mul_hi_u32 s16, s12, 24
	s_mul_i32 s12, s12, 24
	s_add_i32 s13, s16, s13
	v_mov_b32_e32 v0, s13
	s_waitcnt vmcnt(0)
	v_add_co_u32_e32 v6, vcc, s12, v12
	v_addc_co_u32_e32 v7, vcc, v13, v0, vcc
	v_mov_b32_e32 v14, s4
	global_store_dwordx2 v[6:7], v[16:17], off
	v_mov_b32_e32 v15, s5
	s_waitcnt vmcnt(0)
	global_atomic_cmpswap_x2 v[14:15], v3, v[14:17], s[10:11] offset:24 glc
	s_waitcnt vmcnt(0)
	v_cmp_ne_u64_e32 vcc, v[14:15], v[16:17]
	s_and_b64 exec, exec, vcc
	s_cbranch_execz .LBB0_2
; %bb.83:                               ;   in Loop: Header=BB0_3 Depth=1
	s_mov_b64 s[12:13], 0
.LBB0_84:                               ;   Parent Loop BB0_3 Depth=1
                                        ; =>  This Inner Loop Header: Depth=2
	s_sleep 1
	global_store_dwordx2 v[6:7], v[14:15], off
	v_mov_b32_e32 v12, s4
	v_mov_b32_e32 v13, s5
	s_waitcnt vmcnt(0)
	global_atomic_cmpswap_x2 v[12:13], v3, v[12:15], s[10:11] offset:24 glc
	s_waitcnt vmcnt(0)
	v_cmp_eq_u64_e32 vcc, v[12:13], v[14:15]
	v_mov_b32_e32 v15, v13
	s_or_b64 s[12:13], vcc, s[12:13]
	v_mov_b32_e32 v14, v12
	s_andn2_b64 exec, exec, s[12:13]
	s_cbranch_execnz .LBB0_84
	s_branch .LBB0_2
.LBB0_85:
	s_or_b64 exec, exec, s[6:7]
	s_branch .LBB0_113
.LBB0_86:
	s_load_dwordx2 s[6:7], s[8:9], 0x50
	v_mbcnt_hi_u32_b32 v3, -1, v37
	v_readfirstlane_b32 s4, v3
	v_mov_b32_e32 v8, 0
	v_mov_b32_e32 v9, 0
	v_cmp_eq_u32_e64 s[4:5], s4, v3
	s_and_saveexec_b64 s[8:9], s[4:5]
	s_cbranch_execz .LBB0_92
; %bb.87:
	v_mov_b32_e32 v0, 0
	s_waitcnt lgkmcnt(0)
	global_load_dwordx2 v[6:7], v0, s[6:7] offset:24 glc
	s_waitcnt vmcnt(0)
	buffer_wbinvl1_vol
	global_load_dwordx2 v[4:5], v0, s[6:7] offset:40
	global_load_dwordx2 v[8:9], v0, s[6:7]
	s_waitcnt vmcnt(1)
	v_and_b32_e32 v2, v4, v6
	v_and_b32_e32 v4, v5, v7
	v_mul_lo_u32 v4, v4, 24
	v_mul_hi_u32 v5, v2, 24
	v_mul_lo_u32 v2, v2, 24
	v_add_u32_e32 v5, v5, v4
	s_waitcnt vmcnt(0)
	v_add_co_u32_e32 v4, vcc, v8, v2
	v_addc_co_u32_e32 v5, vcc, v9, v5, vcc
	global_load_dwordx2 v[4:5], v[4:5], off glc
	s_waitcnt vmcnt(0)
	global_atomic_cmpswap_x2 v[8:9], v0, v[4:7], s[6:7] offset:24 glc
	s_waitcnt vmcnt(0)
	buffer_wbinvl1_vol
	v_cmp_ne_u64_e32 vcc, v[8:9], v[6:7]
	s_and_saveexec_b64 s[10:11], vcc
	s_cbranch_execz .LBB0_91
; %bb.88:
	s_mov_b64 s[12:13], 0
.LBB0_89:                               ; =>This Inner Loop Header: Depth=1
	s_sleep 1
	global_load_dwordx2 v[4:5], v0, s[6:7] offset:40
	global_load_dwordx2 v[10:11], v0, s[6:7]
	v_mov_b32_e32 v6, v8
	v_mov_b32_e32 v7, v9
	s_waitcnt vmcnt(1)
	v_and_b32_e32 v2, v4, v6
	s_waitcnt vmcnt(0)
	v_mad_u64_u32 v[8:9], s[14:15], v2, 24, v[10:11]
	v_and_b32_e32 v4, v5, v7
	v_mov_b32_e32 v2, v9
	v_mad_u64_u32 v[4:5], s[14:15], v4, 24, v[2:3]
	v_mov_b32_e32 v9, v4
	global_load_dwordx2 v[4:5], v[8:9], off glc
	s_waitcnt vmcnt(0)
	global_atomic_cmpswap_x2 v[8:9], v0, v[4:7], s[6:7] offset:24 glc
	s_waitcnt vmcnt(0)
	buffer_wbinvl1_vol
	v_cmp_eq_u64_e32 vcc, v[8:9], v[6:7]
	s_or_b64 s[12:13], vcc, s[12:13]
	s_andn2_b64 exec, exec, s[12:13]
	s_cbranch_execnz .LBB0_89
; %bb.90:
	s_or_b64 exec, exec, s[12:13]
.LBB0_91:
	s_or_b64 exec, exec, s[10:11]
.LBB0_92:
	s_or_b64 exec, exec, s[8:9]
	v_mov_b32_e32 v2, 0
	s_waitcnt lgkmcnt(0)
	global_load_dwordx2 v[10:11], v2, s[6:7] offset:40
	global_load_dwordx4 v[4:7], v2, s[6:7]
	v_readfirstlane_b32 s9, v9
	v_readfirstlane_b32 s8, v8
	s_mov_b64 s[10:11], exec
	s_waitcnt vmcnt(1)
	v_readfirstlane_b32 s12, v10
	v_readfirstlane_b32 s13, v11
	s_and_b64 s[12:13], s[12:13], s[8:9]
	s_mul_i32 s14, s13, 24
	s_mul_hi_u32 s15, s12, 24
	s_mul_i32 s16, s12, 24
	s_add_i32 s14, s15, s14
	v_mov_b32_e32 v0, s14
	s_waitcnt vmcnt(0)
	v_add_co_u32_e32 v8, vcc, s16, v4
	v_addc_co_u32_e32 v9, vcc, v5, v0, vcc
	s_and_saveexec_b64 s[14:15], s[4:5]
	s_cbranch_execz .LBB0_94
; %bb.93:
	v_mov_b32_e32 v10, s10
	v_mov_b32_e32 v11, s11
	;; [unrolled: 1-line block ×4, first 2 shown]
	global_store_dwordx4 v[8:9], v[10:13], off offset:8
.LBB0_94:
	s_or_b64 exec, exec, s[14:15]
	s_lshl_b64 s[10:11], s[12:13], 12
	v_mov_b32_e32 v0, s11
	v_add_co_u32_e32 v6, vcc, s10, v6
	v_addc_co_u32_e32 v7, vcc, v7, v0, vcc
	s_movk_i32 s10, 0xff1f
	v_and_or_b32 v0, v36, s10, 32
	v_lshlrev_b32_e32 v10, 6, v3
	s_mov_b32 s12, 0
	v_mov_b32_e32 v3, v2
	v_readfirstlane_b32 s10, v6
	v_readfirstlane_b32 s11, v7
	s_mov_b32 s13, s12
	s_mov_b32 s14, s12
	;; [unrolled: 1-line block ×3, first 2 shown]
	s_nop 1
	global_store_dwordx4 v10, v[0:3], s[10:11]
	s_nop 0
	v_mov_b32_e32 v0, s12
	v_mov_b32_e32 v1, s13
	;; [unrolled: 1-line block ×4, first 2 shown]
	global_store_dwordx4 v10, v[0:3], s[10:11] offset:16
	global_store_dwordx4 v10, v[0:3], s[10:11] offset:32
	;; [unrolled: 1-line block ×3, first 2 shown]
	s_and_saveexec_b64 s[10:11], s[4:5]
	s_cbranch_execz .LBB0_102
; %bb.95:
	v_mov_b32_e32 v6, 0
	global_load_dwordx2 v[12:13], v6, s[6:7] offset:32 glc
	global_load_dwordx2 v[0:1], v6, s[6:7] offset:40
	v_mov_b32_e32 v10, s8
	v_mov_b32_e32 v11, s9
	s_waitcnt vmcnt(0)
	v_and_b32_e32 v0, s8, v0
	v_and_b32_e32 v1, s9, v1
	v_mul_lo_u32 v1, v1, 24
	v_mul_hi_u32 v2, v0, 24
	v_mul_lo_u32 v0, v0, 24
	v_add_u32_e32 v1, v2, v1
	v_add_co_u32_e32 v4, vcc, v4, v0
	v_addc_co_u32_e32 v5, vcc, v5, v1, vcc
	global_store_dwordx2 v[4:5], v[12:13], off
	s_waitcnt vmcnt(0)
	global_atomic_cmpswap_x2 v[2:3], v6, v[10:13], s[6:7] offset:32 glc
	s_waitcnt vmcnt(0)
	v_cmp_ne_u64_e32 vcc, v[2:3], v[12:13]
	s_and_saveexec_b64 s[12:13], vcc
	s_cbranch_execz .LBB0_98
; %bb.96:
	s_mov_b64 s[14:15], 0
.LBB0_97:                               ; =>This Inner Loop Header: Depth=1
	s_sleep 1
	global_store_dwordx2 v[4:5], v[2:3], off
	v_mov_b32_e32 v0, s8
	v_mov_b32_e32 v1, s9
	s_waitcnt vmcnt(0)
	global_atomic_cmpswap_x2 v[0:1], v6, v[0:3], s[6:7] offset:32 glc
	s_waitcnt vmcnt(0)
	v_cmp_eq_u64_e32 vcc, v[0:1], v[2:3]
	v_mov_b32_e32 v3, v1
	s_or_b64 s[14:15], vcc, s[14:15]
	v_mov_b32_e32 v2, v0
	s_andn2_b64 exec, exec, s[14:15]
	s_cbranch_execnz .LBB0_97
.LBB0_98:
	s_or_b64 exec, exec, s[12:13]
	v_mov_b32_e32 v3, 0
	global_load_dwordx2 v[0:1], v3, s[6:7] offset:16
	s_mov_b64 s[12:13], exec
	v_mbcnt_lo_u32_b32 v2, s12, 0
	v_mbcnt_hi_u32_b32 v2, s13, v2
	v_cmp_eq_u32_e32 vcc, 0, v2
	s_and_saveexec_b64 s[14:15], vcc
	s_cbranch_execz .LBB0_100
; %bb.99:
	s_bcnt1_i32_b64 s12, s[12:13]
	v_mov_b32_e32 v2, s12
	s_waitcnt vmcnt(0)
	global_atomic_add_x2 v[0:1], v[2:3], off offset:8
.LBB0_100:
	s_or_b64 exec, exec, s[14:15]
	s_waitcnt vmcnt(0)
	global_load_dwordx2 v[2:3], v[0:1], off offset:16
	s_waitcnt vmcnt(0)
	v_cmp_eq_u64_e32 vcc, 0, v[2:3]
	s_cbranch_vccnz .LBB0_102
; %bb.101:
	global_load_dword v0, v[0:1], off offset:24
	v_mov_b32_e32 v1, 0
	s_waitcnt vmcnt(0)
	v_readfirstlane_b32 s12, v0
	s_and_b32 m0, s12, 0xffffff
	global_store_dwordx2 v[2:3], v[0:1], off
	s_sendmsg sendmsg(MSG_INTERRUPT)
.LBB0_102:
	s_or_b64 exec, exec, s[10:11]
	s_branch .LBB0_106
.LBB0_103:                              ;   in Loop: Header=BB0_106 Depth=1
	s_or_b64 exec, exec, s[10:11]
	v_readfirstlane_b32 s10, v0
	s_cmp_eq_u32 s10, 0
	s_cbranch_scc1 .LBB0_105
; %bb.104:                              ;   in Loop: Header=BB0_106 Depth=1
	s_sleep 1
	s_cbranch_execnz .LBB0_106
	s_branch .LBB0_108
.LBB0_105:
	s_branch .LBB0_108
.LBB0_106:                              ; =>This Inner Loop Header: Depth=1
	v_mov_b32_e32 v0, 1
	s_and_saveexec_b64 s[10:11], s[4:5]
	s_cbranch_execz .LBB0_103
; %bb.107:                              ;   in Loop: Header=BB0_106 Depth=1
	global_load_dword v0, v[8:9], off offset:20 glc
	s_waitcnt vmcnt(0)
	buffer_wbinvl1_vol
	v_and_b32_e32 v0, 1, v0
	s_branch .LBB0_103
.LBB0_108:
	s_and_saveexec_b64 s[10:11], s[4:5]
	s_cbranch_execz .LBB0_111
; %bb.109:
	v_mov_b32_e32 v6, 0
	global_load_dwordx2 v[0:1], v6, s[6:7] offset:40
	global_load_dwordx2 v[9:10], v6, s[6:7] offset:24 glc
	global_load_dwordx2 v[2:3], v6, s[6:7]
	s_waitcnt vmcnt(2)
	v_readfirstlane_b32 s12, v0
	v_readfirstlane_b32 s13, v1
	s_add_u32 s14, s12, 1
	s_addc_u32 s15, s13, 0
	s_add_u32 s4, s14, s8
	s_addc_u32 s5, s15, s9
	s_cmp_eq_u64 s[4:5], 0
	s_cselect_b32 s5, s15, s5
	s_cselect_b32 s4, s14, s4
	s_and_b64 s[8:9], s[4:5], s[12:13]
	s_mul_i32 s9, s9, 24
	s_mul_hi_u32 s12, s8, 24
	s_mul_i32 s8, s8, 24
	s_add_i32 s9, s12, s9
	v_mov_b32_e32 v0, s9
	s_waitcnt vmcnt(0)
	v_add_co_u32_e32 v4, vcc, s8, v2
	v_addc_co_u32_e32 v5, vcc, v3, v0, vcc
	v_mov_b32_e32 v7, s4
	global_store_dwordx2 v[4:5], v[9:10], off
	v_mov_b32_e32 v8, s5
	s_waitcnt vmcnt(0)
	global_atomic_cmpswap_x2 v[2:3], v6, v[7:10], s[6:7] offset:24 glc
	s_mov_b64 s[8:9], 0
	s_waitcnt vmcnt(0)
	v_cmp_ne_u64_e32 vcc, v[2:3], v[9:10]
	s_and_b64 exec, exec, vcc
	s_cbranch_execz .LBB0_111
.LBB0_110:                              ; =>This Inner Loop Header: Depth=1
	s_sleep 1
	global_store_dwordx2 v[4:5], v[2:3], off
	v_mov_b32_e32 v0, s4
	v_mov_b32_e32 v1, s5
	s_waitcnt vmcnt(0)
	global_atomic_cmpswap_x2 v[0:1], v6, v[0:3], s[6:7] offset:24 glc
	s_waitcnt vmcnt(0)
	v_cmp_eq_u64_e32 vcc, v[0:1], v[2:3]
	v_mov_b32_e32 v3, v1
	s_or_b64 s[8:9], vcc, s[8:9]
	v_mov_b32_e32 v2, v0
	s_andn2_b64 exec, exec, s[8:9]
	s_cbranch_execnz .LBB0_110
.LBB0_111:
	s_or_b64 exec, exec, s[10:11]
	s_waitcnt vmcnt(0) lgkmcnt(0)
	s_setpc_b64 s[30:31]
.LBB0_112:
	s_cbranch_execnz .LBB0_86
.LBB0_113:
	s_waitcnt vmcnt(0) lgkmcnt(0)
	s_setpc_b64 s[30:31]
.Lfunc_end0:
	.size	__ockl_fprintf_append_string_n, .Lfunc_end0-__ockl_fprintf_append_string_n
                                        ; -- End function
	.set .L__ockl_fprintf_append_string_n.num_vgpr, 40
	.set .L__ockl_fprintf_append_string_n.num_agpr, 0
	.set .L__ockl_fprintf_append_string_n.numbered_sgpr, 32
	.set .L__ockl_fprintf_append_string_n.num_named_barrier, 0
	.set .L__ockl_fprintf_append_string_n.private_seg_size, 0
	.set .L__ockl_fprintf_append_string_n.uses_vcc, 1
	.set .L__ockl_fprintf_append_string_n.uses_flat_scratch, 0
	.set .L__ockl_fprintf_append_string_n.has_dyn_sized_stack, 0
	.set .L__ockl_fprintf_append_string_n.has_recursion, 0
	.set .L__ockl_fprintf_append_string_n.has_indirect_call, 0
	.section	.AMDGPU.csdata,"",@progbits
; Function info:
; codeLenInByte = 3900
; TotalNumSgprs: 36
; NumVgprs: 40
; ScratchSize: 0
; MemoryBound: 0
	.text
	.p2align	2                               ; -- Begin function __assert_fail
	.type	__assert_fail,@function
__assert_fail:                          ; @__assert_fail
; %bb.0:
	s_waitcnt vmcnt(0) expcnt(0) lgkmcnt(0)
	s_mov_b32 s25, s33
	s_mov_b32 s33, s32
	s_or_saveexec_b64 s[4:5], -1
	buffer_store_dword v40, off, s[0:3], s33 offset:48 ; 4-byte Folded Spill
	s_mov_b64 exec, s[4:5]
	v_writelane_b32 v40, s30, 0
	s_addk_i32 s32, 0x1000
	v_writelane_b32 v40, s31, 1
	v_mov_b32_e32 v8, 0
	s_getpc_b64 s[4:5]
	s_add_u32 s4, s4, __const.__assert_fail.fmt@rel32@lo+35
	s_addc_u32 s5, s5, __const.__assert_fail.fmt@rel32@hi+43
	v_mov_b32_e32 v5, v1
	v_mov_b32_e32 v4, v0
	global_load_dwordx4 v[0:3], v8, s[4:5]
	s_getpc_b64 s[16:17]
	s_add_u32 s16, s16, __const.__assert_fail.fmt@rel32@lo+4
	s_addc_u32 s17, s17, __const.__assert_fail.fmt@rel32@hi+12
	s_getpc_b64 s[18:19]
	s_add_u32 s18, s18, __const.__assert_fail.fmt@rel32@lo+20
	s_addc_u32 s19, s19, __const.__assert_fail.fmt@rel32@hi+28
	v_mbcnt_lo_u32_b32 v9, -1, 0
	s_load_dwordx4 s[4:7], s[16:17], 0x0
	s_load_dwordx4 s[12:15], s[18:19], 0x0
	s_load_dwordx2 s[10:11], s[8:9], 0x50
	v_mbcnt_hi_u32_b32 v34, -1, v9
	v_mov_b32_e32 v6, 0
	v_readfirstlane_b32 s16, v34
	v_mov_b32_e32 v7, 0
	s_waitcnt lgkmcnt(0)
	v_mov_b32_e32 v9, s7
	v_mov_b32_e32 v11, s5
	;; [unrolled: 1-line block ×3, first 2 shown]
	v_cmp_eq_u32_e64 s[4:5], s16, v34
	v_mov_b32_e32 v10, s6
	v_mov_b32_e32 v13, s15
	;; [unrolled: 1-line block ×5, first 2 shown]
	buffer_store_dword v9, off, s[0:3], s33 offset:12
	buffer_store_dword v10, off, s[0:3], s33 offset:8
	buffer_store_dword v11, off, s[0:3], s33 offset:4
	buffer_store_dword v12, off, s[0:3], s33
	buffer_store_dword v13, off, s[0:3], s33 offset:28
	buffer_store_dword v14, off, s[0:3], s33 offset:24
	;; [unrolled: 1-line block ×4, first 2 shown]
	s_waitcnt vmcnt(8)
	buffer_store_dword v3, off, s[0:3], s33 offset:43
	buffer_store_dword v2, off, s[0:3], s33 offset:39
	;; [unrolled: 1-line block ×4, first 2 shown]
	s_and_saveexec_b64 s[6:7], s[4:5]
	s_cbranch_execz .LBB1_6
; %bb.1:
	global_load_dwordx2 v[2:3], v8, s[10:11] offset:24 glc
	s_waitcnt vmcnt(0)
	buffer_wbinvl1_vol
	global_load_dwordx2 v[0:1], v8, s[10:11] offset:40
	global_load_dwordx2 v[6:7], v8, s[10:11]
	s_waitcnt vmcnt(1)
	v_and_b32_e32 v0, v0, v2
	v_and_b32_e32 v1, v1, v3
	v_mul_lo_u32 v1, v1, 24
	v_mul_hi_u32 v9, v0, 24
	v_mul_lo_u32 v0, v0, 24
	v_add_u32_e32 v1, v9, v1
	s_waitcnt vmcnt(0)
	v_add_co_u32_e32 v0, vcc, v6, v0
	v_addc_co_u32_e32 v1, vcc, v7, v1, vcc
	global_load_dwordx2 v[0:1], v[0:1], off glc
	s_waitcnt vmcnt(0)
	global_atomic_cmpswap_x2 v[6:7], v8, v[0:3], s[10:11] offset:24 glc
	s_waitcnt vmcnt(0)
	buffer_wbinvl1_vol
	v_cmp_ne_u64_e32 vcc, v[6:7], v[2:3]
	s_and_saveexec_b64 s[12:13], vcc
	s_cbranch_execz .LBB1_5
; %bb.2:
	s_mov_b64 s[14:15], 0
	v_mov_b32_e32 v0, 0
.LBB1_3:                                ; =>This Inner Loop Header: Depth=1
	s_sleep 1
	global_load_dwordx2 v[1:2], v0, s[10:11] offset:40
	global_load_dwordx2 v[9:10], v0, s[10:11]
	v_mov_b32_e32 v12, v7
	v_mov_b32_e32 v11, v6
	s_waitcnt vmcnt(1)
	v_and_b32_e32 v1, v1, v11
	s_waitcnt vmcnt(0)
	v_mad_u64_u32 v[6:7], s[16:17], v1, 24, v[9:10]
	v_and_b32_e32 v2, v2, v12
	v_mov_b32_e32 v1, v7
	v_mad_u64_u32 v[1:2], s[16:17], v2, 24, v[1:2]
	v_mov_b32_e32 v7, v1
	global_load_dwordx2 v[9:10], v[6:7], off glc
	s_waitcnt vmcnt(0)
	global_atomic_cmpswap_x2 v[6:7], v0, v[9:12], s[10:11] offset:24 glc
	s_waitcnt vmcnt(0)
	buffer_wbinvl1_vol
	v_cmp_eq_u64_e32 vcc, v[6:7], v[11:12]
	s_or_b64 s[14:15], vcc, s[14:15]
	s_andn2_b64 exec, exec, s[14:15]
	s_cbranch_execnz .LBB1_3
; %bb.4:
	s_or_b64 exec, exec, s[14:15]
.LBB1_5:
	s_or_b64 exec, exec, s[12:13]
.LBB1_6:
	s_or_b64 exec, exec, s[6:7]
	global_load_dwordx2 v[9:10], v8, s[10:11] offset:40
	global_load_dwordx4 v[0:3], v8, s[10:11]
	v_readfirstlane_b32 s7, v7
	v_readfirstlane_b32 s6, v6
	s_mov_b64 s[12:13], exec
	s_waitcnt vmcnt(1)
	v_readfirstlane_b32 s14, v9
	v_readfirstlane_b32 s15, v10
	s_and_b64 s[14:15], s[14:15], s[6:7]
	s_mul_i32 s16, s15, 24
	s_mul_hi_u32 s17, s14, 24
	s_mul_i32 s18, s14, 24
	s_add_i32 s16, s17, s16
	v_mov_b32_e32 v6, s16
	s_waitcnt vmcnt(0)
	v_add_co_u32_e32 v10, vcc, s18, v0
	v_addc_co_u32_e32 v11, vcc, v1, v6, vcc
	s_and_saveexec_b64 s[16:17], s[4:5]
	s_cbranch_execz .LBB1_8
; %bb.7:
	v_mov_b32_e32 v6, s12
	v_mov_b32_e32 v7, s13
	;; [unrolled: 1-line block ×4, first 2 shown]
	global_store_dwordx4 v[10:11], v[6:9], off offset:8
.LBB1_8:
	s_or_b64 exec, exec, s[16:17]
	s_lshl_b64 s[12:13], s[14:15], 12
	v_mov_b32_e32 v6, s13
	v_add_co_u32_e32 v2, vcc, s12, v2
	s_mov_b32 s12, 0
	v_addc_co_u32_e32 v3, vcc, v3, v6, vcc
	v_lshlrev_b32_e32 v35, 6, v34
	s_mov_b32 s15, s12
	v_mov_b32_e32 v7, 0
	v_add_co_u32_e32 v12, vcc, v2, v35
	s_mov_b32 s13, s12
	s_mov_b32 s14, s12
	v_mov_b32_e32 v17, s15
	v_addc_co_u32_e32 v13, vcc, 0, v3, vcc
	v_mov_b32_e32 v6, 33
	v_mov_b32_e32 v8, 1
	;; [unrolled: 1-line block ×3, first 2 shown]
	v_readfirstlane_b32 s16, v2
	v_readfirstlane_b32 s17, v3
	v_mov_b32_e32 v16, s14
	v_mov_b32_e32 v15, s13
	;; [unrolled: 1-line block ×3, first 2 shown]
	s_nop 1
	global_store_dwordx4 v35, v[6:9], s[16:17]
	global_store_dwordx4 v35, v[14:17], s[16:17] offset:16
	global_store_dwordx4 v35, v[14:17], s[16:17] offset:32
	;; [unrolled: 1-line block ×3, first 2 shown]
	s_and_saveexec_b64 s[12:13], s[4:5]
	s_cbranch_execz .LBB1_16
; %bb.9:
	global_load_dwordx2 v[16:17], v7, s[10:11] offset:32 glc
	global_load_dwordx2 v[2:3], v7, s[10:11] offset:40
	v_mov_b32_e32 v14, s6
	v_mov_b32_e32 v15, s7
	s_waitcnt vmcnt(0)
	v_and_b32_e32 v2, s6, v2
	v_and_b32_e32 v3, s7, v3
	v_mul_lo_u32 v3, v3, 24
	v_mul_hi_u32 v6, v2, 24
	v_mul_lo_u32 v2, v2, 24
	v_add_u32_e32 v3, v6, v3
	v_add_co_u32_e32 v8, vcc, v0, v2
	v_addc_co_u32_e32 v9, vcc, v1, v3, vcc
	global_store_dwordx2 v[8:9], v[16:17], off
	s_waitcnt vmcnt(0)
	global_atomic_cmpswap_x2 v[2:3], v7, v[14:17], s[10:11] offset:32 glc
	s_waitcnt vmcnt(0)
	v_cmp_ne_u64_e32 vcc, v[2:3], v[16:17]
	s_and_saveexec_b64 s[14:15], vcc
	s_cbranch_execz .LBB1_12
; %bb.10:
	s_mov_b64 s[16:17], 0
	v_mov_b32_e32 v6, 0
.LBB1_11:                               ; =>This Inner Loop Header: Depth=1
	s_sleep 1
	global_store_dwordx2 v[8:9], v[2:3], off
	v_mov_b32_e32 v0, s6
	v_mov_b32_e32 v1, s7
	s_waitcnt vmcnt(0)
	global_atomic_cmpswap_x2 v[0:1], v6, v[0:3], s[10:11] offset:32 glc
	s_waitcnt vmcnt(0)
	v_cmp_eq_u64_e32 vcc, v[0:1], v[2:3]
	v_mov_b32_e32 v3, v1
	s_or_b64 s[16:17], vcc, s[16:17]
	v_mov_b32_e32 v2, v0
	s_andn2_b64 exec, exec, s[16:17]
	s_cbranch_execnz .LBB1_11
.LBB1_12:
	s_or_b64 exec, exec, s[14:15]
	v_mov_b32_e32 v3, 0
	global_load_dwordx2 v[0:1], v3, s[10:11] offset:16
	s_mov_b64 s[14:15], exec
	v_mbcnt_lo_u32_b32 v2, s14, 0
	v_mbcnt_hi_u32_b32 v2, s15, v2
	v_cmp_eq_u32_e32 vcc, 0, v2
	s_and_saveexec_b64 s[16:17], vcc
	s_cbranch_execz .LBB1_14
; %bb.13:
	s_bcnt1_i32_b64 s14, s[14:15]
	v_mov_b32_e32 v2, s14
	s_waitcnt vmcnt(0)
	global_atomic_add_x2 v[0:1], v[2:3], off offset:8
.LBB1_14:
	s_or_b64 exec, exec, s[16:17]
	s_waitcnt vmcnt(0)
	global_load_dwordx2 v[2:3], v[0:1], off offset:16
	s_waitcnt vmcnt(0)
	v_cmp_eq_u64_e32 vcc, 0, v[2:3]
	s_cbranch_vccnz .LBB1_16
; %bb.15:
	global_load_dword v0, v[0:1], off offset:24
	v_mov_b32_e32 v1, 0
	s_waitcnt vmcnt(0)
	v_readfirstlane_b32 s14, v0
	s_and_b32 m0, s14, 0xffffff
	global_store_dwordx2 v[2:3], v[0:1], off
	s_sendmsg sendmsg(MSG_INTERRUPT)
.LBB1_16:
	s_or_b64 exec, exec, s[12:13]
	s_branch .LBB1_20
.LBB1_17:                               ;   in Loop: Header=BB1_20 Depth=1
	s_or_b64 exec, exec, s[12:13]
	v_readfirstlane_b32 s12, v0
	s_cmp_eq_u32 s12, 0
	s_cbranch_scc1 .LBB1_19
; %bb.18:                               ;   in Loop: Header=BB1_20 Depth=1
	s_sleep 1
	s_cbranch_execnz .LBB1_20
	s_branch .LBB1_22
.LBB1_19:
	s_branch .LBB1_22
.LBB1_20:                               ; =>This Inner Loop Header: Depth=1
	v_mov_b32_e32 v0, 1
	s_and_saveexec_b64 s[12:13], s[4:5]
	s_cbranch_execz .LBB1_17
; %bb.21:                               ;   in Loop: Header=BB1_20 Depth=1
	global_load_dword v0, v[10:11], off offset:20 glc
	s_waitcnt vmcnt(0)
	buffer_wbinvl1_vol
	v_and_b32_e32 v0, 1, v0
	s_branch .LBB1_17
.LBB1_22:
	global_load_dwordx2 v[6:7], v[12:13], off
	s_and_saveexec_b64 s[12:13], s[4:5]
	s_cbranch_execz .LBB1_25
; %bb.23:
	v_mov_b32_e32 v10, 0
	global_load_dwordx2 v[0:1], v10, s[10:11] offset:40
	global_load_dwordx2 v[13:14], v10, s[10:11] offset:24 glc
	global_load_dwordx2 v[2:3], v10, s[10:11]
	s_waitcnt vmcnt(2)
	v_readfirstlane_b32 s14, v0
	v_readfirstlane_b32 s15, v1
	s_add_u32 s16, s14, 1
	s_addc_u32 s17, s15, 0
	s_add_u32 s4, s16, s6
	s_addc_u32 s5, s17, s7
	s_cmp_eq_u64 s[4:5], 0
	s_cselect_b32 s5, s17, s5
	s_cselect_b32 s4, s16, s4
	s_and_b64 s[6:7], s[4:5], s[14:15]
	s_mul_i32 s7, s7, 24
	s_mul_hi_u32 s14, s6, 24
	s_mul_i32 s6, s6, 24
	s_add_i32 s7, s14, s7
	v_mov_b32_e32 v0, s7
	s_waitcnt vmcnt(0)
	v_add_co_u32_e32 v8, vcc, s6, v2
	v_addc_co_u32_e32 v9, vcc, v3, v0, vcc
	v_mov_b32_e32 v11, s4
	global_store_dwordx2 v[8:9], v[13:14], off
	v_mov_b32_e32 v12, s5
	s_waitcnt vmcnt(0)
	global_atomic_cmpswap_x2 v[2:3], v10, v[11:14], s[10:11] offset:24 glc
	s_mov_b64 s[6:7], 0
	s_waitcnt vmcnt(0)
	v_cmp_ne_u64_e32 vcc, v[2:3], v[13:14]
	s_and_b64 exec, exec, vcc
	s_cbranch_execz .LBB1_25
.LBB1_24:                               ; =>This Inner Loop Header: Depth=1
	s_sleep 1
	global_store_dwordx2 v[8:9], v[2:3], off
	v_mov_b32_e32 v0, s4
	v_mov_b32_e32 v1, s5
	s_waitcnt vmcnt(0)
	global_atomic_cmpswap_x2 v[0:1], v10, v[0:3], s[10:11] offset:24 glc
	s_waitcnt vmcnt(0)
	v_cmp_eq_u64_e32 vcc, v[0:1], v[2:3]
	v_mov_b32_e32 v3, v1
	s_or_b64 s[6:7], vcc, s[6:7]
	v_mov_b32_e32 v2, v0
	s_andn2_b64 exec, exec, s[6:7]
	s_cbranch_execnz .LBB1_24
.LBB1_25:
	s_or_b64 exec, exec, s[12:13]
	s_lshr_b32 s6, s33, 6
	s_mov_b64 s[4:5], 0
.LBB1_26:                               ; =>This Inner Loop Header: Depth=1
	v_mov_b32_e32 v0, s6
	buffer_load_ubyte v1, v0, s[0:3], 0 offen
	s_add_i32 s6, s6, 1
	v_mov_b32_e32 v0, s6
	s_waitcnt vmcnt(0)
	v_cmp_eq_u16_e32 vcc, 0, v1
	s_or_b64 s[4:5], vcc, s[4:5]
	s_andn2_b64 exec, exec, s[4:5]
	s_cbranch_execnz .LBB1_26
; %bb.27:
	s_or_b64 exec, exec, s[4:5]
	s_lshr_b32 s4, s33, 6
	s_cmp_lg_u32 s4, -1
	s_cbranch_scc0 .LBB1_112
; %bb.28:
	v_lshrrev_b32_e64 v1, 6, s33
	v_subrev_u32_e32 v28, v1, v0
	v_ashrrev_i32_e32 v29, 31, v28
	v_and_b32_e32 v36, 2, v6
	v_mov_b32_e32 v31, 0
	v_and_b32_e32 v0, -3, v6
	v_mov_b32_e32 v1, v7
	s_mov_b64 s[12:13], 0
	v_lshrrev_b32_e64 v37, 6, s33
	s_mov_b32 s20, 0
	s_movk_i32 s21, 0x1e0
	v_mov_b32_e32 v10, 2
	v_mov_b32_e32 v11, 1
	s_branch .LBB1_30
.LBB1_29:                               ;   in Loop: Header=BB1_30 Depth=1
	s_or_b64 exec, exec, s[6:7]
	v_sub_co_u32_e32 v28, vcc, v28, v38
	v_subb_co_u32_e32 v29, vcc, v29, v39, vcc
	v_cmp_eq_u64_e32 vcc, 0, v[28:29]
	v_add_u32_e32 v37, v37, v38
	s_or_b64 s[12:13], vcc, s[12:13]
	s_andn2_b64 exec, exec, s[12:13]
	s_cbranch_execz .LBB1_113
.LBB1_30:                               ; =>This Loop Header: Depth=1
                                        ;     Child Loop BB1_33 Depth 2
                                        ;     Child Loop BB1_41 Depth 2
	;; [unrolled: 1-line block ×11, first 2 shown]
	v_cmp_gt_u64_e32 vcc, 56, v[28:29]
	v_cmp_gt_u64_e64 s[4:5], 8, v[28:29]
	v_cndmask_b32_e32 v38, 56, v28, vcc
	v_add_u32_e32 v9, 8, v37
	s_and_saveexec_b64 s[6:7], s[4:5]
	s_xor_b64 s[6:7], exec, s[6:7]
	s_cbranch_execz .LBB1_36
; %bb.31:                               ;   in Loop: Header=BB1_30 Depth=1
	v_mov_b32_e32 v2, 0
	v_cmp_ne_u64_e64 s[4:5], 0, v[28:29]
	v_mov_b32_e32 v3, 0
	s_and_saveexec_b64 s[14:15], s[4:5]
	s_cbranch_execz .LBB1_35
; %bb.32:                               ;   in Loop: Header=BB1_30 Depth=1
	v_mov_b32_e32 v2, 0
	s_mov_b32 s22, 0
	s_mov_b64 s[16:17], 0
	v_mov_b32_e32 v3, 0
	s_mov_b64 s[18:19], 0
.LBB1_33:                               ;   Parent Loop BB1_30 Depth=1
                                        ; =>  This Inner Loop Header: Depth=2
	v_add_u32_e32 v8, s22, v37
	buffer_load_ubyte v8, v8, s[0:3], 0 offen
	v_mov_b32_e32 v9, s20
	s_add_i32 s22, s22, 1
	v_cmp_eq_u32_e64 s[4:5], s22, v38
	s_waitcnt vmcnt(0)
	v_and_b32_e32 v8, 0xffff, v8
	v_lshlrev_b64 v[8:9], s18, v[8:9]
	s_add_u32 s18, s18, 8
	s_addc_u32 s19, s19, 0
	v_or_b32_e32 v3, v9, v3
	s_or_b64 s[16:17], s[4:5], s[16:17]
	v_or_b32_e32 v2, v8, v2
	s_andn2_b64 exec, exec, s[16:17]
	s_cbranch_execnz .LBB1_33
; %bb.34:                               ;   in Loop: Header=BB1_30 Depth=1
	s_or_b64 exec, exec, s[16:17]
.LBB1_35:                               ;   in Loop: Header=BB1_30 Depth=1
	s_or_b64 exec, exec, s[14:15]
	v_mov_b32_e32 v9, v37
.LBB1_36:                               ;   in Loop: Header=BB1_30 Depth=1
	s_or_saveexec_b64 s[4:5], s[6:7]
	v_mov_b32_e32 v14, 0
	s_xor_b64 exec, exec, s[4:5]
	s_cbranch_execz .LBB1_38
; %bb.37:                               ;   in Loop: Header=BB1_30 Depth=1
	buffer_load_dword v2, v37, s[0:3], 0 offen
	buffer_load_dword v3, v37, s[0:3], 0 offen offset:4
	v_add_u32_e32 v14, -8, v38
.LBB1_38:                               ;   in Loop: Header=BB1_30 Depth=1
	s_or_b64 exec, exec, s[4:5]
	v_cmp_gt_u32_e64 s[4:5], 8, v14
	v_add_u32_e32 v8, 8, v9
                                        ; implicit-def: $vgpr12_vgpr13
	s_and_saveexec_b64 s[6:7], s[4:5]
	s_xor_b64 s[6:7], exec, s[6:7]
	s_cbranch_execz .LBB1_44
; %bb.39:                               ;   in Loop: Header=BB1_30 Depth=1
	v_mov_b32_e32 v12, 0
	v_mov_b32_e32 v13, 0
	v_cmp_ne_u32_e64 s[4:5], 0, v14
	s_and_saveexec_b64 s[14:15], s[4:5]
	s_cbranch_execz .LBB1_43
; %bb.40:                               ;   in Loop: Header=BB1_30 Depth=1
	v_mov_b32_e32 v12, 0
	s_mov_b32 s22, 0
	s_mov_b64 s[16:17], 0
	v_mov_b32_e32 v13, 0
	s_mov_b64 s[18:19], 0
.LBB1_41:                               ;   Parent Loop BB1_30 Depth=1
                                        ; =>  This Inner Loop Header: Depth=2
	v_add_u32_e32 v8, s22, v9
	buffer_load_ubyte v8, v8, s[0:3], 0 offen
	v_mov_b32_e32 v16, s20
	s_add_i32 s22, s22, 1
	v_cmp_eq_u32_e64 s[4:5], s22, v14
	s_waitcnt vmcnt(0)
	v_and_b32_e32 v15, 0xffff, v8
	v_lshlrev_b64 v[15:16], s18, v[15:16]
	s_add_u32 s18, s18, 8
	s_addc_u32 s19, s19, 0
	v_or_b32_e32 v13, v16, v13
	s_or_b64 s[16:17], s[4:5], s[16:17]
	v_or_b32_e32 v12, v15, v12
	s_andn2_b64 exec, exec, s[16:17]
	s_cbranch_execnz .LBB1_41
; %bb.42:                               ;   in Loop: Header=BB1_30 Depth=1
	s_or_b64 exec, exec, s[16:17]
.LBB1_43:                               ;   in Loop: Header=BB1_30 Depth=1
	s_or_b64 exec, exec, s[14:15]
	v_mov_b32_e32 v8, v9
                                        ; implicit-def: $vgpr14
.LBB1_44:                               ;   in Loop: Header=BB1_30 Depth=1
	s_or_saveexec_b64 s[4:5], s[6:7]
	v_mov_b32_e32 v16, 0
	s_xor_b64 exec, exec, s[4:5]
	s_cbranch_execz .LBB1_46
; %bb.45:                               ;   in Loop: Header=BB1_30 Depth=1
	buffer_load_dword v12, v9, s[0:3], 0 offen
	buffer_load_dword v13, v9, s[0:3], 0 offen offset:4
	v_add_u32_e32 v16, -8, v14
.LBB1_46:                               ;   in Loop: Header=BB1_30 Depth=1
	s_or_b64 exec, exec, s[4:5]
	v_cmp_gt_u32_e64 s[4:5], 8, v16
	v_add_u32_e32 v9, 8, v8
	s_and_saveexec_b64 s[6:7], s[4:5]
	s_xor_b64 s[6:7], exec, s[6:7]
	s_cbranch_execz .LBB1_52
; %bb.47:                               ;   in Loop: Header=BB1_30 Depth=1
	v_mov_b32_e32 v14, 0
	v_mov_b32_e32 v15, 0
	v_cmp_ne_u32_e64 s[4:5], 0, v16
	s_and_saveexec_b64 s[14:15], s[4:5]
	s_cbranch_execz .LBB1_51
; %bb.48:                               ;   in Loop: Header=BB1_30 Depth=1
	v_mov_b32_e32 v14, 0
	s_mov_b32 s22, 0
	s_mov_b64 s[16:17], 0
	v_mov_b32_e32 v15, 0
	s_mov_b64 s[18:19], 0
.LBB1_49:                               ;   Parent Loop BB1_30 Depth=1
                                        ; =>  This Inner Loop Header: Depth=2
	v_add_u32_e32 v9, s22, v8
	buffer_load_ubyte v9, v9, s[0:3], 0 offen
	v_mov_b32_e32 v18, s20
	s_add_i32 s22, s22, 1
	v_cmp_eq_u32_e64 s[4:5], s22, v16
	s_waitcnt vmcnt(0)
	v_and_b32_e32 v17, 0xffff, v9
	v_lshlrev_b64 v[17:18], s18, v[17:18]
	s_add_u32 s18, s18, 8
	s_addc_u32 s19, s19, 0
	v_or_b32_e32 v15, v18, v15
	s_or_b64 s[16:17], s[4:5], s[16:17]
	v_or_b32_e32 v14, v17, v14
	s_andn2_b64 exec, exec, s[16:17]
	s_cbranch_execnz .LBB1_49
; %bb.50:                               ;   in Loop: Header=BB1_30 Depth=1
	s_or_b64 exec, exec, s[16:17]
.LBB1_51:                               ;   in Loop: Header=BB1_30 Depth=1
	s_or_b64 exec, exec, s[14:15]
	v_mov_b32_e32 v9, v8
                                        ; implicit-def: $vgpr16
.LBB1_52:                               ;   in Loop: Header=BB1_30 Depth=1
	s_or_saveexec_b64 s[4:5], s[6:7]
	v_mov_b32_e32 v18, 0
	s_xor_b64 exec, exec, s[4:5]
	s_cbranch_execz .LBB1_54
; %bb.53:                               ;   in Loop: Header=BB1_30 Depth=1
	buffer_load_dword v14, v8, s[0:3], 0 offen
	buffer_load_dword v15, v8, s[0:3], 0 offen offset:4
	v_add_u32_e32 v18, -8, v16
.LBB1_54:                               ;   in Loop: Header=BB1_30 Depth=1
	s_or_b64 exec, exec, s[4:5]
	v_cmp_gt_u32_e64 s[4:5], 8, v18
	v_add_u32_e32 v8, 8, v9
                                        ; implicit-def: $vgpr16_vgpr17
	s_and_saveexec_b64 s[6:7], s[4:5]
	s_xor_b64 s[6:7], exec, s[6:7]
	s_cbranch_execz .LBB1_60
; %bb.55:                               ;   in Loop: Header=BB1_30 Depth=1
	v_mov_b32_e32 v16, 0
	v_mov_b32_e32 v17, 0
	v_cmp_ne_u32_e64 s[4:5], 0, v18
	s_and_saveexec_b64 s[14:15], s[4:5]
	s_cbranch_execz .LBB1_59
; %bb.56:                               ;   in Loop: Header=BB1_30 Depth=1
	v_mov_b32_e32 v16, 0
	s_mov_b32 s22, 0
	s_mov_b64 s[16:17], 0
	v_mov_b32_e32 v17, 0
	s_mov_b64 s[18:19], 0
.LBB1_57:                               ;   Parent Loop BB1_30 Depth=1
                                        ; =>  This Inner Loop Header: Depth=2
	v_add_u32_e32 v8, s22, v9
	buffer_load_ubyte v8, v8, s[0:3], 0 offen
	v_mov_b32_e32 v20, s20
	s_add_i32 s22, s22, 1
	v_cmp_eq_u32_e64 s[4:5], s22, v18
	s_waitcnt vmcnt(0)
	v_and_b32_e32 v19, 0xffff, v8
	v_lshlrev_b64 v[19:20], s18, v[19:20]
	s_add_u32 s18, s18, 8
	s_addc_u32 s19, s19, 0
	v_or_b32_e32 v17, v20, v17
	s_or_b64 s[16:17], s[4:5], s[16:17]
	v_or_b32_e32 v16, v19, v16
	s_andn2_b64 exec, exec, s[16:17]
	s_cbranch_execnz .LBB1_57
; %bb.58:                               ;   in Loop: Header=BB1_30 Depth=1
	s_or_b64 exec, exec, s[16:17]
.LBB1_59:                               ;   in Loop: Header=BB1_30 Depth=1
	s_or_b64 exec, exec, s[14:15]
	v_mov_b32_e32 v8, v9
                                        ; implicit-def: $vgpr18
.LBB1_60:                               ;   in Loop: Header=BB1_30 Depth=1
	s_or_saveexec_b64 s[4:5], s[6:7]
	v_mov_b32_e32 v20, 0
	s_xor_b64 exec, exec, s[4:5]
	s_cbranch_execz .LBB1_62
; %bb.61:                               ;   in Loop: Header=BB1_30 Depth=1
	buffer_load_dword v16, v9, s[0:3], 0 offen
	buffer_load_dword v17, v9, s[0:3], 0 offen offset:4
	v_add_u32_e32 v20, -8, v18
.LBB1_62:                               ;   in Loop: Header=BB1_30 Depth=1
	s_or_b64 exec, exec, s[4:5]
	v_cmp_gt_u32_e64 s[4:5], 8, v20
	v_add_u32_e32 v9, 8, v8
	s_and_saveexec_b64 s[6:7], s[4:5]
	s_xor_b64 s[6:7], exec, s[6:7]
	s_cbranch_execz .LBB1_68
; %bb.63:                               ;   in Loop: Header=BB1_30 Depth=1
	v_mov_b32_e32 v18, 0
	v_mov_b32_e32 v19, 0
	v_cmp_ne_u32_e64 s[4:5], 0, v20
	s_and_saveexec_b64 s[14:15], s[4:5]
	s_cbranch_execz .LBB1_67
; %bb.64:                               ;   in Loop: Header=BB1_30 Depth=1
	v_mov_b32_e32 v18, 0
	s_mov_b32 s22, 0
	s_mov_b64 s[16:17], 0
	v_mov_b32_e32 v19, 0
	s_mov_b64 s[18:19], 0
.LBB1_65:                               ;   Parent Loop BB1_30 Depth=1
                                        ; =>  This Inner Loop Header: Depth=2
	v_add_u32_e32 v9, s22, v8
	buffer_load_ubyte v9, v9, s[0:3], 0 offen
	v_mov_b32_e32 v22, s20
	s_add_i32 s22, s22, 1
	v_cmp_eq_u32_e64 s[4:5], s22, v20
	s_waitcnt vmcnt(0)
	v_and_b32_e32 v21, 0xffff, v9
	v_lshlrev_b64 v[21:22], s18, v[21:22]
	s_add_u32 s18, s18, 8
	s_addc_u32 s19, s19, 0
	v_or_b32_e32 v19, v22, v19
	s_or_b64 s[16:17], s[4:5], s[16:17]
	v_or_b32_e32 v18, v21, v18
	s_andn2_b64 exec, exec, s[16:17]
	s_cbranch_execnz .LBB1_65
; %bb.66:                               ;   in Loop: Header=BB1_30 Depth=1
	s_or_b64 exec, exec, s[16:17]
.LBB1_67:                               ;   in Loop: Header=BB1_30 Depth=1
	s_or_b64 exec, exec, s[14:15]
	v_mov_b32_e32 v9, v8
                                        ; implicit-def: $vgpr20
.LBB1_68:                               ;   in Loop: Header=BB1_30 Depth=1
	s_or_saveexec_b64 s[4:5], s[6:7]
	v_mov_b32_e32 v22, 0
	s_xor_b64 exec, exec, s[4:5]
	s_cbranch_execz .LBB1_70
; %bb.69:                               ;   in Loop: Header=BB1_30 Depth=1
	buffer_load_dword v18, v8, s[0:3], 0 offen
	buffer_load_dword v19, v8, s[0:3], 0 offen offset:4
	v_add_u32_e32 v22, -8, v20
.LBB1_70:                               ;   in Loop: Header=BB1_30 Depth=1
	s_or_b64 exec, exec, s[4:5]
	v_cmp_gt_u32_e64 s[4:5], 8, v22
	v_add_u32_e32 v8, 8, v9
                                        ; implicit-def: $vgpr20_vgpr21
	s_and_saveexec_b64 s[6:7], s[4:5]
	s_xor_b64 s[6:7], exec, s[6:7]
	s_cbranch_execz .LBB1_76
; %bb.71:                               ;   in Loop: Header=BB1_30 Depth=1
	v_mov_b32_e32 v20, 0
	v_mov_b32_e32 v21, 0
	v_cmp_ne_u32_e64 s[4:5], 0, v22
	s_and_saveexec_b64 s[14:15], s[4:5]
	s_cbranch_execz .LBB1_75
; %bb.72:                               ;   in Loop: Header=BB1_30 Depth=1
	v_mov_b32_e32 v20, 0
	s_mov_b32 s22, 0
	s_mov_b64 s[16:17], 0
	v_mov_b32_e32 v21, 0
	s_mov_b64 s[18:19], 0
.LBB1_73:                               ;   Parent Loop BB1_30 Depth=1
                                        ; =>  This Inner Loop Header: Depth=2
	v_add_u32_e32 v8, s22, v9
	buffer_load_ubyte v8, v8, s[0:3], 0 offen
	v_mov_b32_e32 v24, s20
	s_add_i32 s22, s22, 1
	v_cmp_eq_u32_e64 s[4:5], s22, v22
	s_waitcnt vmcnt(0)
	v_and_b32_e32 v23, 0xffff, v8
	v_lshlrev_b64 v[23:24], s18, v[23:24]
	s_add_u32 s18, s18, 8
	s_addc_u32 s19, s19, 0
	v_or_b32_e32 v21, v24, v21
	s_or_b64 s[16:17], s[4:5], s[16:17]
	v_or_b32_e32 v20, v23, v20
	s_andn2_b64 exec, exec, s[16:17]
	s_cbranch_execnz .LBB1_73
; %bb.74:                               ;   in Loop: Header=BB1_30 Depth=1
	s_or_b64 exec, exec, s[16:17]
.LBB1_75:                               ;   in Loop: Header=BB1_30 Depth=1
	s_or_b64 exec, exec, s[14:15]
	v_mov_b32_e32 v8, v9
                                        ; implicit-def: $vgpr22
.LBB1_76:                               ;   in Loop: Header=BB1_30 Depth=1
	s_or_saveexec_b64 s[4:5], s[6:7]
	v_mov_b32_e32 v24, 0
	s_xor_b64 exec, exec, s[4:5]
	s_cbranch_execz .LBB1_78
; %bb.77:                               ;   in Loop: Header=BB1_30 Depth=1
	buffer_load_dword v20, v9, s[0:3], 0 offen
	buffer_load_dword v21, v9, s[0:3], 0 offen offset:4
	v_add_u32_e32 v24, -8, v22
.LBB1_78:                               ;   in Loop: Header=BB1_30 Depth=1
	s_or_b64 exec, exec, s[4:5]
	v_cmp_gt_u32_e64 s[4:5], 8, v24
	s_and_saveexec_b64 s[6:7], s[4:5]
	s_xor_b64 s[6:7], exec, s[6:7]
	s_cbranch_execz .LBB1_84
; %bb.79:                               ;   in Loop: Header=BB1_30 Depth=1
	v_mov_b32_e32 v22, 0
	v_mov_b32_e32 v23, 0
	v_cmp_ne_u32_e64 s[4:5], 0, v24
	s_and_saveexec_b64 s[14:15], s[4:5]
	s_cbranch_execz .LBB1_83
; %bb.80:                               ;   in Loop: Header=BB1_30 Depth=1
	v_mov_b32_e32 v22, 0
	s_mov_b64 s[16:17], 0
	v_mov_b32_e32 v23, 0
	s_mov_b64 s[18:19], 0
.LBB1_81:                               ;   Parent Loop BB1_30 Depth=1
                                        ; =>  This Inner Loop Header: Depth=2
	buffer_load_ubyte v9, v8, s[0:3], 0 offen
	v_mov_b32_e32 v26, s20
	v_add_u32_e32 v24, -1, v24
	v_cmp_eq_u32_e64 s[4:5], 0, v24
	v_add_u32_e32 v8, 1, v8
	s_waitcnt vmcnt(0)
	v_and_b32_e32 v25, 0xffff, v9
	v_lshlrev_b64 v[25:26], s18, v[25:26]
	s_add_u32 s18, s18, 8
	s_addc_u32 s19, s19, 0
	v_or_b32_e32 v23, v26, v23
	s_or_b64 s[16:17], s[4:5], s[16:17]
	v_or_b32_e32 v22, v25, v22
	s_andn2_b64 exec, exec, s[16:17]
	s_cbranch_execnz .LBB1_81
; %bb.82:                               ;   in Loop: Header=BB1_30 Depth=1
	s_or_b64 exec, exec, s[16:17]
.LBB1_83:                               ;   in Loop: Header=BB1_30 Depth=1
	s_or_b64 exec, exec, s[14:15]
                                        ; implicit-def: $vgpr8
.LBB1_84:                               ;   in Loop: Header=BB1_30 Depth=1
	s_andn2_saveexec_b64 s[4:5], s[6:7]
	s_cbranch_execz .LBB1_86
; %bb.85:                               ;   in Loop: Header=BB1_30 Depth=1
	buffer_load_dword v22, v8, s[0:3], 0 offen
	buffer_load_dword v23, v8, s[0:3], 0 offen offset:4
.LBB1_86:                               ;   in Loop: Header=BB1_30 Depth=1
	s_or_b64 exec, exec, s[4:5]
	v_readfirstlane_b32 s4, v34
	v_mov_b32_e32 v8, 0
	v_mov_b32_e32 v9, 0
	v_cmp_eq_u32_e64 s[4:5], s4, v34
	s_and_saveexec_b64 s[14:15], s[4:5]
	s_cbranch_execz .LBB1_92
; %bb.87:                               ;   in Loop: Header=BB1_30 Depth=1
	global_load_dwordx2 v[26:27], v31, s[10:11] offset:24 glc
	s_waitcnt vmcnt(0)
	buffer_wbinvl1_vol
	global_load_dwordx2 v[8:9], v31, s[10:11] offset:40
	global_load_dwordx2 v[24:25], v31, s[10:11]
	s_waitcnt vmcnt(1)
	v_and_b32_e32 v8, v8, v26
	v_and_b32_e32 v9, v9, v27
	v_mul_lo_u32 v9, v9, 24
	v_mul_hi_u32 v30, v8, 24
	v_mul_lo_u32 v8, v8, 24
	v_add_u32_e32 v9, v30, v9
	s_waitcnt vmcnt(0)
	v_add_co_u32_e64 v8, s[6:7], v24, v8
	v_addc_co_u32_e64 v9, s[6:7], v25, v9, s[6:7]
	global_load_dwordx2 v[24:25], v[8:9], off glc
	s_waitcnt vmcnt(0)
	global_atomic_cmpswap_x2 v[8:9], v31, v[24:27], s[10:11] offset:24 glc
	s_waitcnt vmcnt(0)
	buffer_wbinvl1_vol
	v_cmp_ne_u64_e64 s[6:7], v[8:9], v[26:27]
	s_and_saveexec_b64 s[16:17], s[6:7]
	s_cbranch_execz .LBB1_91
; %bb.88:                               ;   in Loop: Header=BB1_30 Depth=1
	s_mov_b64 s[18:19], 0
.LBB1_89:                               ;   Parent Loop BB1_30 Depth=1
                                        ; =>  This Inner Loop Header: Depth=2
	s_sleep 1
	global_load_dwordx2 v[24:25], v31, s[10:11] offset:40
	global_load_dwordx2 v[32:33], v31, s[10:11]
	v_mov_b32_e32 v27, v9
	v_mov_b32_e32 v26, v8
	s_waitcnt vmcnt(1)
	v_and_b32_e32 v8, v24, v26
	s_waitcnt vmcnt(0)
	v_mad_u64_u32 v[8:9], s[6:7], v8, 24, v[32:33]
	v_and_b32_e32 v24, v25, v27
	v_mad_u64_u32 v[24:25], s[6:7], v24, 24, v[9:10]
	v_mov_b32_e32 v9, v24
	global_load_dwordx2 v[24:25], v[8:9], off glc
	s_waitcnt vmcnt(0)
	global_atomic_cmpswap_x2 v[8:9], v31, v[24:27], s[10:11] offset:24 glc
	s_waitcnt vmcnt(0)
	buffer_wbinvl1_vol
	v_cmp_eq_u64_e64 s[6:7], v[8:9], v[26:27]
	s_or_b64 s[18:19], s[6:7], s[18:19]
	s_andn2_b64 exec, exec, s[18:19]
	s_cbranch_execnz .LBB1_89
; %bb.90:                               ;   in Loop: Header=BB1_30 Depth=1
	s_or_b64 exec, exec, s[18:19]
.LBB1_91:                               ;   in Loop: Header=BB1_30 Depth=1
	s_or_b64 exec, exec, s[16:17]
.LBB1_92:                               ;   in Loop: Header=BB1_30 Depth=1
	s_or_b64 exec, exec, s[14:15]
	global_load_dwordx2 v[32:33], v31, s[10:11] offset:40
	global_load_dwordx4 v[24:27], v31, s[10:11]
	v_readfirstlane_b32 s15, v9
	v_readfirstlane_b32 s14, v8
	s_mov_b64 s[16:17], exec
	s_waitcnt vmcnt(1)
	v_readfirstlane_b32 s6, v32
	v_readfirstlane_b32 s7, v33
	s_and_b64 s[18:19], s[6:7], s[14:15]
	s_mul_i32 s6, s19, 24
	s_mul_hi_u32 s7, s18, 24
	s_mul_i32 s22, s18, 24
	s_add_i32 s6, s7, s6
	v_mov_b32_e32 v8, s6
	s_waitcnt vmcnt(0)
	v_add_co_u32_e64 v32, s[6:7], s22, v24
	v_addc_co_u32_e64 v33, s[6:7], v25, v8, s[6:7]
	s_and_saveexec_b64 s[6:7], s[4:5]
	s_cbranch_execz .LBB1_94
; %bb.93:                               ;   in Loop: Header=BB1_30 Depth=1
	v_mov_b32_e32 v8, s16
	v_mov_b32_e32 v9, s17
	global_store_dwordx4 v[32:33], v[8:11], off offset:8
.LBB1_94:                               ;   in Loop: Header=BB1_30 Depth=1
	s_or_b64 exec, exec, s[6:7]
	s_lshl_b64 s[6:7], s[18:19], 12
	v_cndmask_b32_e32 v39, 0, v29, vcc
	v_mov_b32_e32 v8, s7
	v_add_co_u32_e32 v26, vcc, s6, v26
	v_addc_co_u32_e32 v27, vcc, v27, v8, vcc
	v_cmp_gt_u64_e32 vcc, 57, v[28:29]
	v_and_b32_e32 v0, 0xffffff1f, v0
	v_cndmask_b32_e32 v8, 0, v36, vcc
	v_lshl_add_u32 v9, v38, 2, 28
	v_or_b32_e32 v0, v0, v8
	v_and_or_b32 v0, v9, s21, v0
	v_readfirstlane_b32 s6, v26
	v_readfirstlane_b32 s7, v27
	s_nop 4
	global_store_dwordx4 v35, v[0:3], s[6:7]
	global_store_dwordx4 v35, v[12:15], s[6:7] offset:16
	global_store_dwordx4 v35, v[16:19], s[6:7] offset:32
	global_store_dwordx4 v35, v[20:23], s[6:7] offset:48
	s_and_saveexec_b64 s[6:7], s[4:5]
	s_cbranch_execz .LBB1_102
; %bb.95:                               ;   in Loop: Header=BB1_30 Depth=1
	global_load_dwordx2 v[14:15], v31, s[10:11] offset:32 glc
	global_load_dwordx2 v[0:1], v31, s[10:11] offset:40
	v_mov_b32_e32 v12, s14
	v_mov_b32_e32 v13, s15
	s_waitcnt vmcnt(0)
	v_readfirstlane_b32 s16, v0
	v_readfirstlane_b32 s17, v1
	s_and_b64 s[16:17], s[16:17], s[14:15]
	s_mul_i32 s17, s17, 24
	s_mul_hi_u32 s18, s16, 24
	s_mul_i32 s16, s16, 24
	s_add_i32 s17, s18, s17
	v_mov_b32_e32 v0, s17
	v_add_co_u32_e32 v8, vcc, s16, v24
	v_addc_co_u32_e32 v9, vcc, v25, v0, vcc
	global_store_dwordx2 v[8:9], v[14:15], off
	s_waitcnt vmcnt(0)
	global_atomic_cmpswap_x2 v[2:3], v31, v[12:15], s[10:11] offset:32 glc
	s_waitcnt vmcnt(0)
	v_cmp_ne_u64_e32 vcc, v[2:3], v[14:15]
	s_and_saveexec_b64 s[16:17], vcc
	s_cbranch_execz .LBB1_98
; %bb.96:                               ;   in Loop: Header=BB1_30 Depth=1
	s_mov_b64 s[18:19], 0
.LBB1_97:                               ;   Parent Loop BB1_30 Depth=1
                                        ; =>  This Inner Loop Header: Depth=2
	s_sleep 1
	global_store_dwordx2 v[8:9], v[2:3], off
	v_mov_b32_e32 v0, s14
	v_mov_b32_e32 v1, s15
	s_waitcnt vmcnt(0)
	global_atomic_cmpswap_x2 v[0:1], v31, v[0:3], s[10:11] offset:32 glc
	s_waitcnt vmcnt(0)
	v_cmp_eq_u64_e32 vcc, v[0:1], v[2:3]
	v_mov_b32_e32 v3, v1
	s_or_b64 s[18:19], vcc, s[18:19]
	v_mov_b32_e32 v2, v0
	s_andn2_b64 exec, exec, s[18:19]
	s_cbranch_execnz .LBB1_97
.LBB1_98:                               ;   in Loop: Header=BB1_30 Depth=1
	s_or_b64 exec, exec, s[16:17]
	global_load_dwordx2 v[0:1], v31, s[10:11] offset:16
	s_mov_b64 s[18:19], exec
	v_mbcnt_lo_u32_b32 v2, s18, 0
	v_mbcnt_hi_u32_b32 v2, s19, v2
	v_cmp_eq_u32_e32 vcc, 0, v2
	s_and_saveexec_b64 s[16:17], vcc
	s_cbranch_execz .LBB1_100
; %bb.99:                               ;   in Loop: Header=BB1_30 Depth=1
	s_bcnt1_i32_b64 s18, s[18:19]
	v_mov_b32_e32 v30, s18
	s_waitcnt vmcnt(0)
	global_atomic_add_x2 v[0:1], v[30:31], off offset:8
.LBB1_100:                              ;   in Loop: Header=BB1_30 Depth=1
	s_or_b64 exec, exec, s[16:17]
	s_waitcnt vmcnt(0)
	global_load_dwordx2 v[2:3], v[0:1], off offset:16
	s_waitcnt vmcnt(0)
	v_cmp_eq_u64_e32 vcc, 0, v[2:3]
	s_cbranch_vccnz .LBB1_102
; %bb.101:                              ;   in Loop: Header=BB1_30 Depth=1
	global_load_dword v30, v[0:1], off offset:24
	s_waitcnt vmcnt(0)
	v_readfirstlane_b32 s16, v30
	s_and_b32 m0, s16, 0xffffff
	global_store_dwordx2 v[2:3], v[30:31], off
	s_sendmsg sendmsg(MSG_INTERRUPT)
.LBB1_102:                              ;   in Loop: Header=BB1_30 Depth=1
	s_or_b64 exec, exec, s[6:7]
	v_add_co_u32_e32 v0, vcc, v26, v35
	v_addc_co_u32_e32 v1, vcc, 0, v27, vcc
	s_branch .LBB1_106
.LBB1_103:                              ;   in Loop: Header=BB1_106 Depth=2
	s_or_b64 exec, exec, s[6:7]
	v_readfirstlane_b32 s6, v2
	s_cmp_eq_u32 s6, 0
	s_cbranch_scc1 .LBB1_105
; %bb.104:                              ;   in Loop: Header=BB1_106 Depth=2
	s_sleep 1
	s_cbranch_execnz .LBB1_106
	s_branch .LBB1_108
.LBB1_105:                              ;   in Loop: Header=BB1_30 Depth=1
	s_branch .LBB1_108
.LBB1_106:                              ;   Parent Loop BB1_30 Depth=1
                                        ; =>  This Inner Loop Header: Depth=2
	v_mov_b32_e32 v2, 1
	s_and_saveexec_b64 s[6:7], s[4:5]
	s_cbranch_execz .LBB1_103
; %bb.107:                              ;   in Loop: Header=BB1_106 Depth=2
	global_load_dword v2, v[32:33], off offset:20 glc
	s_waitcnt vmcnt(0)
	buffer_wbinvl1_vol
	v_and_b32_e32 v2, 1, v2
	s_branch .LBB1_103
.LBB1_108:                              ;   in Loop: Header=BB1_30 Depth=1
	global_load_dwordx2 v[0:1], v[0:1], off
	s_and_saveexec_b64 s[6:7], s[4:5]
	s_cbranch_execz .LBB1_29
; %bb.109:                              ;   in Loop: Header=BB1_30 Depth=1
	global_load_dwordx2 v[2:3], v31, s[10:11] offset:40
	global_load_dwordx2 v[16:17], v31, s[10:11] offset:24 glc
	global_load_dwordx2 v[8:9], v31, s[10:11]
	s_waitcnt vmcnt(2)
	v_readfirstlane_b32 s16, v2
	v_readfirstlane_b32 s17, v3
	s_add_u32 s18, s16, 1
	s_addc_u32 s19, s17, 0
	s_add_u32 s4, s18, s14
	s_addc_u32 s5, s19, s15
	s_cmp_eq_u64 s[4:5], 0
	s_cselect_b32 s5, s19, s5
	s_cselect_b32 s4, s18, s4
	s_and_b64 s[14:15], s[4:5], s[16:17]
	s_mul_i32 s15, s15, 24
	s_mul_hi_u32 s16, s14, 24
	s_mul_i32 s14, s14, 24
	s_add_i32 s15, s16, s15
	v_mov_b32_e32 v3, s15
	s_waitcnt vmcnt(0)
	v_add_co_u32_e32 v2, vcc, s14, v8
	v_addc_co_u32_e32 v3, vcc, v9, v3, vcc
	v_mov_b32_e32 v14, s4
	global_store_dwordx2 v[2:3], v[16:17], off
	v_mov_b32_e32 v15, s5
	s_waitcnt vmcnt(0)
	global_atomic_cmpswap_x2 v[14:15], v31, v[14:17], s[10:11] offset:24 glc
	s_waitcnt vmcnt(0)
	v_cmp_ne_u64_e32 vcc, v[14:15], v[16:17]
	s_and_b64 exec, exec, vcc
	s_cbranch_execz .LBB1_29
; %bb.110:                              ;   in Loop: Header=BB1_30 Depth=1
	s_mov_b64 s[14:15], 0
.LBB1_111:                              ;   Parent Loop BB1_30 Depth=1
                                        ; =>  This Inner Loop Header: Depth=2
	s_sleep 1
	global_store_dwordx2 v[2:3], v[14:15], off
	v_mov_b32_e32 v12, s4
	v_mov_b32_e32 v13, s5
	s_waitcnt vmcnt(0)
	global_atomic_cmpswap_x2 v[8:9], v31, v[12:15], s[10:11] offset:24 glc
	s_waitcnt vmcnt(0)
	v_cmp_eq_u64_e32 vcc, v[8:9], v[14:15]
	v_mov_b32_e32 v15, v9
	s_or_b64 s[14:15], vcc, s[14:15]
	v_mov_b32_e32 v14, v8
	s_andn2_b64 exec, exec, s[14:15]
	s_cbranch_execnz .LBB1_111
	s_branch .LBB1_29
.LBB1_112:
                                        ; implicit-def: $vgpr0_vgpr1
	s_cbranch_execnz .LBB1_114
	s_branch .LBB1_140
.LBB1_113:
	s_or_b64 exec, exec, s[12:13]
	s_branch .LBB1_140
.LBB1_114:
	v_readfirstlane_b32 s4, v34
	v_mov_b32_e32 v9, 0
	v_mov_b32_e32 v10, 0
	v_cmp_eq_u32_e64 s[4:5], s4, v34
	s_and_saveexec_b64 s[6:7], s[4:5]
	s_cbranch_execz .LBB1_120
; %bb.115:
	s_waitcnt vmcnt(0)
	v_mov_b32_e32 v0, 0
	global_load_dwordx2 v[11:12], v0, s[10:11] offset:24 glc
	s_waitcnt vmcnt(0)
	buffer_wbinvl1_vol
	global_load_dwordx2 v[1:2], v0, s[10:11] offset:40
	global_load_dwordx2 v[8:9], v0, s[10:11]
	s_waitcnt vmcnt(1)
	v_and_b32_e32 v1, v1, v11
	v_and_b32_e32 v2, v2, v12
	v_mul_lo_u32 v2, v2, 24
	v_mul_hi_u32 v3, v1, 24
	v_mul_lo_u32 v1, v1, 24
	v_add_u32_e32 v2, v3, v2
	s_waitcnt vmcnt(0)
	v_add_co_u32_e32 v1, vcc, v8, v1
	v_addc_co_u32_e32 v2, vcc, v9, v2, vcc
	global_load_dwordx2 v[9:10], v[1:2], off glc
	s_waitcnt vmcnt(0)
	global_atomic_cmpswap_x2 v[9:10], v0, v[9:12], s[10:11] offset:24 glc
	s_waitcnt vmcnt(0)
	buffer_wbinvl1_vol
	v_cmp_ne_u64_e32 vcc, v[9:10], v[11:12]
	s_and_saveexec_b64 s[12:13], vcc
	s_cbranch_execz .LBB1_119
; %bb.116:
	s_mov_b64 s[14:15], 0
.LBB1_117:                              ; =>This Inner Loop Header: Depth=1
	s_sleep 1
	global_load_dwordx2 v[1:2], v0, s[10:11] offset:40
	global_load_dwordx2 v[13:14], v0, s[10:11]
	v_mov_b32_e32 v12, v10
	v_mov_b32_e32 v11, v9
	s_waitcnt vmcnt(1)
	v_and_b32_e32 v1, v1, v11
	s_waitcnt vmcnt(0)
	v_mad_u64_u32 v[8:9], s[16:17], v1, 24, v[13:14]
	v_and_b32_e32 v2, v2, v12
	v_mov_b32_e32 v1, v9
	v_mad_u64_u32 v[1:2], s[16:17], v2, 24, v[1:2]
	v_mov_b32_e32 v9, v1
	global_load_dwordx2 v[9:10], v[8:9], off glc
	s_waitcnt vmcnt(0)
	global_atomic_cmpswap_x2 v[9:10], v0, v[9:12], s[10:11] offset:24 glc
	s_waitcnt vmcnt(0)
	buffer_wbinvl1_vol
	v_cmp_eq_u64_e32 vcc, v[9:10], v[11:12]
	s_or_b64 s[14:15], vcc, s[14:15]
	s_andn2_b64 exec, exec, s[14:15]
	s_cbranch_execnz .LBB1_117
; %bb.118:
	s_or_b64 exec, exec, s[14:15]
.LBB1_119:
	s_or_b64 exec, exec, s[12:13]
.LBB1_120:
	s_or_b64 exec, exec, s[6:7]
	v_mov_b32_e32 v8, 0
	global_load_dwordx2 v[11:12], v8, s[10:11] offset:40
	global_load_dwordx4 v[0:3], v8, s[10:11]
	v_readfirstlane_b32 s7, v10
	v_readfirstlane_b32 s6, v9
	s_mov_b64 s[12:13], exec
	s_waitcnt vmcnt(1)
	v_readfirstlane_b32 s14, v11
	v_readfirstlane_b32 s15, v12
	s_and_b64 s[14:15], s[14:15], s[6:7]
	s_mul_i32 s16, s15, 24
	s_mul_hi_u32 s17, s14, 24
	s_mul_i32 s18, s14, 24
	s_add_i32 s16, s17, s16
	v_mov_b32_e32 v9, s16
	s_waitcnt vmcnt(0)
	v_add_co_u32_e32 v10, vcc, s18, v0
	v_addc_co_u32_e32 v11, vcc, v1, v9, vcc
	s_and_saveexec_b64 s[16:17], s[4:5]
	s_cbranch_execz .LBB1_122
; %bb.121:
	v_mov_b32_e32 v12, s12
	v_mov_b32_e32 v13, s13
	;; [unrolled: 1-line block ×4, first 2 shown]
	global_store_dwordx4 v[10:11], v[12:15], off offset:8
.LBB1_122:
	s_or_b64 exec, exec, s[16:17]
	s_lshl_b64 s[12:13], s[14:15], 12
	v_mov_b32_e32 v9, s13
	v_add_co_u32_e32 v2, vcc, s12, v2
	v_addc_co_u32_e32 v3, vcc, v3, v9, vcc
	s_movk_i32 s12, 0xff1f
	v_and_or_b32 v6, v6, s12, 32
	s_mov_b32 s12, 0
	v_mov_b32_e32 v9, v8
	v_readfirstlane_b32 s16, v2
	v_readfirstlane_b32 s17, v3
	v_add_co_u32_e32 v12, vcc, v2, v35
	s_mov_b32 s13, s12
	s_mov_b32 s14, s12
	;; [unrolled: 1-line block ×3, first 2 shown]
	s_nop 0
	global_store_dwordx4 v35, v[6:9], s[16:17]
	v_addc_co_u32_e32 v13, vcc, 0, v3, vcc
	v_mov_b32_e32 v6, s12
	v_mov_b32_e32 v7, s13
	;; [unrolled: 1-line block ×4, first 2 shown]
	global_store_dwordx4 v35, v[6:9], s[16:17] offset:16
	global_store_dwordx4 v35, v[6:9], s[16:17] offset:32
	;; [unrolled: 1-line block ×3, first 2 shown]
	s_and_saveexec_b64 s[12:13], s[4:5]
	s_cbranch_execz .LBB1_130
; %bb.123:
	v_mov_b32_e32 v8, 0
	global_load_dwordx2 v[16:17], v8, s[10:11] offset:32 glc
	global_load_dwordx2 v[2:3], v8, s[10:11] offset:40
	v_mov_b32_e32 v14, s6
	v_mov_b32_e32 v15, s7
	s_waitcnt vmcnt(0)
	v_readfirstlane_b32 s14, v2
	v_readfirstlane_b32 s15, v3
	s_and_b64 s[14:15], s[14:15], s[6:7]
	s_mul_i32 s15, s15, 24
	s_mul_hi_u32 s16, s14, 24
	s_mul_i32 s14, s14, 24
	s_add_i32 s15, s16, s15
	v_mov_b32_e32 v2, s15
	v_add_co_u32_e32 v6, vcc, s14, v0
	v_addc_co_u32_e32 v7, vcc, v1, v2, vcc
	global_store_dwordx2 v[6:7], v[16:17], off
	s_waitcnt vmcnt(0)
	global_atomic_cmpswap_x2 v[2:3], v8, v[14:17], s[10:11] offset:32 glc
	s_waitcnt vmcnt(0)
	v_cmp_ne_u64_e32 vcc, v[2:3], v[16:17]
	s_and_saveexec_b64 s[14:15], vcc
	s_cbranch_execz .LBB1_126
; %bb.124:
	s_mov_b64 s[16:17], 0
.LBB1_125:                              ; =>This Inner Loop Header: Depth=1
	s_sleep 1
	global_store_dwordx2 v[6:7], v[2:3], off
	v_mov_b32_e32 v0, s6
	v_mov_b32_e32 v1, s7
	s_waitcnt vmcnt(0)
	global_atomic_cmpswap_x2 v[0:1], v8, v[0:3], s[10:11] offset:32 glc
	s_waitcnt vmcnt(0)
	v_cmp_eq_u64_e32 vcc, v[0:1], v[2:3]
	v_mov_b32_e32 v3, v1
	s_or_b64 s[16:17], vcc, s[16:17]
	v_mov_b32_e32 v2, v0
	s_andn2_b64 exec, exec, s[16:17]
	s_cbranch_execnz .LBB1_125
.LBB1_126:
	s_or_b64 exec, exec, s[14:15]
	v_mov_b32_e32 v3, 0
	global_load_dwordx2 v[0:1], v3, s[10:11] offset:16
	s_mov_b64 s[14:15], exec
	v_mbcnt_lo_u32_b32 v2, s14, 0
	v_mbcnt_hi_u32_b32 v2, s15, v2
	v_cmp_eq_u32_e32 vcc, 0, v2
	s_and_saveexec_b64 s[16:17], vcc
	s_cbranch_execz .LBB1_128
; %bb.127:
	s_bcnt1_i32_b64 s14, s[14:15]
	v_mov_b32_e32 v2, s14
	s_waitcnt vmcnt(0)
	global_atomic_add_x2 v[0:1], v[2:3], off offset:8
.LBB1_128:
	s_or_b64 exec, exec, s[16:17]
	s_waitcnt vmcnt(0)
	global_load_dwordx2 v[2:3], v[0:1], off offset:16
	s_waitcnt vmcnt(0)
	v_cmp_eq_u64_e32 vcc, 0, v[2:3]
	s_cbranch_vccnz .LBB1_130
; %bb.129:
	global_load_dword v0, v[0:1], off offset:24
	v_mov_b32_e32 v1, 0
	s_waitcnt vmcnt(0)
	v_readfirstlane_b32 s14, v0
	s_and_b32 m0, s14, 0xffffff
	global_store_dwordx2 v[2:3], v[0:1], off
	s_sendmsg sendmsg(MSG_INTERRUPT)
.LBB1_130:
	s_or_b64 exec, exec, s[12:13]
	s_branch .LBB1_134
.LBB1_131:                              ;   in Loop: Header=BB1_134 Depth=1
	s_or_b64 exec, exec, s[12:13]
	v_readfirstlane_b32 s12, v0
	s_cmp_eq_u32 s12, 0
	s_cbranch_scc1 .LBB1_133
; %bb.132:                              ;   in Loop: Header=BB1_134 Depth=1
	s_sleep 1
	s_cbranch_execnz .LBB1_134
	s_branch .LBB1_136
.LBB1_133:
	s_branch .LBB1_136
.LBB1_134:                              ; =>This Inner Loop Header: Depth=1
	v_mov_b32_e32 v0, 1
	s_and_saveexec_b64 s[12:13], s[4:5]
	s_cbranch_execz .LBB1_131
; %bb.135:                              ;   in Loop: Header=BB1_134 Depth=1
	global_load_dword v0, v[10:11], off offset:20 glc
	s_waitcnt vmcnt(0)
	buffer_wbinvl1_vol
	v_and_b32_e32 v0, 1, v0
	s_branch .LBB1_131
.LBB1_136:
	global_load_dwordx2 v[0:1], v[12:13], off
	s_and_saveexec_b64 s[12:13], s[4:5]
	s_cbranch_execz .LBB1_139
; %bb.137:
	v_mov_b32_e32 v10, 0
	global_load_dwordx2 v[2:3], v10, s[10:11] offset:40
	global_load_dwordx2 v[13:14], v10, s[10:11] offset:24 glc
	global_load_dwordx2 v[6:7], v10, s[10:11]
	s_waitcnt vmcnt(2)
	v_readfirstlane_b32 s14, v2
	v_readfirstlane_b32 s15, v3
	s_add_u32 s16, s14, 1
	s_addc_u32 s17, s15, 0
	s_add_u32 s4, s16, s6
	s_addc_u32 s5, s17, s7
	s_cmp_eq_u64 s[4:5], 0
	s_cselect_b32 s5, s17, s5
	s_cselect_b32 s4, s16, s4
	s_and_b64 s[6:7], s[4:5], s[14:15]
	s_mul_i32 s7, s7, 24
	s_mul_hi_u32 s14, s6, 24
	s_mul_i32 s6, s6, 24
	s_add_i32 s7, s14, s7
	v_mov_b32_e32 v3, s7
	s_waitcnt vmcnt(0)
	v_add_co_u32_e32 v2, vcc, s6, v6
	v_addc_co_u32_e32 v3, vcc, v7, v3, vcc
	v_mov_b32_e32 v11, s4
	global_store_dwordx2 v[2:3], v[13:14], off
	v_mov_b32_e32 v12, s5
	s_waitcnt vmcnt(0)
	global_atomic_cmpswap_x2 v[8:9], v10, v[11:14], s[10:11] offset:24 glc
	s_mov_b64 s[6:7], 0
	s_waitcnt vmcnt(0)
	v_cmp_ne_u64_e32 vcc, v[8:9], v[13:14]
	s_and_b64 exec, exec, vcc
	s_cbranch_execz .LBB1_139
.LBB1_138:                              ; =>This Inner Loop Header: Depth=1
	s_sleep 1
	global_store_dwordx2 v[2:3], v[8:9], off
	v_mov_b32_e32 v6, s4
	v_mov_b32_e32 v7, s5
	s_waitcnt vmcnt(0)
	global_atomic_cmpswap_x2 v[6:7], v10, v[6:9], s[10:11] offset:24 glc
	s_waitcnt vmcnt(0)
	v_cmp_eq_u64_e32 vcc, v[6:7], v[8:9]
	v_mov_b32_e32 v9, v7
	s_or_b64 s[6:7], vcc, s[6:7]
	v_mov_b32_e32 v8, v6
	s_andn2_b64 exec, exec, s[6:7]
	s_cbranch_execnz .LBB1_138
.LBB1_139:
	s_or_b64 exec, exec, s[12:13]
.LBB1_140:
	s_getpc_b64 s[6:7]
	s_add_u32 s6, s6, .str.4@rel32@lo+4
	s_addc_u32 s7, s7, .str.4@rel32@hi+12
	s_cmp_lg_u64 s[6:7], 0
	s_cbranch_scc0 .LBB1_225
; %bb.141:
	s_getpc_b64 s[4:5]
	s_add_u32 s4, s4, .str.4@rel32@lo+80
	s_addc_u32 s5, s5, .str.4@rel32@hi+88
	s_sub_i32 s12, s4, s6
	s_ashr_i32 s13, s12, 31
	s_waitcnt vmcnt(0)
	v_and_b32_e32 v32, 2, v0
	v_mov_b32_e32 v3, 0
	v_and_b32_e32 v6, -3, v0
	v_mov_b32_e32 v7, v1
	v_mov_b32_e32 v12, 2
	;; [unrolled: 1-line block ×3, first 2 shown]
	s_branch .LBB1_143
.LBB1_142:                              ;   in Loop: Header=BB1_143 Depth=1
	s_or_b64 exec, exec, s[18:19]
	s_sub_u32 s12, s12, s14
	s_subb_u32 s13, s13, s15
	s_add_u32 s6, s6, s14
	s_addc_u32 s7, s7, s15
	s_cmp_lg_u64 s[12:13], 0
	s_cbranch_scc0 .LBB1_226
.LBB1_143:                              ; =>This Loop Header: Depth=1
                                        ;     Child Loop BB1_146 Depth 2
                                        ;     Child Loop BB1_154 Depth 2
                                        ;     Child Loop BB1_162 Depth 2
                                        ;     Child Loop BB1_170 Depth 2
                                        ;     Child Loop BB1_178 Depth 2
                                        ;     Child Loop BB1_186 Depth 2
                                        ;     Child Loop BB1_194 Depth 2
                                        ;     Child Loop BB1_202 Depth 2
                                        ;     Child Loop BB1_210 Depth 2
                                        ;     Child Loop BB1_219 Depth 2
                                        ;     Child Loop BB1_224 Depth 2
	v_cmp_lt_u64_e64 s[4:5], s[12:13], 56
	v_cmp_gt_u64_e64 s[16:17], s[12:13], 7
	s_and_b64 s[4:5], s[4:5], exec
	s_cselect_b32 s15, s13, 0
	s_cselect_b32 s14, s12, 56
	s_add_u32 s4, s6, 8
	s_addc_u32 s5, s7, 0
	s_and_b64 vcc, exec, s[16:17]
	s_cbranch_vccnz .LBB1_147
; %bb.144:                              ;   in Loop: Header=BB1_143 Depth=1
	s_cmp_eq_u64 s[12:13], 0
	s_cbranch_scc1 .LBB1_148
; %bb.145:                              ;   in Loop: Header=BB1_143 Depth=1
	v_mov_b32_e32 v8, 0
	s_lshl_b64 s[4:5], s[14:15], 3
	s_mov_b64 s[16:17], 0
	v_mov_b32_e32 v9, 0
	s_mov_b64 s[18:19], s[6:7]
.LBB1_146:                              ;   Parent Loop BB1_143 Depth=1
                                        ; =>  This Inner Loop Header: Depth=2
	global_load_ubyte v2, v3, s[18:19]
	s_waitcnt vmcnt(0)
	v_and_b32_e32 v2, 0xffff, v2
	v_lshlrev_b64 v[10:11], s16, v[2:3]
	s_add_u32 s16, s16, 8
	s_addc_u32 s17, s17, 0
	s_add_u32 s18, s18, 1
	s_addc_u32 s19, s19, 0
	v_or_b32_e32 v8, v10, v8
	s_cmp_lg_u32 s4, s16
	v_or_b32_e32 v9, v11, v9
	s_cbranch_scc1 .LBB1_146
	s_branch .LBB1_149
.LBB1_147:                              ;   in Loop: Header=BB1_143 Depth=1
	s_mov_b32 s20, 0
	s_branch .LBB1_150
.LBB1_148:                              ;   in Loop: Header=BB1_143 Depth=1
	v_mov_b32_e32 v8, 0
	v_mov_b32_e32 v9, 0
.LBB1_149:                              ;   in Loop: Header=BB1_143 Depth=1
	s_mov_b64 s[4:5], s[6:7]
	s_mov_b32 s20, 0
	s_cbranch_execnz .LBB1_151
.LBB1_150:                              ;   in Loop: Header=BB1_143 Depth=1
	global_load_dwordx2 v[8:9], v3, s[6:7]
	s_add_i32 s20, s14, -8
.LBB1_151:                              ;   in Loop: Header=BB1_143 Depth=1
	s_add_u32 s16, s4, 8
	s_addc_u32 s17, s5, 0
	s_cmp_gt_u32 s20, 7
	s_cbranch_scc1 .LBB1_155
; %bb.152:                              ;   in Loop: Header=BB1_143 Depth=1
	s_cmp_eq_u32 s20, 0
	s_cbranch_scc1 .LBB1_156
; %bb.153:                              ;   in Loop: Header=BB1_143 Depth=1
	v_mov_b32_e32 v14, 0
	s_mov_b64 s[16:17], 0
	v_mov_b32_e32 v15, 0
	s_mov_b64 s[18:19], 0
.LBB1_154:                              ;   Parent Loop BB1_143 Depth=1
                                        ; =>  This Inner Loop Header: Depth=2
	s_add_u32 s22, s4, s18
	s_addc_u32 s23, s5, s19
	global_load_ubyte v2, v3, s[22:23]
	s_add_u32 s18, s18, 1
	s_addc_u32 s19, s19, 0
	s_waitcnt vmcnt(0)
	v_and_b32_e32 v2, 0xffff, v2
	v_lshlrev_b64 v[10:11], s16, v[2:3]
	s_add_u32 s16, s16, 8
	s_addc_u32 s17, s17, 0
	v_or_b32_e32 v14, v10, v14
	s_cmp_lg_u32 s20, s18
	v_or_b32_e32 v15, v11, v15
	s_cbranch_scc1 .LBB1_154
	s_branch .LBB1_157
.LBB1_155:                              ;   in Loop: Header=BB1_143 Depth=1
                                        ; implicit-def: $vgpr14_vgpr15
	s_mov_b32 s21, 0
	s_branch .LBB1_158
.LBB1_156:                              ;   in Loop: Header=BB1_143 Depth=1
	v_mov_b32_e32 v14, 0
	v_mov_b32_e32 v15, 0
.LBB1_157:                              ;   in Loop: Header=BB1_143 Depth=1
	s_mov_b64 s[16:17], s[4:5]
	s_mov_b32 s21, 0
	s_cbranch_execnz .LBB1_159
.LBB1_158:                              ;   in Loop: Header=BB1_143 Depth=1
	global_load_dwordx2 v[14:15], v3, s[4:5]
	s_add_i32 s21, s20, -8
.LBB1_159:                              ;   in Loop: Header=BB1_143 Depth=1
	s_add_u32 s4, s16, 8
	s_addc_u32 s5, s17, 0
	s_cmp_gt_u32 s21, 7
	s_cbranch_scc1 .LBB1_163
; %bb.160:                              ;   in Loop: Header=BB1_143 Depth=1
	s_cmp_eq_u32 s21, 0
	s_cbranch_scc1 .LBB1_164
; %bb.161:                              ;   in Loop: Header=BB1_143 Depth=1
	v_mov_b32_e32 v16, 0
	s_mov_b64 s[4:5], 0
	v_mov_b32_e32 v17, 0
	s_mov_b64 s[18:19], 0
.LBB1_162:                              ;   Parent Loop BB1_143 Depth=1
                                        ; =>  This Inner Loop Header: Depth=2
	s_add_u32 s22, s16, s18
	s_addc_u32 s23, s17, s19
	global_load_ubyte v2, v3, s[22:23]
	s_add_u32 s18, s18, 1
	s_addc_u32 s19, s19, 0
	s_waitcnt vmcnt(0)
	v_and_b32_e32 v2, 0xffff, v2
	v_lshlrev_b64 v[10:11], s4, v[2:3]
	s_add_u32 s4, s4, 8
	s_addc_u32 s5, s5, 0
	v_or_b32_e32 v16, v10, v16
	s_cmp_lg_u32 s21, s18
	v_or_b32_e32 v17, v11, v17
	s_cbranch_scc1 .LBB1_162
	s_branch .LBB1_165
.LBB1_163:                              ;   in Loop: Header=BB1_143 Depth=1
	s_mov_b32 s20, 0
	s_branch .LBB1_166
.LBB1_164:                              ;   in Loop: Header=BB1_143 Depth=1
	v_mov_b32_e32 v16, 0
	v_mov_b32_e32 v17, 0
.LBB1_165:                              ;   in Loop: Header=BB1_143 Depth=1
	s_mov_b64 s[4:5], s[16:17]
	s_mov_b32 s20, 0
	s_cbranch_execnz .LBB1_167
.LBB1_166:                              ;   in Loop: Header=BB1_143 Depth=1
	global_load_dwordx2 v[16:17], v3, s[16:17]
	s_add_i32 s20, s21, -8
.LBB1_167:                              ;   in Loop: Header=BB1_143 Depth=1
	s_add_u32 s16, s4, 8
	s_addc_u32 s17, s5, 0
	s_cmp_gt_u32 s20, 7
	s_cbranch_scc1 .LBB1_171
; %bb.168:                              ;   in Loop: Header=BB1_143 Depth=1
	s_cmp_eq_u32 s20, 0
	s_cbranch_scc1 .LBB1_172
; %bb.169:                              ;   in Loop: Header=BB1_143 Depth=1
	v_mov_b32_e32 v18, 0
	s_mov_b64 s[16:17], 0
	v_mov_b32_e32 v19, 0
	s_mov_b64 s[18:19], 0
.LBB1_170:                              ;   Parent Loop BB1_143 Depth=1
                                        ; =>  This Inner Loop Header: Depth=2
	s_add_u32 s22, s4, s18
	s_addc_u32 s23, s5, s19
	global_load_ubyte v2, v3, s[22:23]
	s_add_u32 s18, s18, 1
	s_addc_u32 s19, s19, 0
	s_waitcnt vmcnt(0)
	v_and_b32_e32 v2, 0xffff, v2
	v_lshlrev_b64 v[10:11], s16, v[2:3]
	s_add_u32 s16, s16, 8
	s_addc_u32 s17, s17, 0
	v_or_b32_e32 v18, v10, v18
	s_cmp_lg_u32 s20, s18
	v_or_b32_e32 v19, v11, v19
	s_cbranch_scc1 .LBB1_170
	s_branch .LBB1_173
.LBB1_171:                              ;   in Loop: Header=BB1_143 Depth=1
                                        ; implicit-def: $vgpr18_vgpr19
	s_mov_b32 s21, 0
	s_branch .LBB1_174
.LBB1_172:                              ;   in Loop: Header=BB1_143 Depth=1
	v_mov_b32_e32 v18, 0
	v_mov_b32_e32 v19, 0
.LBB1_173:                              ;   in Loop: Header=BB1_143 Depth=1
	s_mov_b64 s[16:17], s[4:5]
	s_mov_b32 s21, 0
	s_cbranch_execnz .LBB1_175
.LBB1_174:                              ;   in Loop: Header=BB1_143 Depth=1
	global_load_dwordx2 v[18:19], v3, s[4:5]
	s_add_i32 s21, s20, -8
.LBB1_175:                              ;   in Loop: Header=BB1_143 Depth=1
	s_add_u32 s4, s16, 8
	s_addc_u32 s5, s17, 0
	s_cmp_gt_u32 s21, 7
	s_cbranch_scc1 .LBB1_179
; %bb.176:                              ;   in Loop: Header=BB1_143 Depth=1
	s_cmp_eq_u32 s21, 0
	s_cbranch_scc1 .LBB1_180
; %bb.177:                              ;   in Loop: Header=BB1_143 Depth=1
	v_mov_b32_e32 v20, 0
	s_mov_b64 s[4:5], 0
	v_mov_b32_e32 v21, 0
	s_mov_b64 s[18:19], 0
.LBB1_178:                              ;   Parent Loop BB1_143 Depth=1
                                        ; =>  This Inner Loop Header: Depth=2
	s_add_u32 s22, s16, s18
	s_addc_u32 s23, s17, s19
	global_load_ubyte v2, v3, s[22:23]
	s_add_u32 s18, s18, 1
	s_addc_u32 s19, s19, 0
	s_waitcnt vmcnt(0)
	v_and_b32_e32 v2, 0xffff, v2
	v_lshlrev_b64 v[10:11], s4, v[2:3]
	s_add_u32 s4, s4, 8
	s_addc_u32 s5, s5, 0
	v_or_b32_e32 v20, v10, v20
	s_cmp_lg_u32 s21, s18
	v_or_b32_e32 v21, v11, v21
	s_cbranch_scc1 .LBB1_178
	s_branch .LBB1_181
.LBB1_179:                              ;   in Loop: Header=BB1_143 Depth=1
	s_mov_b32 s20, 0
	s_branch .LBB1_182
.LBB1_180:                              ;   in Loop: Header=BB1_143 Depth=1
	v_mov_b32_e32 v20, 0
	v_mov_b32_e32 v21, 0
.LBB1_181:                              ;   in Loop: Header=BB1_143 Depth=1
	s_mov_b64 s[4:5], s[16:17]
	s_mov_b32 s20, 0
	s_cbranch_execnz .LBB1_183
.LBB1_182:                              ;   in Loop: Header=BB1_143 Depth=1
	global_load_dwordx2 v[20:21], v3, s[16:17]
	s_add_i32 s20, s21, -8
.LBB1_183:                              ;   in Loop: Header=BB1_143 Depth=1
	s_add_u32 s16, s4, 8
	s_addc_u32 s17, s5, 0
	s_cmp_gt_u32 s20, 7
	s_cbranch_scc1 .LBB1_187
; %bb.184:                              ;   in Loop: Header=BB1_143 Depth=1
	s_cmp_eq_u32 s20, 0
	s_cbranch_scc1 .LBB1_188
; %bb.185:                              ;   in Loop: Header=BB1_143 Depth=1
	v_mov_b32_e32 v22, 0
	s_mov_b64 s[16:17], 0
	v_mov_b32_e32 v23, 0
	s_mov_b64 s[18:19], 0
.LBB1_186:                              ;   Parent Loop BB1_143 Depth=1
                                        ; =>  This Inner Loop Header: Depth=2
	s_add_u32 s22, s4, s18
	s_addc_u32 s23, s5, s19
	global_load_ubyte v2, v3, s[22:23]
	s_add_u32 s18, s18, 1
	s_addc_u32 s19, s19, 0
	s_waitcnt vmcnt(0)
	v_and_b32_e32 v2, 0xffff, v2
	v_lshlrev_b64 v[10:11], s16, v[2:3]
	s_add_u32 s16, s16, 8
	s_addc_u32 s17, s17, 0
	v_or_b32_e32 v22, v10, v22
	s_cmp_lg_u32 s20, s18
	v_or_b32_e32 v23, v11, v23
	s_cbranch_scc1 .LBB1_186
	s_branch .LBB1_189
.LBB1_187:                              ;   in Loop: Header=BB1_143 Depth=1
                                        ; implicit-def: $vgpr22_vgpr23
	s_mov_b32 s21, 0
	s_branch .LBB1_190
.LBB1_188:                              ;   in Loop: Header=BB1_143 Depth=1
	v_mov_b32_e32 v22, 0
	v_mov_b32_e32 v23, 0
.LBB1_189:                              ;   in Loop: Header=BB1_143 Depth=1
	s_mov_b64 s[16:17], s[4:5]
	s_mov_b32 s21, 0
	s_cbranch_execnz .LBB1_191
.LBB1_190:                              ;   in Loop: Header=BB1_143 Depth=1
	global_load_dwordx2 v[22:23], v3, s[4:5]
	s_add_i32 s21, s20, -8
.LBB1_191:                              ;   in Loop: Header=BB1_143 Depth=1
	s_cmp_gt_u32 s21, 7
	s_cbranch_scc1 .LBB1_195
; %bb.192:                              ;   in Loop: Header=BB1_143 Depth=1
	s_cmp_eq_u32 s21, 0
	s_cbranch_scc1 .LBB1_196
; %bb.193:                              ;   in Loop: Header=BB1_143 Depth=1
	v_mov_b32_e32 v24, 0
	s_mov_b64 s[4:5], 0
	v_mov_b32_e32 v25, 0
	s_mov_b64 s[18:19], s[16:17]
.LBB1_194:                              ;   Parent Loop BB1_143 Depth=1
                                        ; =>  This Inner Loop Header: Depth=2
	global_load_ubyte v2, v3, s[18:19]
	s_add_i32 s21, s21, -1
	s_waitcnt vmcnt(0)
	v_and_b32_e32 v2, 0xffff, v2
	v_lshlrev_b64 v[10:11], s4, v[2:3]
	s_add_u32 s4, s4, 8
	s_addc_u32 s5, s5, 0
	s_add_u32 s18, s18, 1
	s_addc_u32 s19, s19, 0
	v_or_b32_e32 v24, v10, v24
	s_cmp_lg_u32 s21, 0
	v_or_b32_e32 v25, v11, v25
	s_cbranch_scc1 .LBB1_194
	s_branch .LBB1_197
.LBB1_195:                              ;   in Loop: Header=BB1_143 Depth=1
	s_branch .LBB1_198
.LBB1_196:                              ;   in Loop: Header=BB1_143 Depth=1
	v_mov_b32_e32 v24, 0
	v_mov_b32_e32 v25, 0
.LBB1_197:                              ;   in Loop: Header=BB1_143 Depth=1
	s_cbranch_execnz .LBB1_199
.LBB1_198:                              ;   in Loop: Header=BB1_143 Depth=1
	global_load_dwordx2 v[24:25], v3, s[16:17]
.LBB1_199:                              ;   in Loop: Header=BB1_143 Depth=1
	v_readfirstlane_b32 s4, v34
	v_mov_b32_e32 v10, 0
	v_mov_b32_e32 v11, 0
	v_cmp_eq_u32_e64 s[4:5], s4, v34
	s_and_saveexec_b64 s[16:17], s[4:5]
	s_cbranch_execz .LBB1_205
; %bb.200:                              ;   in Loop: Header=BB1_143 Depth=1
	global_load_dwordx2 v[28:29], v3, s[10:11] offset:24 glc
	s_waitcnt vmcnt(0)
	buffer_wbinvl1_vol
	global_load_dwordx2 v[10:11], v3, s[10:11] offset:40
	global_load_dwordx2 v[26:27], v3, s[10:11]
	s_waitcnt vmcnt(1)
	v_and_b32_e32 v2, v10, v28
	v_and_b32_e32 v10, v11, v29
	v_mul_lo_u32 v10, v10, 24
	v_mul_hi_u32 v11, v2, 24
	v_mul_lo_u32 v2, v2, 24
	v_add_u32_e32 v11, v11, v10
	s_waitcnt vmcnt(0)
	v_add_co_u32_e32 v10, vcc, v26, v2
	v_addc_co_u32_e32 v11, vcc, v27, v11, vcc
	global_load_dwordx2 v[26:27], v[10:11], off glc
	s_waitcnt vmcnt(0)
	global_atomic_cmpswap_x2 v[10:11], v3, v[26:29], s[10:11] offset:24 glc
	s_waitcnt vmcnt(0)
	buffer_wbinvl1_vol
	v_cmp_ne_u64_e32 vcc, v[10:11], v[28:29]
	s_and_saveexec_b64 s[18:19], vcc
	s_cbranch_execz .LBB1_204
; %bb.201:                              ;   in Loop: Header=BB1_143 Depth=1
	s_mov_b64 s[20:21], 0
.LBB1_202:                              ;   Parent Loop BB1_143 Depth=1
                                        ; =>  This Inner Loop Header: Depth=2
	s_sleep 1
	global_load_dwordx2 v[26:27], v3, s[10:11] offset:40
	global_load_dwordx2 v[30:31], v3, s[10:11]
	v_mov_b32_e32 v29, v11
	v_mov_b32_e32 v28, v10
	s_waitcnt vmcnt(1)
	v_and_b32_e32 v2, v26, v28
	s_waitcnt vmcnt(0)
	v_mad_u64_u32 v[10:11], s[22:23], v2, 24, v[30:31]
	v_and_b32_e32 v26, v27, v29
	v_mov_b32_e32 v2, v11
	v_mad_u64_u32 v[26:27], s[22:23], v26, 24, v[2:3]
	v_mov_b32_e32 v11, v26
	global_load_dwordx2 v[26:27], v[10:11], off glc
	s_waitcnt vmcnt(0)
	global_atomic_cmpswap_x2 v[10:11], v3, v[26:29], s[10:11] offset:24 glc
	s_waitcnt vmcnt(0)
	buffer_wbinvl1_vol
	v_cmp_eq_u64_e32 vcc, v[10:11], v[28:29]
	s_or_b64 s[20:21], vcc, s[20:21]
	s_andn2_b64 exec, exec, s[20:21]
	s_cbranch_execnz .LBB1_202
; %bb.203:                              ;   in Loop: Header=BB1_143 Depth=1
	s_or_b64 exec, exec, s[20:21]
.LBB1_204:                              ;   in Loop: Header=BB1_143 Depth=1
	s_or_b64 exec, exec, s[18:19]
.LBB1_205:                              ;   in Loop: Header=BB1_143 Depth=1
	s_or_b64 exec, exec, s[16:17]
	global_load_dwordx2 v[30:31], v3, s[10:11] offset:40
	global_load_dwordx4 v[26:29], v3, s[10:11]
	v_readfirstlane_b32 s17, v11
	v_readfirstlane_b32 s16, v10
	s_mov_b64 s[18:19], exec
	s_waitcnt vmcnt(1)
	v_readfirstlane_b32 s20, v30
	v_readfirstlane_b32 s21, v31
	s_and_b64 s[20:21], s[20:21], s[16:17]
	s_mul_i32 s22, s21, 24
	s_mul_hi_u32 s23, s20, 24
	s_mul_i32 s24, s20, 24
	s_add_i32 s22, s23, s22
	v_mov_b32_e32 v2, s22
	s_waitcnt vmcnt(0)
	v_add_co_u32_e32 v30, vcc, s24, v26
	v_addc_co_u32_e32 v31, vcc, v27, v2, vcc
	s_and_saveexec_b64 s[22:23], s[4:5]
	s_cbranch_execz .LBB1_207
; %bb.206:                              ;   in Loop: Header=BB1_143 Depth=1
	v_mov_b32_e32 v10, s18
	v_mov_b32_e32 v11, s19
	global_store_dwordx4 v[30:31], v[10:13], off offset:8
.LBB1_207:                              ;   in Loop: Header=BB1_143 Depth=1
	s_or_b64 exec, exec, s[22:23]
	s_lshl_b64 s[18:19], s[20:21], 12
	v_mov_b32_e32 v2, s19
	v_add_co_u32_e32 v28, vcc, s18, v28
	v_addc_co_u32_e32 v29, vcc, v29, v2, vcc
	v_cmp_lt_u64_e64 vcc, s[12:13], 57
	s_lshl_b32 s18, s14, 2
	v_cndmask_b32_e32 v2, 0, v32, vcc
	s_add_i32 s18, s18, 28
	v_and_b32_e32 v6, 0xffffff1f, v6
	s_and_b32 s18, s18, 0x1e0
	v_or_b32_e32 v2, v6, v2
	v_or_b32_e32 v6, s18, v2
	v_readfirstlane_b32 s18, v28
	v_readfirstlane_b32 s19, v29
	s_nop 4
	global_store_dwordx4 v35, v[6:9], s[18:19]
	global_store_dwordx4 v35, v[14:17], s[18:19] offset:16
	global_store_dwordx4 v35, v[18:21], s[18:19] offset:32
	;; [unrolled: 1-line block ×3, first 2 shown]
	s_and_saveexec_b64 s[18:19], s[4:5]
	s_cbranch_execz .LBB1_215
; %bb.208:                              ;   in Loop: Header=BB1_143 Depth=1
	global_load_dwordx2 v[16:17], v3, s[10:11] offset:32 glc
	global_load_dwordx2 v[6:7], v3, s[10:11] offset:40
	v_mov_b32_e32 v14, s16
	v_mov_b32_e32 v15, s17
	s_waitcnt vmcnt(0)
	v_readfirstlane_b32 s20, v6
	v_readfirstlane_b32 s21, v7
	s_and_b64 s[20:21], s[20:21], s[16:17]
	s_mul_i32 s21, s21, 24
	s_mul_hi_u32 s22, s20, 24
	s_mul_i32 s20, s20, 24
	s_add_i32 s21, s22, s21
	v_mov_b32_e32 v2, s21
	v_add_co_u32_e32 v10, vcc, s20, v26
	v_addc_co_u32_e32 v11, vcc, v27, v2, vcc
	global_store_dwordx2 v[10:11], v[16:17], off
	s_waitcnt vmcnt(0)
	global_atomic_cmpswap_x2 v[8:9], v3, v[14:17], s[10:11] offset:32 glc
	s_waitcnt vmcnt(0)
	v_cmp_ne_u64_e32 vcc, v[8:9], v[16:17]
	s_and_saveexec_b64 s[20:21], vcc
	s_cbranch_execz .LBB1_211
; %bb.209:                              ;   in Loop: Header=BB1_143 Depth=1
	s_mov_b64 s[22:23], 0
.LBB1_210:                              ;   Parent Loop BB1_143 Depth=1
                                        ; =>  This Inner Loop Header: Depth=2
	s_sleep 1
	global_store_dwordx2 v[10:11], v[8:9], off
	v_mov_b32_e32 v6, s16
	v_mov_b32_e32 v7, s17
	s_waitcnt vmcnt(0)
	global_atomic_cmpswap_x2 v[6:7], v3, v[6:9], s[10:11] offset:32 glc
	s_waitcnt vmcnt(0)
	v_cmp_eq_u64_e32 vcc, v[6:7], v[8:9]
	v_mov_b32_e32 v9, v7
	s_or_b64 s[22:23], vcc, s[22:23]
	v_mov_b32_e32 v8, v6
	s_andn2_b64 exec, exec, s[22:23]
	s_cbranch_execnz .LBB1_210
.LBB1_211:                              ;   in Loop: Header=BB1_143 Depth=1
	s_or_b64 exec, exec, s[20:21]
	global_load_dwordx2 v[6:7], v3, s[10:11] offset:16
	s_mov_b64 s[22:23], exec
	v_mbcnt_lo_u32_b32 v2, s22, 0
	v_mbcnt_hi_u32_b32 v2, s23, v2
	v_cmp_eq_u32_e32 vcc, 0, v2
	s_and_saveexec_b64 s[20:21], vcc
	s_cbranch_execz .LBB1_213
; %bb.212:                              ;   in Loop: Header=BB1_143 Depth=1
	s_bcnt1_i32_b64 s22, s[22:23]
	v_mov_b32_e32 v2, s22
	s_waitcnt vmcnt(0)
	global_atomic_add_x2 v[6:7], v[2:3], off offset:8
.LBB1_213:                              ;   in Loop: Header=BB1_143 Depth=1
	s_or_b64 exec, exec, s[20:21]
	s_waitcnt vmcnt(0)
	global_load_dwordx2 v[8:9], v[6:7], off offset:16
	s_waitcnt vmcnt(0)
	v_cmp_eq_u64_e32 vcc, 0, v[8:9]
	s_cbranch_vccnz .LBB1_215
; %bb.214:                              ;   in Loop: Header=BB1_143 Depth=1
	global_load_dword v2, v[6:7], off offset:24
	s_waitcnt vmcnt(0)
	v_readfirstlane_b32 s20, v2
	s_and_b32 m0, s20, 0xffffff
	global_store_dwordx2 v[8:9], v[2:3], off
	s_sendmsg sendmsg(MSG_INTERRUPT)
.LBB1_215:                              ;   in Loop: Header=BB1_143 Depth=1
	s_or_b64 exec, exec, s[18:19]
	v_add_co_u32_e32 v6, vcc, v28, v35
	v_addc_co_u32_e32 v7, vcc, 0, v29, vcc
	s_branch .LBB1_219
.LBB1_216:                              ;   in Loop: Header=BB1_219 Depth=2
	s_or_b64 exec, exec, s[18:19]
	v_readfirstlane_b32 s18, v2
	s_cmp_eq_u32 s18, 0
	s_cbranch_scc1 .LBB1_218
; %bb.217:                              ;   in Loop: Header=BB1_219 Depth=2
	s_sleep 1
	s_cbranch_execnz .LBB1_219
	s_branch .LBB1_221
.LBB1_218:                              ;   in Loop: Header=BB1_143 Depth=1
	s_branch .LBB1_221
.LBB1_219:                              ;   Parent Loop BB1_143 Depth=1
                                        ; =>  This Inner Loop Header: Depth=2
	v_mov_b32_e32 v2, 1
	s_and_saveexec_b64 s[18:19], s[4:5]
	s_cbranch_execz .LBB1_216
; %bb.220:                              ;   in Loop: Header=BB1_219 Depth=2
	global_load_dword v2, v[30:31], off offset:20 glc
	s_waitcnt vmcnt(0)
	buffer_wbinvl1_vol
	v_and_b32_e32 v2, 1, v2
	s_branch .LBB1_216
.LBB1_221:                              ;   in Loop: Header=BB1_143 Depth=1
	global_load_dwordx2 v[6:7], v[6:7], off
	s_and_saveexec_b64 s[18:19], s[4:5]
	s_cbranch_execz .LBB1_142
; %bb.222:                              ;   in Loop: Header=BB1_143 Depth=1
	global_load_dwordx2 v[8:9], v3, s[10:11] offset:40
	global_load_dwordx2 v[18:19], v3, s[10:11] offset:24 glc
	global_load_dwordx2 v[10:11], v3, s[10:11]
	s_waitcnt vmcnt(2)
	v_readfirstlane_b32 s20, v8
	v_readfirstlane_b32 s21, v9
	s_add_u32 s22, s20, 1
	s_addc_u32 s23, s21, 0
	s_add_u32 s4, s22, s16
	s_addc_u32 s5, s23, s17
	s_cmp_eq_u64 s[4:5], 0
	s_cselect_b32 s5, s23, s5
	s_cselect_b32 s4, s22, s4
	s_and_b64 s[16:17], s[4:5], s[20:21]
	s_mul_i32 s17, s17, 24
	s_mul_hi_u32 s20, s16, 24
	s_mul_i32 s16, s16, 24
	s_add_i32 s17, s20, s17
	v_mov_b32_e32 v2, s17
	s_waitcnt vmcnt(0)
	v_add_co_u32_e32 v14, vcc, s16, v10
	v_addc_co_u32_e32 v15, vcc, v11, v2, vcc
	v_mov_b32_e32 v16, s4
	global_store_dwordx2 v[14:15], v[18:19], off
	v_mov_b32_e32 v17, s5
	s_waitcnt vmcnt(0)
	global_atomic_cmpswap_x2 v[10:11], v3, v[16:19], s[10:11] offset:24 glc
	s_waitcnt vmcnt(0)
	v_cmp_ne_u64_e32 vcc, v[10:11], v[18:19]
	s_and_b64 exec, exec, vcc
	s_cbranch_execz .LBB1_142
; %bb.223:                              ;   in Loop: Header=BB1_143 Depth=1
	s_mov_b64 s[16:17], 0
.LBB1_224:                              ;   Parent Loop BB1_143 Depth=1
                                        ; =>  This Inner Loop Header: Depth=2
	s_sleep 1
	global_store_dwordx2 v[14:15], v[10:11], off
	v_mov_b32_e32 v8, s4
	v_mov_b32_e32 v9, s5
	s_waitcnt vmcnt(0)
	global_atomic_cmpswap_x2 v[8:9], v3, v[8:11], s[10:11] offset:24 glc
	s_waitcnt vmcnt(0)
	v_cmp_eq_u64_e32 vcc, v[8:9], v[10:11]
	v_mov_b32_e32 v11, v9
	s_or_b64 s[16:17], vcc, s[16:17]
	v_mov_b32_e32 v10, v8
	s_andn2_b64 exec, exec, s[16:17]
	s_cbranch_execnz .LBB1_224
	s_branch .LBB1_142
.LBB1_225:
                                        ; implicit-def: $vgpr6_vgpr7
	s_cbranch_execnz .LBB1_227
	s_branch .LBB1_253
.LBB1_226:
	s_branch .LBB1_253
.LBB1_227:
	v_readfirstlane_b32 s4, v34
	v_mov_b32_e32 v10, 0
	v_mov_b32_e32 v11, 0
	v_cmp_eq_u32_e64 s[4:5], s4, v34
	s_and_saveexec_b64 s[6:7], s[4:5]
	s_cbranch_execz .LBB1_233
; %bb.228:
	v_mov_b32_e32 v2, 0
	global_load_dwordx2 v[8:9], v2, s[10:11] offset:24 glc
	s_waitcnt vmcnt(0)
	buffer_wbinvl1_vol
	global_load_dwordx2 v[6:7], v2, s[10:11] offset:40
	global_load_dwordx2 v[10:11], v2, s[10:11]
	s_waitcnt vmcnt(1)
	v_and_b32_e32 v3, v6, v8
	v_and_b32_e32 v6, v7, v9
	v_mul_lo_u32 v6, v6, 24
	v_mul_hi_u32 v7, v3, 24
	v_mul_lo_u32 v3, v3, 24
	v_add_u32_e32 v7, v7, v6
	s_waitcnt vmcnt(0)
	v_add_co_u32_e32 v6, vcc, v10, v3
	v_addc_co_u32_e32 v7, vcc, v11, v7, vcc
	global_load_dwordx2 v[6:7], v[6:7], off glc
	s_waitcnt vmcnt(0)
	global_atomic_cmpswap_x2 v[10:11], v2, v[6:9], s[10:11] offset:24 glc
	s_waitcnt vmcnt(0)
	buffer_wbinvl1_vol
	v_cmp_ne_u64_e32 vcc, v[10:11], v[8:9]
	s_and_saveexec_b64 s[12:13], vcc
	s_cbranch_execz .LBB1_232
; %bb.229:
	s_mov_b64 s[14:15], 0
.LBB1_230:                              ; =>This Inner Loop Header: Depth=1
	s_sleep 1
	global_load_dwordx2 v[6:7], v2, s[10:11] offset:40
	global_load_dwordx2 v[12:13], v2, s[10:11]
	v_mov_b32_e32 v8, v10
	v_mov_b32_e32 v9, v11
	s_waitcnt vmcnt(1)
	v_and_b32_e32 v3, v6, v8
	s_waitcnt vmcnt(0)
	v_mad_u64_u32 v[10:11], s[16:17], v3, 24, v[12:13]
	v_and_b32_e32 v6, v7, v9
	v_mov_b32_e32 v3, v11
	v_mad_u64_u32 v[6:7], s[16:17], v6, 24, v[3:4]
	v_mov_b32_e32 v11, v6
	global_load_dwordx2 v[6:7], v[10:11], off glc
	s_waitcnt vmcnt(0)
	global_atomic_cmpswap_x2 v[10:11], v2, v[6:9], s[10:11] offset:24 glc
	s_waitcnt vmcnt(0)
	buffer_wbinvl1_vol
	v_cmp_eq_u64_e32 vcc, v[10:11], v[8:9]
	s_or_b64 s[14:15], vcc, s[14:15]
	s_andn2_b64 exec, exec, s[14:15]
	s_cbranch_execnz .LBB1_230
; %bb.231:
	s_or_b64 exec, exec, s[14:15]
.LBB1_232:
	s_or_b64 exec, exec, s[12:13]
.LBB1_233:
	s_or_b64 exec, exec, s[6:7]
	v_mov_b32_e32 v2, 0
	global_load_dwordx2 v[12:13], v2, s[10:11] offset:40
	global_load_dwordx4 v[6:9], v2, s[10:11]
	v_readfirstlane_b32 s7, v11
	v_readfirstlane_b32 s6, v10
	s_mov_b64 s[12:13], exec
	s_waitcnt vmcnt(1)
	v_readfirstlane_b32 s14, v12
	v_readfirstlane_b32 s15, v13
	s_and_b64 s[14:15], s[14:15], s[6:7]
	s_mul_i32 s16, s15, 24
	s_mul_hi_u32 s17, s14, 24
	s_mul_i32 s18, s14, 24
	s_add_i32 s16, s17, s16
	v_mov_b32_e32 v3, s16
	s_waitcnt vmcnt(0)
	v_add_co_u32_e32 v10, vcc, s18, v6
	v_addc_co_u32_e32 v11, vcc, v7, v3, vcc
	s_and_saveexec_b64 s[16:17], s[4:5]
	s_cbranch_execz .LBB1_235
; %bb.234:
	v_mov_b32_e32 v12, s12
	v_mov_b32_e32 v13, s13
	v_mov_b32_e32 v14, 2
	v_mov_b32_e32 v15, 1
	global_store_dwordx4 v[10:11], v[12:15], off offset:8
.LBB1_235:
	s_or_b64 exec, exec, s[16:17]
	s_lshl_b64 s[12:13], s[14:15], 12
	v_mov_b32_e32 v3, s13
	v_add_co_u32_e32 v12, vcc, s12, v8
	v_addc_co_u32_e32 v13, vcc, v9, v3, vcc
	s_movk_i32 s12, 0xff1f
	v_and_or_b32 v0, v0, s12, 32
	s_mov_b32 s12, 0
	v_mov_b32_e32 v3, v2
	v_readfirstlane_b32 s16, v12
	v_readfirstlane_b32 s17, v13
	v_add_co_u32_e32 v8, vcc, v12, v35
	s_mov_b32 s13, s12
	s_mov_b32 s14, s12
	;; [unrolled: 1-line block ×3, first 2 shown]
	s_nop 0
	global_store_dwordx4 v35, v[0:3], s[16:17]
	v_addc_co_u32_e32 v9, vcc, 0, v13, vcc
	v_mov_b32_e32 v0, s12
	v_mov_b32_e32 v1, s13
	;; [unrolled: 1-line block ×4, first 2 shown]
	global_store_dwordx4 v35, v[0:3], s[16:17] offset:16
	global_store_dwordx4 v35, v[0:3], s[16:17] offset:32
	;; [unrolled: 1-line block ×3, first 2 shown]
	s_and_saveexec_b64 s[12:13], s[4:5]
	s_cbranch_execz .LBB1_243
; %bb.236:
	v_mov_b32_e32 v12, 0
	global_load_dwordx2 v[15:16], v12, s[10:11] offset:32 glc
	global_load_dwordx2 v[0:1], v12, s[10:11] offset:40
	v_mov_b32_e32 v13, s6
	v_mov_b32_e32 v14, s7
	s_waitcnt vmcnt(0)
	v_readfirstlane_b32 s14, v0
	v_readfirstlane_b32 s15, v1
	s_and_b64 s[14:15], s[14:15], s[6:7]
	s_mul_i32 s15, s15, 24
	s_mul_hi_u32 s16, s14, 24
	s_mul_i32 s14, s14, 24
	s_add_i32 s15, s16, s15
	v_mov_b32_e32 v0, s15
	v_add_co_u32_e32 v6, vcc, s14, v6
	v_addc_co_u32_e32 v7, vcc, v7, v0, vcc
	global_store_dwordx2 v[6:7], v[15:16], off
	s_waitcnt vmcnt(0)
	global_atomic_cmpswap_x2 v[2:3], v12, v[13:16], s[10:11] offset:32 glc
	s_waitcnt vmcnt(0)
	v_cmp_ne_u64_e32 vcc, v[2:3], v[15:16]
	s_and_saveexec_b64 s[14:15], vcc
	s_cbranch_execz .LBB1_239
; %bb.237:
	s_mov_b64 s[16:17], 0
.LBB1_238:                              ; =>This Inner Loop Header: Depth=1
	s_sleep 1
	global_store_dwordx2 v[6:7], v[2:3], off
	v_mov_b32_e32 v0, s6
	v_mov_b32_e32 v1, s7
	s_waitcnt vmcnt(0)
	global_atomic_cmpswap_x2 v[0:1], v12, v[0:3], s[10:11] offset:32 glc
	s_waitcnt vmcnt(0)
	v_cmp_eq_u64_e32 vcc, v[0:1], v[2:3]
	v_mov_b32_e32 v3, v1
	s_or_b64 s[16:17], vcc, s[16:17]
	v_mov_b32_e32 v2, v0
	s_andn2_b64 exec, exec, s[16:17]
	s_cbranch_execnz .LBB1_238
.LBB1_239:
	s_or_b64 exec, exec, s[14:15]
	v_mov_b32_e32 v3, 0
	global_load_dwordx2 v[0:1], v3, s[10:11] offset:16
	s_mov_b64 s[14:15], exec
	v_mbcnt_lo_u32_b32 v2, s14, 0
	v_mbcnt_hi_u32_b32 v2, s15, v2
	v_cmp_eq_u32_e32 vcc, 0, v2
	s_and_saveexec_b64 s[16:17], vcc
	s_cbranch_execz .LBB1_241
; %bb.240:
	s_bcnt1_i32_b64 s14, s[14:15]
	v_mov_b32_e32 v2, s14
	s_waitcnt vmcnt(0)
	global_atomic_add_x2 v[0:1], v[2:3], off offset:8
.LBB1_241:
	s_or_b64 exec, exec, s[16:17]
	s_waitcnt vmcnt(0)
	global_load_dwordx2 v[2:3], v[0:1], off offset:16
	s_waitcnt vmcnt(0)
	v_cmp_eq_u64_e32 vcc, 0, v[2:3]
	s_cbranch_vccnz .LBB1_243
; %bb.242:
	global_load_dword v0, v[0:1], off offset:24
	v_mov_b32_e32 v1, 0
	s_waitcnt vmcnt(0)
	v_readfirstlane_b32 s14, v0
	s_and_b32 m0, s14, 0xffffff
	global_store_dwordx2 v[2:3], v[0:1], off
	s_sendmsg sendmsg(MSG_INTERRUPT)
.LBB1_243:
	s_or_b64 exec, exec, s[12:13]
	s_branch .LBB1_247
.LBB1_244:                              ;   in Loop: Header=BB1_247 Depth=1
	s_or_b64 exec, exec, s[12:13]
	v_readfirstlane_b32 s12, v0
	s_cmp_eq_u32 s12, 0
	s_cbranch_scc1 .LBB1_246
; %bb.245:                              ;   in Loop: Header=BB1_247 Depth=1
	s_sleep 1
	s_cbranch_execnz .LBB1_247
	s_branch .LBB1_249
.LBB1_246:
	s_branch .LBB1_249
.LBB1_247:                              ; =>This Inner Loop Header: Depth=1
	v_mov_b32_e32 v0, 1
	s_and_saveexec_b64 s[12:13], s[4:5]
	s_cbranch_execz .LBB1_244
; %bb.248:                              ;   in Loop: Header=BB1_247 Depth=1
	global_load_dword v0, v[10:11], off offset:20 glc
	s_waitcnt vmcnt(0)
	buffer_wbinvl1_vol
	v_and_b32_e32 v0, 1, v0
	s_branch .LBB1_244
.LBB1_249:
	global_load_dwordx2 v[6:7], v[8:9], off
	s_and_saveexec_b64 s[12:13], s[4:5]
	s_cbranch_execz .LBB1_252
; %bb.250:
	v_mov_b32_e32 v10, 0
	global_load_dwordx2 v[0:1], v10, s[10:11] offset:40
	global_load_dwordx2 v[13:14], v10, s[10:11] offset:24 glc
	global_load_dwordx2 v[2:3], v10, s[10:11]
	s_waitcnt vmcnt(2)
	v_readfirstlane_b32 s14, v0
	v_readfirstlane_b32 s15, v1
	s_add_u32 s16, s14, 1
	s_addc_u32 s17, s15, 0
	s_add_u32 s4, s16, s6
	s_addc_u32 s5, s17, s7
	s_cmp_eq_u64 s[4:5], 0
	s_cselect_b32 s5, s17, s5
	s_cselect_b32 s4, s16, s4
	s_and_b64 s[6:7], s[4:5], s[14:15]
	s_mul_i32 s7, s7, 24
	s_mul_hi_u32 s14, s6, 24
	s_mul_i32 s6, s6, 24
	s_add_i32 s7, s14, s7
	v_mov_b32_e32 v0, s7
	s_waitcnt vmcnt(0)
	v_add_co_u32_e32 v8, vcc, s6, v2
	v_addc_co_u32_e32 v9, vcc, v3, v0, vcc
	v_mov_b32_e32 v11, s4
	global_store_dwordx2 v[8:9], v[13:14], off
	v_mov_b32_e32 v12, s5
	s_waitcnt vmcnt(0)
	global_atomic_cmpswap_x2 v[2:3], v10, v[11:14], s[10:11] offset:24 glc
	s_mov_b64 s[6:7], 0
	s_waitcnt vmcnt(0)
	v_cmp_ne_u64_e32 vcc, v[2:3], v[13:14]
	s_and_b64 exec, exec, vcc
	s_cbranch_execz .LBB1_252
.LBB1_251:                              ; =>This Inner Loop Header: Depth=1
	s_sleep 1
	global_store_dwordx2 v[8:9], v[2:3], off
	v_mov_b32_e32 v0, s4
	v_mov_b32_e32 v1, s5
	s_waitcnt vmcnt(0)
	global_atomic_cmpswap_x2 v[0:1], v10, v[0:3], s[10:11] offset:24 glc
	s_waitcnt vmcnt(0)
	v_cmp_eq_u64_e32 vcc, v[0:1], v[2:3]
	v_mov_b32_e32 v3, v1
	s_or_b64 s[6:7], vcc, s[6:7]
	v_mov_b32_e32 v2, v0
	s_andn2_b64 exec, exec, s[6:7]
	s_cbranch_execnz .LBB1_251
.LBB1_252:
	s_or_b64 exec, exec, s[12:13]
.LBB1_253:
	v_readfirstlane_b32 s4, v34
	v_mov_b32_e32 v10, 0
	v_mov_b32_e32 v11, 0
	v_cmp_eq_u32_e64 s[4:5], s4, v34
	s_and_saveexec_b64 s[6:7], s[4:5]
	s_cbranch_execz .LBB1_259
; %bb.254:
	s_waitcnt vmcnt(0)
	v_mov_b32_e32 v0, 0
	global_load_dwordx2 v[12:13], v0, s[10:11] offset:24 glc
	s_waitcnt vmcnt(0)
	buffer_wbinvl1_vol
	global_load_dwordx2 v[1:2], v0, s[10:11] offset:40
	global_load_dwordx2 v[8:9], v0, s[10:11]
	s_waitcnt vmcnt(1)
	v_and_b32_e32 v1, v1, v12
	v_and_b32_e32 v2, v2, v13
	v_mul_lo_u32 v2, v2, 24
	v_mul_hi_u32 v3, v1, 24
	v_mul_lo_u32 v1, v1, 24
	v_add_u32_e32 v2, v3, v2
	s_waitcnt vmcnt(0)
	v_add_co_u32_e32 v1, vcc, v8, v1
	v_addc_co_u32_e32 v2, vcc, v9, v2, vcc
	global_load_dwordx2 v[10:11], v[1:2], off glc
	s_waitcnt vmcnt(0)
	global_atomic_cmpswap_x2 v[10:11], v0, v[10:13], s[10:11] offset:24 glc
	s_waitcnt vmcnt(0)
	buffer_wbinvl1_vol
	v_cmp_ne_u64_e32 vcc, v[10:11], v[12:13]
	s_and_saveexec_b64 s[12:13], vcc
	s_cbranch_execz .LBB1_258
; %bb.255:
	s_mov_b64 s[14:15], 0
.LBB1_256:                              ; =>This Inner Loop Header: Depth=1
	s_sleep 1
	global_load_dwordx2 v[1:2], v0, s[10:11] offset:40
	global_load_dwordx2 v[8:9], v0, s[10:11]
	v_mov_b32_e32 v13, v11
	v_mov_b32_e32 v12, v10
	s_waitcnt vmcnt(1)
	v_and_b32_e32 v1, v1, v12
	s_waitcnt vmcnt(0)
	v_mad_u64_u32 v[8:9], s[16:17], v1, 24, v[8:9]
	v_and_b32_e32 v2, v2, v13
	v_mov_b32_e32 v1, v9
	v_mad_u64_u32 v[1:2], s[16:17], v2, 24, v[1:2]
	v_mov_b32_e32 v9, v1
	global_load_dwordx2 v[10:11], v[8:9], off glc
	s_waitcnt vmcnt(0)
	global_atomic_cmpswap_x2 v[10:11], v0, v[10:13], s[10:11] offset:24 glc
	s_waitcnt vmcnt(0)
	buffer_wbinvl1_vol
	v_cmp_eq_u64_e32 vcc, v[10:11], v[12:13]
	s_or_b64 s[14:15], vcc, s[14:15]
	s_andn2_b64 exec, exec, s[14:15]
	s_cbranch_execnz .LBB1_256
; %bb.257:
	s_or_b64 exec, exec, s[14:15]
.LBB1_258:
	s_or_b64 exec, exec, s[12:13]
.LBB1_259:
	s_or_b64 exec, exec, s[6:7]
	v_mov_b32_e32 v9, 0
	global_load_dwordx2 v[12:13], v9, s[10:11] offset:40
	global_load_dwordx4 v[0:3], v9, s[10:11]
	v_readfirstlane_b32 s7, v11
	v_readfirstlane_b32 s6, v10
	s_mov_b64 s[12:13], exec
	s_waitcnt vmcnt(1)
	v_readfirstlane_b32 s14, v12
	v_readfirstlane_b32 s15, v13
	s_and_b64 s[14:15], s[14:15], s[6:7]
	s_mul_i32 s16, s15, 24
	s_mul_hi_u32 s17, s14, 24
	s_mul_i32 s18, s14, 24
	s_add_i32 s16, s17, s16
	v_mov_b32_e32 v8, s16
	s_waitcnt vmcnt(0)
	v_add_co_u32_e32 v10, vcc, s18, v0
	v_addc_co_u32_e32 v11, vcc, v1, v8, vcc
	s_and_saveexec_b64 s[16:17], s[4:5]
	s_cbranch_execz .LBB1_261
; %bb.260:
	v_mov_b32_e32 v12, s12
	v_mov_b32_e32 v13, s13
	v_mov_b32_e32 v14, 2
	v_mov_b32_e32 v15, 1
	global_store_dwordx4 v[10:11], v[12:15], off offset:8
.LBB1_261:
	s_or_b64 exec, exec, s[16:17]
	s_lshl_b64 s[12:13], s[14:15], 12
	v_mov_b32_e32 v8, s13
	v_add_co_u32_e32 v2, vcc, s12, v2
	v_addc_co_u32_e32 v3, vcc, v3, v8, vcc
	s_movk_i32 s12, 0xff1f
	v_and_or_b32 v6, v6, s12, 32
	s_mov_b32 s12, 0
	v_mov_b32_e32 v8, 0x331
	v_readfirstlane_b32 s16, v2
	v_readfirstlane_b32 s17, v3
	v_add_co_u32_e32 v12, vcc, v2, v35
	s_mov_b32 s13, s12
	s_mov_b32 s14, s12
	;; [unrolled: 1-line block ×3, first 2 shown]
	s_nop 0
	global_store_dwordx4 v35, v[6:9], s[16:17]
	v_addc_co_u32_e32 v13, vcc, 0, v3, vcc
	v_mov_b32_e32 v6, s12
	v_mov_b32_e32 v7, s13
	;; [unrolled: 1-line block ×4, first 2 shown]
	global_store_dwordx4 v35, v[6:9], s[16:17] offset:16
	global_store_dwordx4 v35, v[6:9], s[16:17] offset:32
	;; [unrolled: 1-line block ×3, first 2 shown]
	s_and_saveexec_b64 s[12:13], s[4:5]
	s_cbranch_execz .LBB1_269
; %bb.262:
	v_mov_b32_e32 v8, 0
	global_load_dwordx2 v[16:17], v8, s[10:11] offset:32 glc
	global_load_dwordx2 v[2:3], v8, s[10:11] offset:40
	v_mov_b32_e32 v14, s6
	v_mov_b32_e32 v15, s7
	s_waitcnt vmcnt(0)
	v_readfirstlane_b32 s14, v2
	v_readfirstlane_b32 s15, v3
	s_and_b64 s[14:15], s[14:15], s[6:7]
	s_mul_i32 s15, s15, 24
	s_mul_hi_u32 s16, s14, 24
	s_mul_i32 s14, s14, 24
	s_add_i32 s15, s16, s15
	v_mov_b32_e32 v2, s15
	v_add_co_u32_e32 v6, vcc, s14, v0
	v_addc_co_u32_e32 v7, vcc, v1, v2, vcc
	global_store_dwordx2 v[6:7], v[16:17], off
	s_waitcnt vmcnt(0)
	global_atomic_cmpswap_x2 v[2:3], v8, v[14:17], s[10:11] offset:32 glc
	s_waitcnt vmcnt(0)
	v_cmp_ne_u64_e32 vcc, v[2:3], v[16:17]
	s_and_saveexec_b64 s[14:15], vcc
	s_cbranch_execz .LBB1_265
; %bb.263:
	s_mov_b64 s[16:17], 0
.LBB1_264:                              ; =>This Inner Loop Header: Depth=1
	s_sleep 1
	global_store_dwordx2 v[6:7], v[2:3], off
	v_mov_b32_e32 v0, s6
	v_mov_b32_e32 v1, s7
	s_waitcnt vmcnt(0)
	global_atomic_cmpswap_x2 v[0:1], v8, v[0:3], s[10:11] offset:32 glc
	s_waitcnt vmcnt(0)
	v_cmp_eq_u64_e32 vcc, v[0:1], v[2:3]
	v_mov_b32_e32 v3, v1
	s_or_b64 s[16:17], vcc, s[16:17]
	v_mov_b32_e32 v2, v0
	s_andn2_b64 exec, exec, s[16:17]
	s_cbranch_execnz .LBB1_264
.LBB1_265:
	s_or_b64 exec, exec, s[14:15]
	v_mov_b32_e32 v3, 0
	global_load_dwordx2 v[0:1], v3, s[10:11] offset:16
	s_mov_b64 s[14:15], exec
	v_mbcnt_lo_u32_b32 v2, s14, 0
	v_mbcnt_hi_u32_b32 v2, s15, v2
	v_cmp_eq_u32_e32 vcc, 0, v2
	s_and_saveexec_b64 s[16:17], vcc
	s_cbranch_execz .LBB1_267
; %bb.266:
	s_bcnt1_i32_b64 s14, s[14:15]
	v_mov_b32_e32 v2, s14
	s_waitcnt vmcnt(0)
	global_atomic_add_x2 v[0:1], v[2:3], off offset:8
.LBB1_267:
	s_or_b64 exec, exec, s[16:17]
	s_waitcnt vmcnt(0)
	global_load_dwordx2 v[2:3], v[0:1], off offset:16
	s_waitcnt vmcnt(0)
	v_cmp_eq_u64_e32 vcc, 0, v[2:3]
	s_cbranch_vccnz .LBB1_269
; %bb.268:
	global_load_dword v0, v[0:1], off offset:24
	v_mov_b32_e32 v1, 0
	s_waitcnt vmcnt(0)
	v_readfirstlane_b32 s14, v0
	s_and_b32 m0, s14, 0xffffff
	global_store_dwordx2 v[2:3], v[0:1], off
	s_sendmsg sendmsg(MSG_INTERRUPT)
.LBB1_269:
	s_or_b64 exec, exec, s[12:13]
	s_branch .LBB1_273
.LBB1_270:                              ;   in Loop: Header=BB1_273 Depth=1
	s_or_b64 exec, exec, s[12:13]
	v_readfirstlane_b32 s12, v0
	s_cmp_eq_u32 s12, 0
	s_cbranch_scc1 .LBB1_272
; %bb.271:                              ;   in Loop: Header=BB1_273 Depth=1
	s_sleep 1
	s_cbranch_execnz .LBB1_273
	s_branch .LBB1_275
.LBB1_272:
	s_branch .LBB1_275
.LBB1_273:                              ; =>This Inner Loop Header: Depth=1
	v_mov_b32_e32 v0, 1
	s_and_saveexec_b64 s[12:13], s[4:5]
	s_cbranch_execz .LBB1_270
; %bb.274:                              ;   in Loop: Header=BB1_273 Depth=1
	global_load_dword v0, v[10:11], off offset:20 glc
	s_waitcnt vmcnt(0)
	buffer_wbinvl1_vol
	v_and_b32_e32 v0, 1, v0
	s_branch .LBB1_270
.LBB1_275:
	global_load_dwordx2 v[0:1], v[12:13], off
	s_and_saveexec_b64 s[12:13], s[4:5]
	s_cbranch_execz .LBB1_278
; %bb.276:
	v_mov_b32_e32 v10, 0
	global_load_dwordx2 v[2:3], v10, s[10:11] offset:40
	global_load_dwordx2 v[13:14], v10, s[10:11] offset:24 glc
	global_load_dwordx2 v[6:7], v10, s[10:11]
	s_waitcnt vmcnt(2)
	v_readfirstlane_b32 s14, v2
	v_readfirstlane_b32 s15, v3
	s_add_u32 s16, s14, 1
	s_addc_u32 s17, s15, 0
	s_add_u32 s4, s16, s6
	s_addc_u32 s5, s17, s7
	s_cmp_eq_u64 s[4:5], 0
	s_cselect_b32 s5, s17, s5
	s_cselect_b32 s4, s16, s4
	s_and_b64 s[6:7], s[4:5], s[14:15]
	s_mul_i32 s7, s7, 24
	s_mul_hi_u32 s14, s6, 24
	s_mul_i32 s6, s6, 24
	s_add_i32 s7, s14, s7
	v_mov_b32_e32 v3, s7
	s_waitcnt vmcnt(0)
	v_add_co_u32_e32 v2, vcc, s6, v6
	v_addc_co_u32_e32 v3, vcc, v7, v3, vcc
	v_mov_b32_e32 v11, s4
	global_store_dwordx2 v[2:3], v[13:14], off
	v_mov_b32_e32 v12, s5
	s_waitcnt vmcnt(0)
	global_atomic_cmpswap_x2 v[8:9], v10, v[11:14], s[10:11] offset:24 glc
	s_mov_b64 s[6:7], 0
	s_waitcnt vmcnt(0)
	v_cmp_ne_u64_e32 vcc, v[8:9], v[13:14]
	s_and_b64 exec, exec, vcc
	s_cbranch_execz .LBB1_278
.LBB1_277:                              ; =>This Inner Loop Header: Depth=1
	s_sleep 1
	global_store_dwordx2 v[2:3], v[8:9], off
	v_mov_b32_e32 v6, s4
	v_mov_b32_e32 v7, s5
	s_waitcnt vmcnt(0)
	global_atomic_cmpswap_x2 v[6:7], v10, v[6:9], s[10:11] offset:24 glc
	s_waitcnt vmcnt(0)
	v_cmp_eq_u64_e32 vcc, v[6:7], v[8:9]
	v_mov_b32_e32 v9, v7
	s_or_b64 s[6:7], vcc, s[6:7]
	v_mov_b32_e32 v8, v6
	s_andn2_b64 exec, exec, s[6:7]
	s_cbranch_execnz .LBB1_277
.LBB1_278:
	s_or_b64 exec, exec, s[12:13]
	v_mov_b32_e32 v7, v5
	s_mov_b64 s[4:5], 0
	v_mov_b32_e32 v6, v4
.LBB1_279:                              ; =>This Inner Loop Header: Depth=1
	global_load_ubyte v8, v[6:7], off
	v_add_co_u32_e32 v2, vcc, 1, v6
	v_addc_co_u32_e32 v3, vcc, 0, v7, vcc
	v_mov_b32_e32 v7, v3
	v_mov_b32_e32 v6, v2
	s_waitcnt vmcnt(0)
	v_cmp_eq_u16_e32 vcc, 0, v8
	s_or_b64 s[4:5], vcc, s[4:5]
	s_andn2_b64 exec, exec, s[4:5]
	s_cbranch_execnz .LBB1_279
; %bb.280:
	s_or_b64 exec, exec, s[4:5]
	v_cmp_ne_u64_e32 vcc, 0, v[4:5]
	s_mov_b64 s[12:13], 0
	s_and_saveexec_b64 s[4:5], vcc
	s_xor_b64 s[6:7], exec, s[4:5]
	s_cbranch_execz .LBB1_366
; %bb.281:
	v_sub_u32_e32 v26, v2, v4
	v_ashrrev_i32_e32 v27, 31, v26
	v_and_b32_e32 v36, 2, v0
	v_mov_b32_e32 v29, 0
	v_and_b32_e32 v0, -3, v0
	s_mov_b32 s22, 0
	s_movk_i32 s23, 0x1e0
	v_mov_b32_e32 v8, 2
	v_mov_b32_e32 v9, 1
	s_branch .LBB1_283
.LBB1_282:                              ;   in Loop: Header=BB1_283 Depth=1
	s_or_b64 exec, exec, s[16:17]
	v_sub_co_u32_e32 v26, vcc, v26, v30
	v_subb_co_u32_e32 v27, vcc, v27, v31, vcc
	v_cmp_eq_u64_e32 vcc, 0, v[26:27]
	s_or_b64 s[12:13], vcc, s[12:13]
	v_add_co_u32_e32 v4, vcc, v4, v30
	v_addc_co_u32_e32 v5, vcc, v5, v31, vcc
	s_andn2_b64 exec, exec, s[12:13]
	s_cbranch_execz .LBB1_365
.LBB1_283:                              ; =>This Loop Header: Depth=1
                                        ;     Child Loop BB1_286 Depth 2
                                        ;     Child Loop BB1_294 Depth 2
	;; [unrolled: 1-line block ×11, first 2 shown]
	v_cmp_gt_u64_e32 vcc, 56, v[26:27]
	v_add_co_u32_e64 v12, s[4:5], 8, v4
	v_cndmask_b32_e32 v31, 0, v27, vcc
	v_cndmask_b32_e32 v30, 56, v26, vcc
	v_cmp_gt_u64_e32 vcc, 8, v[26:27]
	v_addc_co_u32_e64 v13, s[4:5], 0, v5, s[4:5]
	s_and_saveexec_b64 s[4:5], vcc
	s_xor_b64 s[4:5], exec, s[4:5]
	s_cbranch_execz .LBB1_289
; %bb.284:                              ;   in Loop: Header=BB1_283 Depth=1
	v_mov_b32_e32 v2, 0
	v_cmp_ne_u64_e32 vcc, 0, v[26:27]
	v_mov_b32_e32 v3, 0
	s_and_saveexec_b64 s[14:15], vcc
	s_cbranch_execz .LBB1_288
; %bb.285:                              ;   in Loop: Header=BB1_283 Depth=1
	v_lshlrev_b64 v[6:7], 3, v[30:31]
	v_mov_b32_e32 v2, 0
	v_mov_b32_e32 v11, v5
	s_mov_b64 s[16:17], 0
	v_mov_b32_e32 v3, 0
	v_mov_b32_e32 v10, v4
	s_mov_b64 s[18:19], 0
.LBB1_286:                              ;   Parent Loop BB1_283 Depth=1
                                        ; =>  This Inner Loop Header: Depth=2
	global_load_ubyte v7, v[10:11], off
	v_mov_b32_e32 v13, s22
	v_add_co_u32_e32 v10, vcc, 1, v10
	v_addc_co_u32_e32 v11, vcc, 0, v11, vcc
	s_waitcnt vmcnt(0)
	v_and_b32_e32 v12, 0xffff, v7
	v_lshlrev_b64 v[12:13], s18, v[12:13]
	s_add_u32 s18, s18, 8
	s_addc_u32 s19, s19, 0
	v_cmp_eq_u32_e32 vcc, s18, v6
	v_or_b32_e32 v3, v13, v3
	s_or_b64 s[16:17], vcc, s[16:17]
	v_or_b32_e32 v2, v12, v2
	s_andn2_b64 exec, exec, s[16:17]
	s_cbranch_execnz .LBB1_286
; %bb.287:                              ;   in Loop: Header=BB1_283 Depth=1
	s_or_b64 exec, exec, s[16:17]
.LBB1_288:                              ;   in Loop: Header=BB1_283 Depth=1
	s_or_b64 exec, exec, s[14:15]
	v_mov_b32_e32 v13, v5
	v_mov_b32_e32 v12, v4
.LBB1_289:                              ;   in Loop: Header=BB1_283 Depth=1
	s_or_saveexec_b64 s[4:5], s[4:5]
	v_mov_b32_e32 v14, 0
	s_xor_b64 exec, exec, s[4:5]
	s_cbranch_execz .LBB1_291
; %bb.290:                              ;   in Loop: Header=BB1_283 Depth=1
	global_load_dwordx2 v[2:3], v[4:5], off
	v_add_u32_e32 v14, -8, v30
.LBB1_291:                              ;   in Loop: Header=BB1_283 Depth=1
	s_or_b64 exec, exec, s[4:5]
	v_add_co_u32_e64 v6, s[4:5], 8, v12
	v_cmp_gt_u32_e32 vcc, 8, v14
	v_addc_co_u32_e64 v7, s[4:5], 0, v13, s[4:5]
                                        ; implicit-def: $vgpr10_vgpr11
	s_and_saveexec_b64 s[4:5], vcc
	s_xor_b64 s[4:5], exec, s[4:5]
	s_cbranch_execz .LBB1_297
; %bb.292:                              ;   in Loop: Header=BB1_283 Depth=1
	v_mov_b32_e32 v10, 0
	v_mov_b32_e32 v11, 0
	v_cmp_ne_u32_e32 vcc, 0, v14
	s_and_saveexec_b64 s[14:15], vcc
	s_cbranch_execz .LBB1_296
; %bb.293:                              ;   in Loop: Header=BB1_283 Depth=1
	v_mov_b32_e32 v10, 0
	s_mov_b64 s[16:17], 0
	v_mov_b32_e32 v11, 0
	s_mov_b64 s[18:19], 0
	s_mov_b64 s[20:21], 0
.LBB1_294:                              ;   Parent Loop BB1_283 Depth=1
                                        ; =>  This Inner Loop Header: Depth=2
	v_mov_b32_e32 v7, s21
	v_add_co_u32_e32 v6, vcc, s20, v12
	v_addc_co_u32_e32 v7, vcc, v13, v7, vcc
	global_load_ubyte v6, v[6:7], off
	s_add_u32 s20, s20, 1
	v_mov_b32_e32 v7, s22
	s_addc_u32 s21, s21, 0
	v_cmp_eq_u32_e32 vcc, s20, v14
	s_waitcnt vmcnt(0)
	v_and_b32_e32 v6, 0xffff, v6
	v_lshlrev_b64 v[6:7], s18, v[6:7]
	s_add_u32 s18, s18, 8
	s_addc_u32 s19, s19, 0
	v_or_b32_e32 v11, v7, v11
	s_or_b64 s[16:17], vcc, s[16:17]
	v_or_b32_e32 v10, v6, v10
	s_andn2_b64 exec, exec, s[16:17]
	s_cbranch_execnz .LBB1_294
; %bb.295:                              ;   in Loop: Header=BB1_283 Depth=1
	s_or_b64 exec, exec, s[16:17]
.LBB1_296:                              ;   in Loop: Header=BB1_283 Depth=1
	s_or_b64 exec, exec, s[14:15]
	v_mov_b32_e32 v6, v12
	v_mov_b32_e32 v7, v13
                                        ; implicit-def: $vgpr14
.LBB1_297:                              ;   in Loop: Header=BB1_283 Depth=1
	s_or_saveexec_b64 s[4:5], s[4:5]
	v_mov_b32_e32 v15, 0
	s_xor_b64 exec, exec, s[4:5]
	s_cbranch_execz .LBB1_299
; %bb.298:                              ;   in Loop: Header=BB1_283 Depth=1
	global_load_dwordx2 v[10:11], v[12:13], off
	v_add_u32_e32 v15, -8, v14
.LBB1_299:                              ;   in Loop: Header=BB1_283 Depth=1
	s_or_b64 exec, exec, s[4:5]
	v_add_co_u32_e64 v16, s[4:5], 8, v6
	v_cmp_gt_u32_e32 vcc, 8, v15
	v_addc_co_u32_e64 v17, s[4:5], 0, v7, s[4:5]
	s_and_saveexec_b64 s[4:5], vcc
	s_xor_b64 s[4:5], exec, s[4:5]
	s_cbranch_execz .LBB1_305
; %bb.300:                              ;   in Loop: Header=BB1_283 Depth=1
	v_mov_b32_e32 v12, 0
	v_mov_b32_e32 v13, 0
	v_cmp_ne_u32_e32 vcc, 0, v15
	s_and_saveexec_b64 s[14:15], vcc
	s_cbranch_execz .LBB1_304
; %bb.301:                              ;   in Loop: Header=BB1_283 Depth=1
	v_mov_b32_e32 v12, 0
	s_mov_b64 s[16:17], 0
	v_mov_b32_e32 v13, 0
	s_mov_b64 s[18:19], 0
	s_mov_b64 s[20:21], 0
.LBB1_302:                              ;   Parent Loop BB1_283 Depth=1
                                        ; =>  This Inner Loop Header: Depth=2
	v_mov_b32_e32 v14, s21
	v_add_co_u32_e32 v16, vcc, s20, v6
	v_addc_co_u32_e32 v17, vcc, v7, v14, vcc
	global_load_ubyte v14, v[16:17], off
	s_add_u32 s20, s20, 1
	v_mov_b32_e32 v17, s22
	s_addc_u32 s21, s21, 0
	v_cmp_eq_u32_e32 vcc, s20, v15
	s_waitcnt vmcnt(0)
	v_and_b32_e32 v16, 0xffff, v14
	v_lshlrev_b64 v[16:17], s18, v[16:17]
	s_add_u32 s18, s18, 8
	s_addc_u32 s19, s19, 0
	v_or_b32_e32 v13, v17, v13
	s_or_b64 s[16:17], vcc, s[16:17]
	v_or_b32_e32 v12, v16, v12
	s_andn2_b64 exec, exec, s[16:17]
	s_cbranch_execnz .LBB1_302
; %bb.303:                              ;   in Loop: Header=BB1_283 Depth=1
	s_or_b64 exec, exec, s[16:17]
.LBB1_304:                              ;   in Loop: Header=BB1_283 Depth=1
	s_or_b64 exec, exec, s[14:15]
	v_mov_b32_e32 v17, v7
	v_mov_b32_e32 v16, v6
                                        ; implicit-def: $vgpr15
.LBB1_305:                              ;   in Loop: Header=BB1_283 Depth=1
	s_or_saveexec_b64 s[4:5], s[4:5]
	v_mov_b32_e32 v18, 0
	s_xor_b64 exec, exec, s[4:5]
	s_cbranch_execz .LBB1_307
; %bb.306:                              ;   in Loop: Header=BB1_283 Depth=1
	global_load_dwordx2 v[12:13], v[6:7], off
	v_add_u32_e32 v18, -8, v15
.LBB1_307:                              ;   in Loop: Header=BB1_283 Depth=1
	s_or_b64 exec, exec, s[4:5]
	v_add_co_u32_e64 v6, s[4:5], 8, v16
	v_cmp_gt_u32_e32 vcc, 8, v18
	v_addc_co_u32_e64 v7, s[4:5], 0, v17, s[4:5]
                                        ; implicit-def: $vgpr14_vgpr15
	s_and_saveexec_b64 s[4:5], vcc
	s_xor_b64 s[4:5], exec, s[4:5]
	s_cbranch_execz .LBB1_313
; %bb.308:                              ;   in Loop: Header=BB1_283 Depth=1
	v_mov_b32_e32 v14, 0
	v_mov_b32_e32 v15, 0
	v_cmp_ne_u32_e32 vcc, 0, v18
	s_and_saveexec_b64 s[14:15], vcc
	s_cbranch_execz .LBB1_312
; %bb.309:                              ;   in Loop: Header=BB1_283 Depth=1
	v_mov_b32_e32 v14, 0
	s_mov_b64 s[16:17], 0
	v_mov_b32_e32 v15, 0
	s_mov_b64 s[18:19], 0
	s_mov_b64 s[20:21], 0
.LBB1_310:                              ;   Parent Loop BB1_283 Depth=1
                                        ; =>  This Inner Loop Header: Depth=2
	v_mov_b32_e32 v7, s21
	v_add_co_u32_e32 v6, vcc, s20, v16
	v_addc_co_u32_e32 v7, vcc, v17, v7, vcc
	global_load_ubyte v6, v[6:7], off
	s_add_u32 s20, s20, 1
	v_mov_b32_e32 v7, s22
	s_addc_u32 s21, s21, 0
	v_cmp_eq_u32_e32 vcc, s20, v18
	s_waitcnt vmcnt(0)
	v_and_b32_e32 v6, 0xffff, v6
	v_lshlrev_b64 v[6:7], s18, v[6:7]
	s_add_u32 s18, s18, 8
	s_addc_u32 s19, s19, 0
	v_or_b32_e32 v15, v7, v15
	s_or_b64 s[16:17], vcc, s[16:17]
	v_or_b32_e32 v14, v6, v14
	s_andn2_b64 exec, exec, s[16:17]
	s_cbranch_execnz .LBB1_310
; %bb.311:                              ;   in Loop: Header=BB1_283 Depth=1
	s_or_b64 exec, exec, s[16:17]
.LBB1_312:                              ;   in Loop: Header=BB1_283 Depth=1
	s_or_b64 exec, exec, s[14:15]
	v_mov_b32_e32 v6, v16
	v_mov_b32_e32 v7, v17
                                        ; implicit-def: $vgpr18
.LBB1_313:                              ;   in Loop: Header=BB1_283 Depth=1
	s_or_saveexec_b64 s[4:5], s[4:5]
	v_mov_b32_e32 v19, 0
	s_xor_b64 exec, exec, s[4:5]
	s_cbranch_execz .LBB1_315
; %bb.314:                              ;   in Loop: Header=BB1_283 Depth=1
	global_load_dwordx2 v[14:15], v[16:17], off
	v_add_u32_e32 v19, -8, v18
.LBB1_315:                              ;   in Loop: Header=BB1_283 Depth=1
	s_or_b64 exec, exec, s[4:5]
	v_add_co_u32_e64 v20, s[4:5], 8, v6
	v_cmp_gt_u32_e32 vcc, 8, v19
	v_addc_co_u32_e64 v21, s[4:5], 0, v7, s[4:5]
	s_and_saveexec_b64 s[4:5], vcc
	s_xor_b64 s[4:5], exec, s[4:5]
	s_cbranch_execz .LBB1_321
; %bb.316:                              ;   in Loop: Header=BB1_283 Depth=1
	v_mov_b32_e32 v16, 0
	v_mov_b32_e32 v17, 0
	v_cmp_ne_u32_e32 vcc, 0, v19
	s_and_saveexec_b64 s[14:15], vcc
	s_cbranch_execz .LBB1_320
; %bb.317:                              ;   in Loop: Header=BB1_283 Depth=1
	v_mov_b32_e32 v16, 0
	s_mov_b64 s[16:17], 0
	v_mov_b32_e32 v17, 0
	s_mov_b64 s[18:19], 0
	s_mov_b64 s[20:21], 0
.LBB1_318:                              ;   Parent Loop BB1_283 Depth=1
                                        ; =>  This Inner Loop Header: Depth=2
	v_mov_b32_e32 v18, s21
	v_add_co_u32_e32 v20, vcc, s20, v6
	v_addc_co_u32_e32 v21, vcc, v7, v18, vcc
	global_load_ubyte v18, v[20:21], off
	s_add_u32 s20, s20, 1
	v_mov_b32_e32 v21, s22
	s_addc_u32 s21, s21, 0
	v_cmp_eq_u32_e32 vcc, s20, v19
	s_waitcnt vmcnt(0)
	v_and_b32_e32 v20, 0xffff, v18
	v_lshlrev_b64 v[20:21], s18, v[20:21]
	s_add_u32 s18, s18, 8
	s_addc_u32 s19, s19, 0
	v_or_b32_e32 v17, v21, v17
	s_or_b64 s[16:17], vcc, s[16:17]
	v_or_b32_e32 v16, v20, v16
	s_andn2_b64 exec, exec, s[16:17]
	s_cbranch_execnz .LBB1_318
; %bb.319:                              ;   in Loop: Header=BB1_283 Depth=1
	s_or_b64 exec, exec, s[16:17]
.LBB1_320:                              ;   in Loop: Header=BB1_283 Depth=1
	s_or_b64 exec, exec, s[14:15]
	v_mov_b32_e32 v21, v7
	v_mov_b32_e32 v20, v6
                                        ; implicit-def: $vgpr19
.LBB1_321:                              ;   in Loop: Header=BB1_283 Depth=1
	s_or_saveexec_b64 s[4:5], s[4:5]
	v_mov_b32_e32 v22, 0
	s_xor_b64 exec, exec, s[4:5]
	s_cbranch_execz .LBB1_323
; %bb.322:                              ;   in Loop: Header=BB1_283 Depth=1
	global_load_dwordx2 v[16:17], v[6:7], off
	v_add_u32_e32 v22, -8, v19
.LBB1_323:                              ;   in Loop: Header=BB1_283 Depth=1
	s_or_b64 exec, exec, s[4:5]
	v_add_co_u32_e64 v6, s[4:5], 8, v20
	v_cmp_gt_u32_e32 vcc, 8, v22
	v_addc_co_u32_e64 v7, s[4:5], 0, v21, s[4:5]
                                        ; implicit-def: $vgpr18_vgpr19
	s_and_saveexec_b64 s[4:5], vcc
	s_xor_b64 s[4:5], exec, s[4:5]
	s_cbranch_execz .LBB1_329
; %bb.324:                              ;   in Loop: Header=BB1_283 Depth=1
	v_mov_b32_e32 v18, 0
	v_mov_b32_e32 v19, 0
	v_cmp_ne_u32_e32 vcc, 0, v22
	s_and_saveexec_b64 s[14:15], vcc
	s_cbranch_execz .LBB1_328
; %bb.325:                              ;   in Loop: Header=BB1_283 Depth=1
	v_mov_b32_e32 v18, 0
	s_mov_b64 s[16:17], 0
	v_mov_b32_e32 v19, 0
	s_mov_b64 s[18:19], 0
	s_mov_b64 s[20:21], 0
.LBB1_326:                              ;   Parent Loop BB1_283 Depth=1
                                        ; =>  This Inner Loop Header: Depth=2
	v_mov_b32_e32 v7, s21
	v_add_co_u32_e32 v6, vcc, s20, v20
	v_addc_co_u32_e32 v7, vcc, v21, v7, vcc
	global_load_ubyte v6, v[6:7], off
	s_add_u32 s20, s20, 1
	v_mov_b32_e32 v7, s22
	s_addc_u32 s21, s21, 0
	v_cmp_eq_u32_e32 vcc, s20, v22
	s_waitcnt vmcnt(0)
	v_and_b32_e32 v6, 0xffff, v6
	v_lshlrev_b64 v[6:7], s18, v[6:7]
	s_add_u32 s18, s18, 8
	s_addc_u32 s19, s19, 0
	v_or_b32_e32 v19, v7, v19
	s_or_b64 s[16:17], vcc, s[16:17]
	v_or_b32_e32 v18, v6, v18
	s_andn2_b64 exec, exec, s[16:17]
	s_cbranch_execnz .LBB1_326
; %bb.327:                              ;   in Loop: Header=BB1_283 Depth=1
	s_or_b64 exec, exec, s[16:17]
.LBB1_328:                              ;   in Loop: Header=BB1_283 Depth=1
	s_or_b64 exec, exec, s[14:15]
	v_mov_b32_e32 v6, v20
	v_mov_b32_e32 v7, v21
                                        ; implicit-def: $vgpr22
.LBB1_329:                              ;   in Loop: Header=BB1_283 Depth=1
	s_or_saveexec_b64 s[4:5], s[4:5]
	v_mov_b32_e32 v23, 0
	s_xor_b64 exec, exec, s[4:5]
	s_cbranch_execz .LBB1_331
; %bb.330:                              ;   in Loop: Header=BB1_283 Depth=1
	global_load_dwordx2 v[18:19], v[20:21], off
	v_add_u32_e32 v23, -8, v22
.LBB1_331:                              ;   in Loop: Header=BB1_283 Depth=1
	s_or_b64 exec, exec, s[4:5]
	v_cmp_gt_u32_e32 vcc, 8, v23
	s_and_saveexec_b64 s[4:5], vcc
	s_xor_b64 s[4:5], exec, s[4:5]
	s_cbranch_execz .LBB1_337
; %bb.332:                              ;   in Loop: Header=BB1_283 Depth=1
	v_mov_b32_e32 v20, 0
	v_mov_b32_e32 v21, 0
	v_cmp_ne_u32_e32 vcc, 0, v23
	s_and_saveexec_b64 s[14:15], vcc
	s_cbranch_execz .LBB1_336
; %bb.333:                              ;   in Loop: Header=BB1_283 Depth=1
	v_mov_b32_e32 v20, 0
	s_mov_b64 s[16:17], 0
	v_mov_b32_e32 v21, 0
	s_mov_b64 s[18:19], 0
.LBB1_334:                              ;   Parent Loop BB1_283 Depth=1
                                        ; =>  This Inner Loop Header: Depth=2
	global_load_ubyte v22, v[6:7], off
	v_mov_b32_e32 v25, s22
	v_add_co_u32_e32 v6, vcc, 1, v6
	v_add_u32_e32 v23, -1, v23
	v_addc_co_u32_e32 v7, vcc, 0, v7, vcc
	v_cmp_eq_u32_e32 vcc, 0, v23
	s_waitcnt vmcnt(0)
	v_and_b32_e32 v24, 0xffff, v22
	v_lshlrev_b64 v[24:25], s18, v[24:25]
	s_add_u32 s18, s18, 8
	s_addc_u32 s19, s19, 0
	v_or_b32_e32 v21, v25, v21
	s_or_b64 s[16:17], vcc, s[16:17]
	v_or_b32_e32 v20, v24, v20
	s_andn2_b64 exec, exec, s[16:17]
	s_cbranch_execnz .LBB1_334
; %bb.335:                              ;   in Loop: Header=BB1_283 Depth=1
	s_or_b64 exec, exec, s[16:17]
.LBB1_336:                              ;   in Loop: Header=BB1_283 Depth=1
	s_or_b64 exec, exec, s[14:15]
                                        ; implicit-def: $vgpr6_vgpr7
.LBB1_337:                              ;   in Loop: Header=BB1_283 Depth=1
	s_andn2_saveexec_b64 s[4:5], s[4:5]
	s_cbranch_execz .LBB1_339
; %bb.338:                              ;   in Loop: Header=BB1_283 Depth=1
	global_load_dwordx2 v[20:21], v[6:7], off
.LBB1_339:                              ;   in Loop: Header=BB1_283 Depth=1
	s_or_b64 exec, exec, s[4:5]
	v_readfirstlane_b32 s4, v34
	v_mov_b32_e32 v6, 0
	v_mov_b32_e32 v7, 0
	v_cmp_eq_u32_e64 s[4:5], s4, v34
	s_and_saveexec_b64 s[14:15], s[4:5]
	s_cbranch_execz .LBB1_345
; %bb.340:                              ;   in Loop: Header=BB1_283 Depth=1
	global_load_dwordx2 v[24:25], v29, s[10:11] offset:24 glc
	s_waitcnt vmcnt(0)
	buffer_wbinvl1_vol
	global_load_dwordx2 v[6:7], v29, s[10:11] offset:40
	global_load_dwordx2 v[22:23], v29, s[10:11]
	s_waitcnt vmcnt(1)
	v_and_b32_e32 v6, v6, v24
	v_and_b32_e32 v7, v7, v25
	v_mul_lo_u32 v7, v7, 24
	v_mul_hi_u32 v28, v6, 24
	v_mul_lo_u32 v6, v6, 24
	v_add_u32_e32 v7, v28, v7
	s_waitcnt vmcnt(0)
	v_add_co_u32_e32 v6, vcc, v22, v6
	v_addc_co_u32_e32 v7, vcc, v23, v7, vcc
	global_load_dwordx2 v[22:23], v[6:7], off glc
	s_waitcnt vmcnt(0)
	global_atomic_cmpswap_x2 v[6:7], v29, v[22:25], s[10:11] offset:24 glc
	s_waitcnt vmcnt(0)
	buffer_wbinvl1_vol
	v_cmp_ne_u64_e32 vcc, v[6:7], v[24:25]
	s_and_saveexec_b64 s[16:17], vcc
	s_cbranch_execz .LBB1_344
; %bb.341:                              ;   in Loop: Header=BB1_283 Depth=1
	s_mov_b64 s[18:19], 0
.LBB1_342:                              ;   Parent Loop BB1_283 Depth=1
                                        ; =>  This Inner Loop Header: Depth=2
	s_sleep 1
	global_load_dwordx2 v[22:23], v29, s[10:11] offset:40
	global_load_dwordx2 v[32:33], v29, s[10:11]
	v_mov_b32_e32 v25, v7
	v_mov_b32_e32 v24, v6
	s_waitcnt vmcnt(1)
	v_and_b32_e32 v6, v22, v24
	s_waitcnt vmcnt(0)
	v_mad_u64_u32 v[6:7], s[20:21], v6, 24, v[32:33]
	v_and_b32_e32 v22, v23, v25
	v_mad_u64_u32 v[22:23], s[20:21], v22, 24, v[7:8]
	v_mov_b32_e32 v7, v22
	global_load_dwordx2 v[22:23], v[6:7], off glc
	s_waitcnt vmcnt(0)
	global_atomic_cmpswap_x2 v[6:7], v29, v[22:25], s[10:11] offset:24 glc
	s_waitcnt vmcnt(0)
	buffer_wbinvl1_vol
	v_cmp_eq_u64_e32 vcc, v[6:7], v[24:25]
	s_or_b64 s[18:19], vcc, s[18:19]
	s_andn2_b64 exec, exec, s[18:19]
	s_cbranch_execnz .LBB1_342
; %bb.343:                              ;   in Loop: Header=BB1_283 Depth=1
	s_or_b64 exec, exec, s[18:19]
.LBB1_344:                              ;   in Loop: Header=BB1_283 Depth=1
	s_or_b64 exec, exec, s[16:17]
.LBB1_345:                              ;   in Loop: Header=BB1_283 Depth=1
	s_or_b64 exec, exec, s[14:15]
	global_load_dwordx2 v[32:33], v29, s[10:11] offset:40
	global_load_dwordx4 v[22:25], v29, s[10:11]
	v_readfirstlane_b32 s15, v7
	v_readfirstlane_b32 s14, v6
	s_mov_b64 s[16:17], exec
	s_waitcnt vmcnt(1)
	v_readfirstlane_b32 s18, v32
	v_readfirstlane_b32 s19, v33
	s_and_b64 s[18:19], s[18:19], s[14:15]
	s_mul_i32 s20, s19, 24
	s_mul_hi_u32 s21, s18, 24
	s_mul_i32 s24, s18, 24
	s_add_i32 s20, s21, s20
	v_mov_b32_e32 v6, s20
	s_waitcnt vmcnt(0)
	v_add_co_u32_e32 v32, vcc, s24, v22
	v_addc_co_u32_e32 v33, vcc, v23, v6, vcc
	s_and_saveexec_b64 s[20:21], s[4:5]
	s_cbranch_execz .LBB1_347
; %bb.346:                              ;   in Loop: Header=BB1_283 Depth=1
	v_mov_b32_e32 v6, s16
	v_mov_b32_e32 v7, s17
	global_store_dwordx4 v[32:33], v[6:9], off offset:8
.LBB1_347:                              ;   in Loop: Header=BB1_283 Depth=1
	s_or_b64 exec, exec, s[20:21]
	s_lshl_b64 s[16:17], s[18:19], 12
	v_mov_b32_e32 v6, s17
	v_add_co_u32_e32 v24, vcc, s16, v24
	v_addc_co_u32_e32 v25, vcc, v25, v6, vcc
	v_cmp_gt_u64_e32 vcc, 57, v[26:27]
	v_and_b32_e32 v0, 0xffffff1f, v0
	v_cndmask_b32_e32 v6, 0, v36, vcc
	v_lshl_add_u32 v7, v30, 2, 28
	v_or_b32_e32 v0, v0, v6
	v_and_or_b32 v0, v7, s23, v0
	v_readfirstlane_b32 s16, v24
	v_readfirstlane_b32 s17, v25
	s_nop 4
	global_store_dwordx4 v35, v[0:3], s[16:17]
	global_store_dwordx4 v35, v[10:13], s[16:17] offset:16
	global_store_dwordx4 v35, v[14:17], s[16:17] offset:32
	;; [unrolled: 1-line block ×3, first 2 shown]
	s_and_saveexec_b64 s[16:17], s[4:5]
	s_cbranch_execz .LBB1_355
; %bb.348:                              ;   in Loop: Header=BB1_283 Depth=1
	global_load_dwordx2 v[12:13], v29, s[10:11] offset:32 glc
	global_load_dwordx2 v[0:1], v29, s[10:11] offset:40
	v_mov_b32_e32 v10, s14
	v_mov_b32_e32 v11, s15
	s_waitcnt vmcnt(0)
	v_readfirstlane_b32 s18, v0
	v_readfirstlane_b32 s19, v1
	s_and_b64 s[18:19], s[18:19], s[14:15]
	s_mul_i32 s19, s19, 24
	s_mul_hi_u32 s20, s18, 24
	s_mul_i32 s18, s18, 24
	s_add_i32 s19, s20, s19
	v_mov_b32_e32 v0, s19
	v_add_co_u32_e32 v6, vcc, s18, v22
	v_addc_co_u32_e32 v7, vcc, v23, v0, vcc
	global_store_dwordx2 v[6:7], v[12:13], off
	s_waitcnt vmcnt(0)
	global_atomic_cmpswap_x2 v[2:3], v29, v[10:13], s[10:11] offset:32 glc
	s_waitcnt vmcnt(0)
	v_cmp_ne_u64_e32 vcc, v[2:3], v[12:13]
	s_and_saveexec_b64 s[18:19], vcc
	s_cbranch_execz .LBB1_351
; %bb.349:                              ;   in Loop: Header=BB1_283 Depth=1
	s_mov_b64 s[20:21], 0
.LBB1_350:                              ;   Parent Loop BB1_283 Depth=1
                                        ; =>  This Inner Loop Header: Depth=2
	s_sleep 1
	global_store_dwordx2 v[6:7], v[2:3], off
	v_mov_b32_e32 v0, s14
	v_mov_b32_e32 v1, s15
	s_waitcnt vmcnt(0)
	global_atomic_cmpswap_x2 v[0:1], v29, v[0:3], s[10:11] offset:32 glc
	s_waitcnt vmcnt(0)
	v_cmp_eq_u64_e32 vcc, v[0:1], v[2:3]
	v_mov_b32_e32 v3, v1
	s_or_b64 s[20:21], vcc, s[20:21]
	v_mov_b32_e32 v2, v0
	s_andn2_b64 exec, exec, s[20:21]
	s_cbranch_execnz .LBB1_350
.LBB1_351:                              ;   in Loop: Header=BB1_283 Depth=1
	s_or_b64 exec, exec, s[18:19]
	global_load_dwordx2 v[0:1], v29, s[10:11] offset:16
	s_mov_b64 s[20:21], exec
	v_mbcnt_lo_u32_b32 v2, s20, 0
	v_mbcnt_hi_u32_b32 v2, s21, v2
	v_cmp_eq_u32_e32 vcc, 0, v2
	s_and_saveexec_b64 s[18:19], vcc
	s_cbranch_execz .LBB1_353
; %bb.352:                              ;   in Loop: Header=BB1_283 Depth=1
	s_bcnt1_i32_b64 s20, s[20:21]
	v_mov_b32_e32 v28, s20
	s_waitcnt vmcnt(0)
	global_atomic_add_x2 v[0:1], v[28:29], off offset:8
.LBB1_353:                              ;   in Loop: Header=BB1_283 Depth=1
	s_or_b64 exec, exec, s[18:19]
	s_waitcnt vmcnt(0)
	global_load_dwordx2 v[2:3], v[0:1], off offset:16
	s_waitcnt vmcnt(0)
	v_cmp_eq_u64_e32 vcc, 0, v[2:3]
	s_cbranch_vccnz .LBB1_355
; %bb.354:                              ;   in Loop: Header=BB1_283 Depth=1
	global_load_dword v28, v[0:1], off offset:24
	s_waitcnt vmcnt(0)
	v_readfirstlane_b32 s18, v28
	s_and_b32 m0, s18, 0xffffff
	global_store_dwordx2 v[2:3], v[28:29], off
	s_sendmsg sendmsg(MSG_INTERRUPT)
.LBB1_355:                              ;   in Loop: Header=BB1_283 Depth=1
	s_or_b64 exec, exec, s[16:17]
	v_add_co_u32_e32 v0, vcc, v24, v35
	v_addc_co_u32_e32 v1, vcc, 0, v25, vcc
	s_branch .LBB1_359
.LBB1_356:                              ;   in Loop: Header=BB1_359 Depth=2
	s_or_b64 exec, exec, s[16:17]
	v_readfirstlane_b32 s16, v2
	s_cmp_eq_u32 s16, 0
	s_cbranch_scc1 .LBB1_358
; %bb.357:                              ;   in Loop: Header=BB1_359 Depth=2
	s_sleep 1
	s_cbranch_execnz .LBB1_359
	s_branch .LBB1_361
.LBB1_358:                              ;   in Loop: Header=BB1_283 Depth=1
	s_branch .LBB1_361
.LBB1_359:                              ;   Parent Loop BB1_283 Depth=1
                                        ; =>  This Inner Loop Header: Depth=2
	v_mov_b32_e32 v2, 1
	s_and_saveexec_b64 s[16:17], s[4:5]
	s_cbranch_execz .LBB1_356
; %bb.360:                              ;   in Loop: Header=BB1_359 Depth=2
	global_load_dword v2, v[32:33], off offset:20 glc
	s_waitcnt vmcnt(0)
	buffer_wbinvl1_vol
	v_and_b32_e32 v2, 1, v2
	s_branch .LBB1_356
.LBB1_361:                              ;   in Loop: Header=BB1_283 Depth=1
	global_load_dwordx2 v[0:1], v[0:1], off
	s_and_saveexec_b64 s[16:17], s[4:5]
	s_cbranch_execz .LBB1_282
; %bb.362:                              ;   in Loop: Header=BB1_283 Depth=1
	global_load_dwordx2 v[2:3], v29, s[10:11] offset:40
	global_load_dwordx2 v[14:15], v29, s[10:11] offset:24 glc
	global_load_dwordx2 v[6:7], v29, s[10:11]
	s_waitcnt vmcnt(2)
	v_readfirstlane_b32 s18, v2
	v_readfirstlane_b32 s19, v3
	s_add_u32 s20, s18, 1
	s_addc_u32 s21, s19, 0
	s_add_u32 s4, s20, s14
	s_addc_u32 s5, s21, s15
	s_cmp_eq_u64 s[4:5], 0
	s_cselect_b32 s5, s21, s5
	s_cselect_b32 s4, s20, s4
	s_and_b64 s[14:15], s[4:5], s[18:19]
	s_mul_i32 s15, s15, 24
	s_mul_hi_u32 s18, s14, 24
	s_mul_i32 s14, s14, 24
	s_add_i32 s15, s18, s15
	v_mov_b32_e32 v3, s15
	s_waitcnt vmcnt(0)
	v_add_co_u32_e32 v2, vcc, s14, v6
	v_addc_co_u32_e32 v3, vcc, v7, v3, vcc
	v_mov_b32_e32 v12, s4
	global_store_dwordx2 v[2:3], v[14:15], off
	v_mov_b32_e32 v13, s5
	s_waitcnt vmcnt(0)
	global_atomic_cmpswap_x2 v[12:13], v29, v[12:15], s[10:11] offset:24 glc
	s_waitcnt vmcnt(0)
	v_cmp_ne_u64_e32 vcc, v[12:13], v[14:15]
	s_and_b64 exec, exec, vcc
	s_cbranch_execz .LBB1_282
; %bb.363:                              ;   in Loop: Header=BB1_283 Depth=1
	s_mov_b64 s[14:15], 0
.LBB1_364:                              ;   Parent Loop BB1_283 Depth=1
                                        ; =>  This Inner Loop Header: Depth=2
	s_sleep 1
	global_store_dwordx2 v[2:3], v[12:13], off
	v_mov_b32_e32 v10, s4
	v_mov_b32_e32 v11, s5
	s_waitcnt vmcnt(0)
	global_atomic_cmpswap_x2 v[6:7], v29, v[10:13], s[10:11] offset:24 glc
	s_waitcnt vmcnt(0)
	v_cmp_eq_u64_e32 vcc, v[6:7], v[12:13]
	v_mov_b32_e32 v13, v7
	s_or_b64 s[14:15], vcc, s[14:15]
	v_mov_b32_e32 v12, v6
	s_andn2_b64 exec, exec, s[14:15]
	s_cbranch_execnz .LBB1_364
	s_branch .LBB1_282
.LBB1_365:
	s_or_b64 exec, exec, s[12:13]
                                        ; implicit-def: $vgpr35
                                        ; implicit-def: $vgpr34
.LBB1_366:
	s_andn2_saveexec_b64 s[6:7], s[6:7]
	s_cbranch_execz .LBB1_393
; %bb.367:
	v_readfirstlane_b32 s4, v34
	v_mov_b32_e32 v8, 0
	v_mov_b32_e32 v9, 0
	v_cmp_eq_u32_e64 s[4:5], s4, v34
	s_and_saveexec_b64 s[12:13], s[4:5]
	s_cbranch_execz .LBB1_373
; %bb.368:
	v_mov_b32_e32 v2, 0
	global_load_dwordx2 v[5:6], v2, s[10:11] offset:24 glc
	s_waitcnt vmcnt(0)
	buffer_wbinvl1_vol
	global_load_dwordx2 v[3:4], v2, s[10:11] offset:40
	global_load_dwordx2 v[7:8], v2, s[10:11]
	s_waitcnt vmcnt(1)
	v_and_b32_e32 v3, v3, v5
	v_and_b32_e32 v4, v4, v6
	v_mul_lo_u32 v4, v4, 24
	v_mul_hi_u32 v9, v3, 24
	v_mul_lo_u32 v3, v3, 24
	v_add_u32_e32 v4, v9, v4
	s_waitcnt vmcnt(0)
	v_add_co_u32_e32 v3, vcc, v7, v3
	v_addc_co_u32_e32 v4, vcc, v8, v4, vcc
	global_load_dwordx2 v[3:4], v[3:4], off glc
	s_waitcnt vmcnt(0)
	global_atomic_cmpswap_x2 v[8:9], v2, v[3:6], s[10:11] offset:24 glc
	s_waitcnt vmcnt(0)
	buffer_wbinvl1_vol
	v_cmp_ne_u64_e32 vcc, v[8:9], v[5:6]
	s_and_saveexec_b64 s[14:15], vcc
	s_cbranch_execz .LBB1_372
; %bb.369:
	s_mov_b64 s[16:17], 0
.LBB1_370:                              ; =>This Inner Loop Header: Depth=1
	s_sleep 1
	global_load_dwordx2 v[3:4], v2, s[10:11] offset:40
	global_load_dwordx2 v[10:11], v2, s[10:11]
	v_mov_b32_e32 v5, v8
	v_mov_b32_e32 v6, v9
	s_waitcnt vmcnt(1)
	v_and_b32_e32 v3, v3, v5
	s_waitcnt vmcnt(0)
	v_mad_u64_u32 v[7:8], s[18:19], v3, 24, v[10:11]
	v_and_b32_e32 v4, v4, v6
	v_mov_b32_e32 v3, v8
	v_mad_u64_u32 v[3:4], s[18:19], v4, 24, v[3:4]
	v_mov_b32_e32 v8, v3
	global_load_dwordx2 v[3:4], v[7:8], off glc
	s_waitcnt vmcnt(0)
	global_atomic_cmpswap_x2 v[8:9], v2, v[3:6], s[10:11] offset:24 glc
	s_waitcnt vmcnt(0)
	buffer_wbinvl1_vol
	v_cmp_eq_u64_e32 vcc, v[8:9], v[5:6]
	s_or_b64 s[16:17], vcc, s[16:17]
	s_andn2_b64 exec, exec, s[16:17]
	s_cbranch_execnz .LBB1_370
; %bb.371:
	s_or_b64 exec, exec, s[16:17]
.LBB1_372:
	s_or_b64 exec, exec, s[14:15]
.LBB1_373:
	s_or_b64 exec, exec, s[12:13]
	v_mov_b32_e32 v2, 0
	global_load_dwordx2 v[10:11], v2, s[10:11] offset:40
	global_load_dwordx4 v[4:7], v2, s[10:11]
	v_readfirstlane_b32 s13, v9
	v_readfirstlane_b32 s12, v8
	s_mov_b64 s[14:15], exec
	s_waitcnt vmcnt(1)
	v_readfirstlane_b32 s16, v10
	v_readfirstlane_b32 s17, v11
	s_and_b64 s[16:17], s[16:17], s[12:13]
	s_mul_i32 s18, s17, 24
	s_mul_hi_u32 s19, s16, 24
	s_mul_i32 s20, s16, 24
	s_add_i32 s18, s19, s18
	v_mov_b32_e32 v3, s18
	s_waitcnt vmcnt(0)
	v_add_co_u32_e32 v8, vcc, s20, v4
	v_addc_co_u32_e32 v9, vcc, v5, v3, vcc
	s_and_saveexec_b64 s[18:19], s[4:5]
	s_cbranch_execz .LBB1_375
; %bb.374:
	v_mov_b32_e32 v10, s14
	v_mov_b32_e32 v11, s15
	;; [unrolled: 1-line block ×4, first 2 shown]
	global_store_dwordx4 v[8:9], v[10:13], off offset:8
.LBB1_375:
	s_or_b64 exec, exec, s[18:19]
	s_lshl_b64 s[14:15], s[16:17], 12
	v_mov_b32_e32 v3, s15
	v_add_co_u32_e32 v10, vcc, s14, v6
	v_addc_co_u32_e32 v11, vcc, v7, v3, vcc
	s_movk_i32 s14, 0xff1f
	v_and_or_b32 v0, v0, s14, 32
	s_mov_b32 s16, 0
	v_mov_b32_e32 v3, v2
	v_readfirstlane_b32 s14, v10
	v_readfirstlane_b32 s15, v11
	v_add_co_u32_e32 v6, vcc, v10, v35
	s_mov_b32 s17, s16
	s_mov_b32 s18, s16
	s_mov_b32 s19, s16
	s_nop 0
	global_store_dwordx4 v35, v[0:3], s[14:15]
	v_addc_co_u32_e32 v7, vcc, 0, v11, vcc
	v_mov_b32_e32 v0, s16
	v_mov_b32_e32 v1, s17
	;; [unrolled: 1-line block ×4, first 2 shown]
	global_store_dwordx4 v35, v[0:3], s[14:15] offset:16
	global_store_dwordx4 v35, v[0:3], s[14:15] offset:32
	;; [unrolled: 1-line block ×3, first 2 shown]
	s_and_saveexec_b64 s[14:15], s[4:5]
	s_cbranch_execz .LBB1_383
; %bb.376:
	v_mov_b32_e32 v10, 0
	global_load_dwordx2 v[13:14], v10, s[10:11] offset:32 glc
	global_load_dwordx2 v[0:1], v10, s[10:11] offset:40
	v_mov_b32_e32 v11, s12
	v_mov_b32_e32 v12, s13
	s_waitcnt vmcnt(0)
	v_readfirstlane_b32 s16, v0
	v_readfirstlane_b32 s17, v1
	s_and_b64 s[16:17], s[16:17], s[12:13]
	s_mul_i32 s17, s17, 24
	s_mul_hi_u32 s18, s16, 24
	s_mul_i32 s16, s16, 24
	s_add_i32 s17, s18, s17
	v_mov_b32_e32 v0, s17
	v_add_co_u32_e32 v4, vcc, s16, v4
	v_addc_co_u32_e32 v5, vcc, v5, v0, vcc
	global_store_dwordx2 v[4:5], v[13:14], off
	s_waitcnt vmcnt(0)
	global_atomic_cmpswap_x2 v[2:3], v10, v[11:14], s[10:11] offset:32 glc
	s_waitcnt vmcnt(0)
	v_cmp_ne_u64_e32 vcc, v[2:3], v[13:14]
	s_and_saveexec_b64 s[16:17], vcc
	s_cbranch_execz .LBB1_379
; %bb.377:
	s_mov_b64 s[18:19], 0
.LBB1_378:                              ; =>This Inner Loop Header: Depth=1
	s_sleep 1
	global_store_dwordx2 v[4:5], v[2:3], off
	v_mov_b32_e32 v0, s12
	v_mov_b32_e32 v1, s13
	s_waitcnt vmcnt(0)
	global_atomic_cmpswap_x2 v[0:1], v10, v[0:3], s[10:11] offset:32 glc
	s_waitcnt vmcnt(0)
	v_cmp_eq_u64_e32 vcc, v[0:1], v[2:3]
	v_mov_b32_e32 v3, v1
	s_or_b64 s[18:19], vcc, s[18:19]
	v_mov_b32_e32 v2, v0
	s_andn2_b64 exec, exec, s[18:19]
	s_cbranch_execnz .LBB1_378
.LBB1_379:
	s_or_b64 exec, exec, s[16:17]
	v_mov_b32_e32 v3, 0
	global_load_dwordx2 v[0:1], v3, s[10:11] offset:16
	s_mov_b64 s[16:17], exec
	v_mbcnt_lo_u32_b32 v2, s16, 0
	v_mbcnt_hi_u32_b32 v2, s17, v2
	v_cmp_eq_u32_e32 vcc, 0, v2
	s_and_saveexec_b64 s[18:19], vcc
	s_cbranch_execz .LBB1_381
; %bb.380:
	s_bcnt1_i32_b64 s16, s[16:17]
	v_mov_b32_e32 v2, s16
	s_waitcnt vmcnt(0)
	global_atomic_add_x2 v[0:1], v[2:3], off offset:8
.LBB1_381:
	s_or_b64 exec, exec, s[18:19]
	s_waitcnt vmcnt(0)
	global_load_dwordx2 v[2:3], v[0:1], off offset:16
	s_waitcnt vmcnt(0)
	v_cmp_eq_u64_e32 vcc, 0, v[2:3]
	s_cbranch_vccnz .LBB1_383
; %bb.382:
	global_load_dword v0, v[0:1], off offset:24
	v_mov_b32_e32 v1, 0
	s_waitcnt vmcnt(0)
	v_readfirstlane_b32 s16, v0
	s_and_b32 m0, s16, 0xffffff
	global_store_dwordx2 v[2:3], v[0:1], off
	s_sendmsg sendmsg(MSG_INTERRUPT)
.LBB1_383:
	s_or_b64 exec, exec, s[14:15]
	s_branch .LBB1_387
.LBB1_384:                              ;   in Loop: Header=BB1_387 Depth=1
	s_or_b64 exec, exec, s[14:15]
	v_readfirstlane_b32 s14, v0
	s_cmp_eq_u32 s14, 0
	s_cbranch_scc1 .LBB1_386
; %bb.385:                              ;   in Loop: Header=BB1_387 Depth=1
	s_sleep 1
	s_cbranch_execnz .LBB1_387
	s_branch .LBB1_389
.LBB1_386:
	s_branch .LBB1_389
.LBB1_387:                              ; =>This Inner Loop Header: Depth=1
	v_mov_b32_e32 v0, 1
	s_and_saveexec_b64 s[14:15], s[4:5]
	s_cbranch_execz .LBB1_384
; %bb.388:                              ;   in Loop: Header=BB1_387 Depth=1
	global_load_dword v0, v[8:9], off offset:20 glc
	s_waitcnt vmcnt(0)
	buffer_wbinvl1_vol
	v_and_b32_e32 v0, 1, v0
	s_branch .LBB1_384
.LBB1_389:
	global_load_dwordx2 v[0:1], v[6:7], off
	s_and_saveexec_b64 s[14:15], s[4:5]
	s_cbranch_execz .LBB1_392
; %bb.390:
	v_mov_b32_e32 v8, 0
	global_load_dwordx2 v[2:3], v8, s[10:11] offset:40
	global_load_dwordx2 v[11:12], v8, s[10:11] offset:24 glc
	global_load_dwordx2 v[4:5], v8, s[10:11]
	s_waitcnt vmcnt(2)
	v_readfirstlane_b32 s16, v2
	v_readfirstlane_b32 s17, v3
	s_add_u32 s18, s16, 1
	s_addc_u32 s19, s17, 0
	s_add_u32 s4, s18, s12
	s_addc_u32 s5, s19, s13
	s_cmp_eq_u64 s[4:5], 0
	s_cselect_b32 s5, s19, s5
	s_cselect_b32 s4, s18, s4
	s_and_b64 s[12:13], s[4:5], s[16:17]
	s_mul_i32 s13, s13, 24
	s_mul_hi_u32 s16, s12, 24
	s_mul_i32 s12, s12, 24
	s_add_i32 s13, s16, s13
	v_mov_b32_e32 v2, s13
	s_waitcnt vmcnt(0)
	v_add_co_u32_e32 v6, vcc, s12, v4
	v_addc_co_u32_e32 v7, vcc, v5, v2, vcc
	v_mov_b32_e32 v9, s4
	global_store_dwordx2 v[6:7], v[11:12], off
	v_mov_b32_e32 v10, s5
	s_waitcnt vmcnt(0)
	global_atomic_cmpswap_x2 v[4:5], v8, v[9:12], s[10:11] offset:24 glc
	s_mov_b64 s[12:13], 0
	s_waitcnt vmcnt(0)
	v_cmp_ne_u64_e32 vcc, v[4:5], v[11:12]
	s_and_b64 exec, exec, vcc
	s_cbranch_execz .LBB1_392
.LBB1_391:                              ; =>This Inner Loop Header: Depth=1
	s_sleep 1
	global_store_dwordx2 v[6:7], v[4:5], off
	v_mov_b32_e32 v2, s4
	v_mov_b32_e32 v3, s5
	s_waitcnt vmcnt(0)
	global_atomic_cmpswap_x2 v[2:3], v8, v[2:5], s[10:11] offset:24 glc
	s_waitcnt vmcnt(0)
	v_cmp_eq_u64_e32 vcc, v[2:3], v[4:5]
	v_mov_b32_e32 v5, v3
	s_or_b64 s[12:13], vcc, s[12:13]
	v_mov_b32_e32 v4, v2
	s_andn2_b64 exec, exec, s[12:13]
	s_cbranch_execnz .LBB1_391
.LBB1_392:
	s_or_b64 exec, exec, s[14:15]
.LBB1_393:
	s_or_b64 exec, exec, s[6:7]
	s_getpc_b64 s[4:5]
	s_add_u32 s4, s4, .str.3@rel32@lo+4
	s_addc_u32 s5, s5, .str.3@rel32@hi+12
	s_getpc_b64 s[6:7]
	s_add_u32 s6, s6, .str.3@rel32@lo+32
	s_addc_u32 s7, s7, .str.3@rel32@hi+40
	s_sub_i32 s10, s6, s4
	s_ashr_i32 s11, s10, 31
	s_getpc_b64 s[6:7]
	s_add_u32 s6, s6, __ockl_fprintf_append_string_n@rel32@lo+4
	s_addc_u32 s7, s7, __ockl_fprintf_append_string_n@rel32@hi+12
	v_mov_b32_e32 v2, s4
	v_mov_b32_e32 v3, s5
	;; [unrolled: 1-line block ×5, first 2 shown]
	s_swappc_b64 s[30:31], s[6:7]
	s_trap 2
.Lfunc_end1:
	.size	__assert_fail, .Lfunc_end1-__assert_fail
                                        ; -- End function
	.set .L__assert_fail.num_vgpr, max(41, .L__ockl_fprintf_append_string_n.num_vgpr)
	.set .L__assert_fail.num_agpr, max(0, .L__ockl_fprintf_append_string_n.num_agpr)
	.set .L__assert_fail.numbered_sgpr, max(34, .L__ockl_fprintf_append_string_n.numbered_sgpr)
	.set .L__assert_fail.num_named_barrier, max(0, .L__ockl_fprintf_append_string_n.num_named_barrier)
	.set .L__assert_fail.private_seg_size, 64+max(.L__ockl_fprintf_append_string_n.private_seg_size)
	.set .L__assert_fail.uses_vcc, or(1, .L__ockl_fprintf_append_string_n.uses_vcc)
	.set .L__assert_fail.uses_flat_scratch, or(0, .L__ockl_fprintf_append_string_n.uses_flat_scratch)
	.set .L__assert_fail.has_dyn_sized_stack, or(0, .L__ockl_fprintf_append_string_n.has_dyn_sized_stack)
	.set .L__assert_fail.has_recursion, or(0, .L__ockl_fprintf_append_string_n.has_recursion)
	.set .L__assert_fail.has_indirect_call, or(0, .L__ockl_fprintf_append_string_n.has_indirect_call)
	.section	.AMDGPU.csdata,"",@progbits
; Function info:
; codeLenInByte = 13844
; TotalNumSgprs: 38
; NumVgprs: 41
; ScratchSize: 64
; MemoryBound: 0
	.text
	.p2align	2                               ; -- Begin function _ZN12_GLOBAL__N_17runRingI14__hip_fp8_e4m37FuncSumIS1_E11ProtoSimpleILi1ELi1ELi0ELi1ELi0ELi0EELi0ELi1ELi0EEEviiP15ncclDevWorkColl
	.type	_ZN12_GLOBAL__N_17runRingI14__hip_fp8_e4m37FuncSumIS1_E11ProtoSimpleILi1ELi1ELi0ELi1ELi0ELi0EELi0ELi1ELi0EEEviiP15ncclDevWorkColl,@function
_ZN12_GLOBAL__N_17runRingI14__hip_fp8_e4m37FuncSumIS1_E11ProtoSimpleILi1ELi1ELi0ELi1ELi0ELi0EELi0ELi1ELi0EEEviiP15ncclDevWorkColl: ; @_ZN12_GLOBAL__N_17runRingI14__hip_fp8_e4m37FuncSumIS1_E11ProtoSimpleILi1ELi1ELi0ELi1ELi0ELi0EELi0ELi1ELi0EEEviiP15ncclDevWorkColl
; %bb.0:
	s_waitcnt vmcnt(0) expcnt(0) lgkmcnt(0)
	s_mov_b32 s4, s33
	s_mov_b32 s33, s32
	s_or_saveexec_b64 s[6:7], -1
	buffer_store_dword v63, off, s[0:3], s33 offset:184 ; 4-byte Folded Spill
	s_mov_b64 exec, s[6:7]
	v_writelane_b32 v63, s4, 17
	s_addk_i32 s32, 0x3000
	buffer_store_dword v40, off, s[0:3], s33 offset:56 ; 4-byte Folded Spill
	buffer_store_dword v41, off, s[0:3], s33 offset:52 ; 4-byte Folded Spill
	;; [unrolled: 1-line block ×14, first 2 shown]
	buffer_store_dword v62, off, s[0:3], s33 ; 4-byte Folded Spill
	v_writelane_b32 v63, s34, 0
	v_writelane_b32 v63, s35, 1
	;; [unrolled: 1-line block ×17, first 2 shown]
	s_trap 2
	ds_read_b64 v[14:15], v0
	ds_read_b32 v6, v0
	v_mov_b32_e32 v44, v1
	v_mov_b32_e32 v55, v0
	flat_load_ushort v16, v[2:3] offset:8
	flat_load_dwordx2 v[8:9], v[2:3]
	s_waitcnt lgkmcnt(0)
	v_ashrrev_i32_e32 v1, 31, v15
	v_mov_b32_e32 v0, v15
	v_lshlrev_b64 v[0:1], 2, v[0:1]
	v_mov_b32_e32 v45, v31
	v_add_co_u32_e32 v0, vcc, v14, v0
	v_addc_co_u32_e32 v1, vcc, v15, v1, vcc
	v_add_co_u32_e32 v0, vcc, -4, v0
	v_addc_co_u32_e32 v1, vcc, -1, v1, vcc
	flat_load_dword v0, v[0:1]
                                        ; implicit-def: $vgpr26_vgpr27
                                        ; implicit-def: $vgpr4_vgpr5
                                        ; implicit-def: $vgpr58_vgpr59
	s_waitcnt vmcnt(0)
	v_mov_b32_e32 v15, v9
	v_cmp_ne_u32_sdwa s[4:5], v6, v8 src0_sel:DWORD src1_sel:BYTE_0
	s_and_saveexec_b64 s[6:7], s[4:5]
	s_xor_b64 s[4:5], exec, s[6:7]
	s_cbranch_execz .LBB2_6
; %bb.1:
	v_not_b32_sdwa v1, v8 dst_sel:DWORD dst_unused:UNUSED_PAD src0_sel:BYTE_0
	v_cmp_ne_u32_sdwa s[6:7], v6, v8 src0_sel:DWORD src1_sel:BYTE_1
                                        ; implicit-def: $vgpr26_vgpr27
                                        ; implicit-def: $vgpr4_vgpr5
                                        ; implicit-def: $vgpr58_vgpr59
	s_and_saveexec_b64 s[10:11], s[6:7]
	s_xor_b64 s[6:7], exec, s[10:11]
	s_cbranch_execz .LBB2_3
; %bb.2:
	flat_load_dwordx4 v[7:10], v[2:3] offset:72
	flat_load_dwordx2 v[4:5], v[2:3] offset:96
	v_add_u32_e32 v1, v6, v1
	v_ashrrev_i32_e32 v6, 31, v1
	s_waitcnt vmcnt(0) lgkmcnt(0)
	v_mul_lo_u32 v6, v9, v6
	v_mad_u64_u32 v[58:59], s[10:11], v9, v1, v[7:8]
	v_mul_lo_u32 v1, v10, v1
	v_lshrrev_b64 v[26:27], 12, v[4:5]
	v_mov_b32_e32 v4, v9
	v_mov_b32_e32 v5, v10
	v_add3_u32 v59, v1, v59, v6
                                        ; implicit-def: $vgpr8
                                        ; implicit-def: $vgpr1
.LBB2_3:
	s_andn2_saveexec_b64 s[6:7], s[6:7]
	s_cbranch_execz .LBB2_5
; %bb.4:
	flat_load_dwordx4 v[9:12], v[2:3] offset:72
	flat_load_dwordx4 v[4:7], v[2:3] offset:88
	v_add_u32_sdwa v1, v8, v1 dst_sel:DWORD dst_unused:UNUSED_PAD src0_sel:BYTE_1 src1_sel:DWORD
	s_waitcnt vmcnt(0) lgkmcnt(0)
	v_ashrrev_i32_e32 v6, 31, v1
	v_mul_lo_u32 v6, v11, v6
	v_mad_u64_u32 v[58:59], s[10:11], v11, v1, v[9:10]
	v_mul_lo_u32 v1, v12, v1
	v_lshrrev_b32_e32 v26, 1, v7
	v_add3_u32 v59, v1, v59, v6
.LBB2_5:
	s_or_b64 exec, exec, s[6:7]
.LBB2_6:
	s_andn2_saveexec_b64 s[4:5], s[4:5]
	s_cbranch_execz .LBB2_8
; %bb.7:
	flat_load_dwordx2 v[6:7], v[2:3] offset:96
	flat_load_dwordx2 v[4:5], v[2:3] offset:72
	v_mov_b32_e32 v58, 0
	v_mov_b32_e32 v59, 0
	s_waitcnt vmcnt(0) lgkmcnt(0)
	v_lshlrev_b64 v[26:27], 9, v[6:7]
.LBB2_8:
	s_or_b64 exec, exec, s[4:5]
	s_trap 2
	s_waitcnt lgkmcnt(0)
	ds_read_b64 v[6:7], v0
	s_waitcnt lgkmcnt(0)
	v_cmp_ne_u32_e32 vcc, -1, v6
	v_cndmask_b32_e64 v18, 0, 1, vcc
	v_cmp_ne_u32_e32 vcc, -1, v7
	v_addc_co_u32_e64 v1, s[4:5], 0, v18, vcc
	v_lshlrev_b32_e32 v6, 1, v1
	v_cmp_le_u32_e64 s[4:5], v6, v44
	s_and_saveexec_b64 s[6:7], s[4:5]
	s_xor_b64 s[24:25], exec, s[6:7]
	s_cbranch_execz .LBB2_2965
; %bb.9:
	flat_load_dwordx4 v[10:13], v[2:3] offset:16
	flat_load_dwordx2 v[32:33], v[2:3] offset:104
	s_trap 2
	s_load_dword s4, s[8:9], 0x0
	v_mov_b32_e32 v2, 0
	v_mov_b32_e32 v57, 4
	s_waitcnt lgkmcnt(0)
	s_cmp_lt_u32 s12, s4
	s_cselect_b32 s4, 12, 18
	s_add_u32 s4, s8, s4
	s_addc_u32 s5, s9, 0
	global_load_ushort v46, v2, s[4:5]
	ds_read_b32 v2, v0
	v_cmp_ge_i32_e64 s[4:5], v55, v18
	s_waitcnt lgkmcnt(0)
	v_readfirstlane_b32 s48, v2
	s_and_saveexec_b64 s[6:7], s[4:5]
	s_cbranch_execz .LBB2_19
; %bb.10:
	v_cmp_ge_u32_e64 s[4:5], v55, v1
                                        ; implicit-def: $vgpr57
	s_and_saveexec_b64 s[10:11], s[4:5]
	s_xor_b64 s[4:5], exec, s[10:11]
	s_cbranch_execz .LBB2_16
; %bb.11:
	v_cndmask_b32_e64 v2, 0, 1, vcc
	v_sub_u32_e32 v2, v44, v2
	v_cmp_ge_u32_e32 vcc, v55, v2
	s_and_saveexec_b64 s[10:11], vcc
	s_xor_b64 s[10:11], exec, s[10:11]
; %bb.12:
                                        ; implicit-def: $vgpr1
; %bb.13:
	s_or_saveexec_b64 s[10:11], s[10:11]
	v_mov_b32_e32 v57, 16
	s_xor_b64 exec, exec, s[10:11]
; %bb.14:
	v_sub_u32_e32 v1, v44, v1
	v_cmp_lt_i32_e32 vcc, v55, v1
	v_cndmask_b32_e64 v57, 32, 0, vcc
; %bb.15:
	s_or_b64 exec, exec, s[10:11]
.LBB2_16:
	s_andn2_saveexec_b64 s[4:5], s[4:5]
; %bb.17:
	v_mov_b32_e32 v57, 8
; %bb.18:
	s_or_b64 exec, exec, s[4:5]
.LBB2_19:
	s_or_b64 exec, exec, s[6:7]
	v_and_b32_e32 v1, 36, v57
	v_cmp_ne_u32_e32 vcc, 0, v1
	v_mov_b32_e32 v36, -1
	s_and_saveexec_b64 s[4:5], vcc
	s_cbranch_execz .LBB2_21
; %bb.20:
	s_trap 2
	ds_read_b32 v36, v0
.LBB2_21:
	s_or_b64 exec, exec, s[4:5]
	v_and_b32_e32 v1, 24, v57
	v_cmp_ne_u32_e64 s[4:5], 0, v1
	s_and_saveexec_b64 s[6:7], s[4:5]
	s_cbranch_execz .LBB2_23
; %bb.22:
	s_trap 2
	s_waitcnt lgkmcnt(0)
	ds_read_b32 v36, v0
.LBB2_23:
	s_or_b64 exec, exec, s[6:7]
	v_lshrrev_b64 v[1:2], 31, v[15:16]
	v_mov_b32_e32 v60, 0
	v_mov_b32_e32 v6, 0
	v_mov_b32_e32 v61, 0
	v_and_b32_e32 v1, 3, v1
	v_mov_b32_e32 v7, 0
	s_waitcnt lgkmcnt(0)
	v_ashrrev_i32_e32 v37, 31, v36
                                        ; implicit-def: $vgpr2_vgpr3
                                        ; kill: killed $vgpr2_vgpr3
                                        ; implicit-def: $vgpr47
                                        ; implicit-def: $vgpr28_vgpr29
                                        ; implicit-def: $vgpr2_vgpr3
                                        ; kill: killed $vgpr2_vgpr3
                                        ; implicit-def: $vgpr22_vgpr23
	s_and_saveexec_b64 s[4:5], vcc
	s_cbranch_execz .LBB2_33
; %bb.24:
	s_trap 2
	ds_read_b64 v[2:3], v0
	v_lshlrev_b64 v[6:7], 3, v[36:37]
	s_movk_i32 s6, 0xa8
	s_waitcnt lgkmcnt(0)
	v_add_co_u32_e32 v2, vcc, v2, v6
	v_addc_co_u32_e32 v3, vcc, v3, v7, vcc
	flat_load_dwordx2 v[2:3], v[2:3]
	v_and_b32_e32 v6, 0xffff, v1
	s_waitcnt vmcnt(0) lgkmcnt(0)
	v_mad_u64_u32 v[16:17], s[6:7], v6, s6, v[2:3]
	flat_load_dword v2, v[16:17] offset:640
	s_waitcnt vmcnt(0) lgkmcnt(0)
	v_cmp_eq_u32_e32 vcc, 1, v2
                                        ; implicit-def: $vgpr2_vgpr3
                                        ; kill: killed $vgpr2_vgpr3
	s_and_saveexec_b64 s[6:7], vcc
	s_cbranch_execz .LBB2_26
; %bb.25:
	flat_load_dwordx2 v[6:7], v[16:17] offset:648
	v_or_b32_e32 v57, 0x2000, v57
	s_waitcnt vmcnt(0) lgkmcnt(0)
	flat_load_dwordx2 v[2:3], v[6:7]
	s_trap 2
	s_waitcnt vmcnt(0) lgkmcnt(0)
	ds_write_b64 v0, v[2:3]
	flat_load_dwordx2 v[2:3], v[6:7] offset:8
	s_waitcnt vmcnt(0) lgkmcnt(0)
	ds_write_b64 v0, v[2:3]
	buffer_store_dword v6, off, s[0:3], s33 offset:120 ; 4-byte Folded Spill
	s_nop 0
	buffer_store_dword v7, off, s[0:3], s33 offset:124 ; 4-byte Folded Spill
	flat_load_dwordx2 v[2:3], v[6:7] offset:16
	s_waitcnt vmcnt(0) lgkmcnt(0)
	ds_write_b64 v0, v[2:3]
.LBB2_26:
	s_or_b64 exec, exec, s[6:7]
	flat_load_dwordx2 v[8:9], v[16:17] offset:608
	v_and_b32_e32 v2, 32, v57
	v_cmp_ne_u32_e32 vcc, 0, v2
                                        ; implicit-def: $vgpr22_vgpr23
	s_and_saveexec_b64 s[6:7], vcc
	s_cbranch_execz .LBB2_28
; %bb.27:
	flat_load_dwordx2 v[22:23], v[16:17] offset:560
	s_waitcnt vmcnt(0) lgkmcnt(0)
	flat_store_dwordx2 v[22:23], v[8:9]
.LBB2_28:
	s_or_b64 exec, exec, s[6:7]
	v_add_co_u32_e32 v60, vcc, 0x1f8, v16
	v_addc_co_u32_e32 v61, vcc, 0, v17, vcc
	v_and_b32_e32 v2, 4, v57
	v_mov_b32_e32 v6, 0
	v_mov_b32_e32 v7, 0
	v_cmp_ne_u32_e32 vcc, 0, v2
                                        ; implicit-def: $vgpr47
                                        ; implicit-def: $vgpr28_vgpr29
                                        ; implicit-def: $vgpr2_vgpr3
                                        ; kill: killed $vgpr2_vgpr3
	s_and_saveexec_b64 s[6:7], vcc
	s_cbranch_execz .LBB2_32
; %bb.29:
	v_and_b32_e32 v2, 0x800, v57
	v_cmp_eq_u32_e32 vcc, 0, v2
	s_and_saveexec_b64 s[10:11], vcc
	s_cbranch_execz .LBB2_31
; %bb.30:
	s_trap 2
	ds_write_b64 v0, v[60:61]
.LBB2_31:
	s_or_b64 exec, exec, s[10:11]
	flat_load_dwordx2 v[22:23], v[16:17] offset:552
	s_waitcnt vmcnt(0) lgkmcnt(0)
	flat_load_dwordx2 v[28:29], v[22:23] glc
	flat_load_dwordx2 v[6:7], v[16:17] offset:600
	flat_load_dword v47, v[16:17] offset:576
	flat_load_dwordx2 v[2:3], v[16:17] offset:520
	s_waitcnt vmcnt(0) lgkmcnt(0)
	buffer_store_dword v2, off, s[0:3], s33 offset:60 ; 4-byte Folded Spill
	s_nop 0
	buffer_store_dword v3, off, s[0:3], s33 offset:64 ; 4-byte Folded Spill
	v_cmp_eq_u64_e32 vcc, 0, v[6:7]
	v_or_b32_e32 v2, 0x100, v57
	v_cndmask_b32_e32 v57, v2, v57, vcc
.LBB2_32:
	s_or_b64 exec, exec, s[6:7]
.LBB2_33:
	s_or_b64 exec, exec, s[4:5]
	v_and_b32_e32 v2, 24, v57
	v_cmp_ne_u32_e32 vcc, 0, v2
                                        ; implicit-def: $vgpr2_vgpr3
                                        ; kill: killed $vgpr2_vgpr3
	s_and_saveexec_b64 s[4:5], vcc
	s_cbranch_execz .LBB2_41
; %bb.34:
	s_trap 2
	ds_read_b64 v[2:3], v0
	v_lshlrev_b64 v[6:7], 3, v[36:37]
	v_and_b32_e32 v1, 0xffff, v1
	s_movk_i32 s6, 0xa8
	s_waitcnt lgkmcnt(0)
	v_add_co_u32_e32 v2, vcc, v2, v6
	v_addc_co_u32_e32 v3, vcc, v3, v7, vcc
	flat_load_dwordx2 v[2:3], v[2:3]
	s_waitcnt vmcnt(0) lgkmcnt(0)
	v_mad_u64_u32 v[60:61], s[6:7], v1, s6, v[2:3]
	v_or_b32_e32 v1, 0x100, v57
	flat_load_dwordx4 v[6:9], v[60:61] offset:96
	s_waitcnt vmcnt(0) lgkmcnt(0)
	v_cmp_eq_u64_e32 vcc, 0, v[6:7]
	v_cndmask_b32_e32 v57, v1, v57, vcc
	v_and_b32_e32 v1, 16, v57
	v_cmp_ne_u32_e32 vcc, 0, v1
                                        ; implicit-def: $vgpr1_vgpr2
                                        ; kill: killed $vgpr1_vgpr2
	s_and_saveexec_b64 s[6:7], vcc
	s_cbranch_execz .LBB2_36
; %bb.35:
	flat_load_dwordx2 v[22:23], v[60:61] offset:48
	flat_load_dwordx2 v[1:2], v[60:61] offset:120
	s_waitcnt vmcnt(0) lgkmcnt(0)
	buffer_store_dword v1, off, s[0:3], s33 offset:72 ; 4-byte Folded Spill
	s_nop 0
	buffer_store_dword v2, off, s[0:3], s33 offset:76 ; 4-byte Folded Spill
	flat_load_dwordx2 v[1:2], v[60:61] offset:16
	s_waitcnt vmcnt(0) lgkmcnt(0)
	buffer_store_dword v1, off, s[0:3], s33 offset:60 ; 4-byte Folded Spill
	s_nop 0
	buffer_store_dword v2, off, s[0:3], s33 offset:64 ; 4-byte Folded Spill
.LBB2_36:
	s_or_b64 exec, exec, s[6:7]
	v_and_b32_e32 v1, 8, v57
	v_cmp_ne_u32_e32 vcc, 0, v1
	s_and_saveexec_b64 s[6:7], vcc
	s_cbranch_execz .LBB2_40
; %bb.37:
	v_and_b32_e32 v1, 0x800, v57
	v_cmp_eq_u32_e32 vcc, 0, v1
	s_and_saveexec_b64 s[10:11], vcc
	s_cbranch_execz .LBB2_39
; %bb.38:
	s_trap 2
	ds_write_b64 v0, v[60:61]
.LBB2_39:
	s_or_b64 exec, exec, s[10:11]
	flat_load_dwordx2 v[22:23], v[60:61] offset:56
	s_waitcnt vmcnt(0) lgkmcnt(0)
	flat_load_dwordx2 v[28:29], v[22:23] glc
	flat_load_dword v47, v[60:61] offset:72
	flat_load_dwordx2 v[1:2], v[60:61] offset:16
	s_waitcnt vmcnt(0) lgkmcnt(0)
	buffer_store_dword v1, off, s[0:3], s33 offset:60 ; 4-byte Folded Spill
	s_nop 0
	buffer_store_dword v2, off, s[0:3], s33 offset:64 ; 4-byte Folded Spill
.LBB2_40:
	s_or_b64 exec, exec, s[6:7]
.LBB2_41:
	s_or_b64 exec, exec, s[4:5]
	v_cmp_eq_u32_e64 s[4:5], 0, v55
	s_and_saveexec_b64 s[6:7], s[4:5]
	s_cbranch_execz .LBB2_43
; %bb.42:
	s_waitcnt vmcnt(0)
	v_mov_b32_e32 v1, v12
	v_mov_b32_e32 v2, v13
	ds_write2_b64 v0, v[1:2], v[10:11] offset1:1
	v_mov_b32_e32 v1, 0
	v_mov_b32_e32 v2, v1
	s_trap 2
	ds_write_b64 v0, v[1:2]
	ds_write_b64 v0, v[32:33]
.LBB2_43:
	s_or_b64 exec, exec, s[6:7]
	v_bfe_u32 v1, v15, 1, 30
	s_waitcnt vmcnt(0)
	v_and_b32_e32 v32, 0x3ffffe00, v26
	v_mov_b32_e32 v33, 0
	v_cmp_ne_u32_e32 vcc, v0, v1
                                        ; implicit-def: $vgpr26_vgpr27
	s_and_saveexec_b64 s[6:7], vcc
	s_xor_b64 s[26:27], exec, s[6:7]
	s_cbranch_execz .LBB2_2757
; %bb.44:
	v_cmp_ne_u32_e32 vcc, v14, v1
                                        ; implicit-def: $vgpr26_vgpr27
	s_and_saveexec_b64 s[6:7], vcc
	s_xor_b64 s[28:29], exec, s[6:7]
	s_cbranch_execz .LBB2_1404
; %bb.45:
	v_mov_b32_e32 v26, 0
	v_cmp_ne_u64_e32 vcc, 0, v[4:5]
	v_mov_b32_e32 v27, 0
	s_and_saveexec_b64 s[40:41], vcc
	s_cbranch_execz .LBB2_1403
; %bb.46:
	v_and_b32_e32 v0, 63, v45
	v_cmp_eq_u32_e64 s[12:13], 0, v0
	v_ashrrev_i32_e32 v0, 31, v55
	v_lshrrev_b32_e32 v0, 26, v0
	v_add_u32_e32 v0, v55, v0
	v_and_b32_e32 v1, 0xffffffc0, v0
	v_ashrrev_i32_e32 v0, 6, v0
	v_sub_u32_e32 v0, 0, v0
	buffer_store_dword v60, off, s[0:3], s33 offset:128 ; 4-byte Folded Spill
	s_nop 0
	buffer_store_dword v61, off, s[0:3], s33 offset:132 ; 4-byte Folded Spill
	buffer_store_dword v58, off, s[0:3], s33 offset:80 ; 4-byte Folded Spill
	s_nop 0
	buffer_store_dword v59, off, s[0:3], s33 offset:84 ; 4-byte Folded Spill
	s_trap 2
	buffer_store_dword v0, off, s[0:3], s33 offset:160 ; 4-byte Folded Spill
	v_lshlrev_b32_e32 v0, 4, v55
	v_lshrrev_b32_e32 v2, 6, v44
	buffer_store_dword v0, off, s[0:3], s33 offset:96 ; 4-byte Folded Spill
	v_ashrrev_i32_e32 v0, 31, v0
	v_sub_u32_e32 v1, v55, v1
	buffer_store_dword v0, off, s[0:3], s33 offset:172 ; 4-byte Folded Spill
	v_lshlrev_b32_e32 v0, 9, v2
	buffer_store_dword v47, off, s[0:3], s33 offset:88 ; 4-byte Folded Spill
	buffer_store_dword v46, off, s[0:3], s33 offset:116 ; 4-byte Folded Spill
	buffer_store_dword v45, off, s[0:3], s33 offset:112 ; 4-byte Folded Spill
	buffer_store_dword v1, off, s[0:3], s33 offset:168 ; 4-byte Folded Spill
	buffer_store_dword v0, off, s[0:3], s33 offset:68 ; 4-byte Folded Spill
	buffer_store_dword v44, off, s[0:3], s33 offset:108 ; 4-byte Folded Spill
	v_cmp_le_i32_e64 s[14:15], v1, v18
	v_cmp_lt_i32_e64 s[16:17], v1, v18
	buffer_load_dword v0, off, s[0:3], s33 offset:72 ; 4-byte Folded Reload
	buffer_load_dword v1, off, s[0:3], s33 offset:76 ; 4-byte Folded Reload
	s_ashr_i32 s6, s48, 31
	s_lshr_b32 s6, s6, 24
	s_add_i32 s6, s48, s6
	v_cmp_eq_u32_e32 vcc, 64, v44
	v_mov_b32_e32 v38, 0
	v_mov_b32_e32 v26, 0
	s_mov_b32 s62, -1
	s_ashr_i32 s49, s6, 8
	v_cmp_ge_i32_e64 s[6:7], v55, v44
	v_ashrrev_i32_e32 v52, 31, v47
	v_cmp_ne_u32_e64 s[10:11], 64, v44
	v_cmp_ne_u32_sdwa s[42:43], v44, v46 src0_sel:DWORD src1_sel:WORD_0
	v_mov_b32_e32 v37, 0
	s_movk_i32 s50, 0xffc0
	v_lshlrev_b32_e32 v62, 10, v2
	v_mov_b32_e32 v61, v2
	v_and_b32_e32 v53, 0x3fc0, v44
	s_mov_b64 s[44:45], 0
	v_mov_b32_e32 v39, 0
	v_mov_b32_e32 v27, 0
	s_movk_i32 s51, 0x108
	v_mov_b32_e32 v54, 1
	s_xor_b64 s[46:47], vcc, -1
	s_movk_i32 s52, 0x80
	s_movk_i32 s53, 0x7f
	s_mov_b64 s[56:57], 0x7f800000
	s_mov_b64 s[58:59], 0x43e00001
	s_movk_i32 s54, 0x7a
	s_mov_b64 s[60:61], 0xffffff
	s_mov_b32 s63, 0xffffff
	s_mov_b32 s55, 0x3ffffc00
	v_mov_b32_e32 v40, 0xc8
	v_mov_b32_e32 v41, 0x90
	v_bfrev_b32_e32 v3, 60
	v_mov_b32_e32 v56, 0x7f800001
	v_mov_b32_e32 v2, 0x78
	;; [unrolled: 1-line block ×3, first 2 shown]
	v_bfrev_b32_e32 v21, 1
	buffer_store_dword v55, off, s[0:3], s33 offset:92 ; 4-byte Folded Spill
	buffer_store_dword v52, off, s[0:3], s33 offset:100 ; 4-byte Folded Spill
	;; [unrolled: 1-line block ×3, first 2 shown]
	s_waitcnt vmcnt(0)
	v_cmp_eq_u64_e64 s[18:19], 0, v[0:1]
	s_branch .LBB2_49
.LBB2_47:                               ;   in Loop: Header=BB2_49 Depth=1
	s_or_b64 exec, exec, s[20:21]
.LBB2_48:                               ;   in Loop: Header=BB2_49 Depth=1
	s_or_b64 exec, exec, s[22:23]
	v_add_co_u32_e32 v38, vcc, v38, v32
	v_addc_co_u32_e32 v39, vcc, 0, v39, vcc
	v_cmp_ge_u64_e32 vcc, v[38:39], v[4:5]
	s_or_b64 s[44:45], vcc, s[44:45]
	s_andn2_b64 exec, exec, s[44:45]
	s_cbranch_execz .LBB2_1402
.LBB2_49:                               ; =>This Loop Header: Depth=1
                                        ;     Child Loop BB2_58 Depth 2
                                        ;     Child Loop BB2_84 Depth 2
	;; [unrolled: 1-line block ×10, first 2 shown]
	v_sub_co_u32_e32 v0, vcc, v4, v38
	v_subb_co_u32_e32 v1, vcc, v5, v39, vcc
	v_cmp_lt_u64_e32 vcc, v[32:33], v[0:1]
	v_cndmask_b32_e64 v49, v1, 0, vcc
	v_cndmask_b32_e32 v48, v0, v32, vcc
	v_cmp_eq_u64_e32 vcc, 0, v[48:49]
	v_add_u32_e32 v0, 15, v48
	v_and_b32_e32 v0, 0x7ffffff0, v0
	s_or_b64 s[72:73], s[6:7], vcc
	v_max_i32_e32 v49, s49, v0
	s_xor_b64 s[20:21], s[72:73], -1
	v_mov_b32_e32 v0, v37
	s_and_saveexec_b64 s[74:75], s[20:21]
	s_cbranch_execz .LBB2_1352
; %bb.50:                               ;   in Loop: Header=BB2_49 Depth=1
	s_and_saveexec_b64 s[20:21], s[4:5]
	s_cbranch_execz .LBB2_52
; %bb.51:                               ;   in Loop: Header=BB2_49 Depth=1
	s_trap 2
	ds_read_b64 v[0:1], v0
	buffer_load_dword v10, off, s[0:3], s33 offset:80 ; 4-byte Folded Reload
	buffer_load_dword v11, off, s[0:3], s33 offset:84 ; 4-byte Folded Reload
	v_mov_b32_e32 v36, v37
	s_waitcnt vmcnt(0) lgkmcnt(0)
	v_add_co_u32_e32 v0, vcc, v0, v10
	v_addc_co_u32_e32 v1, vcc, v1, v11, vcc
	v_add_co_u32_e32 v0, vcc, v0, v38
	v_addc_co_u32_e32 v1, vcc, v1, v39, vcc
	ds_write_b64 v0, v[0:1]
	ds_write_b64 v0, v[36:37]
.LBB2_52:                               ;   in Loop: Header=BB2_49 Depth=1
	s_or_b64 exec, exec, s[20:21]
	v_and_b32_e32 v0, 12, v57
	v_min_u32_e32 v49, v49, v48
	v_cmp_ne_u32_e32 vcc, 0, v0
	s_and_saveexec_b64 s[22:23], vcc
	s_cbranch_execz .LBB2_76
; %bb.53:                               ;   in Loop: Header=BB2_49 Depth=1
	v_and_b32_e32 v0, 8, v57
	v_add_co_u32_e32 v12, vcc, v28, v0
	v_addc_co_u32_e32 v13, vcc, 0, v29, vcc
	s_waitcnt lgkmcnt(0)
	v_add_co_u32_e32 v10, vcc, 1, v8
	v_addc_co_u32_e32 v11, vcc, 0, v9, vcc
	v_cmp_lt_u64_e32 vcc, v[12:13], v[10:11]
	s_and_saveexec_b64 s[76:77], vcc
	s_cbranch_execz .LBB2_65
; %bb.54:                               ;   in Loop: Header=BB2_49 Depth=1
	v_and_b32_e32 v1, 64, v57
	s_mov_b32 s64, 0
	v_cmp_eq_u32_e32 vcc, 0, v1
	s_mov_b64 s[78:79], 0
                                        ; implicit-def: $sgpr88_sgpr89
                                        ; implicit-def: $sgpr90_sgpr91
                                        ; implicit-def: $sgpr92_sgpr93
	s_branch .LBB2_58
.LBB2_55:                               ;   in Loop: Header=BB2_58 Depth=2
	s_waitcnt vmcnt(0) lgkmcnt(0)
	v_add_co_u32_e64 v12, s[20:21], v28, v0
	v_addc_co_u32_e64 v13, s[20:21], 0, v29, s[20:21]
	v_cmp_ge_u64_e64 s[20:21], v[12:13], v[10:11]
	s_or_b64 s[34:35], s[34:35], exec
	s_orn2_b64 s[30:31], s[20:21], exec
.LBB2_56:                               ;   in Loop: Header=BB2_58 Depth=2
	s_or_b64 exec, exec, s[38:39]
	s_andn2_b64 s[20:21], s[92:93], exec
	s_and_b64 s[92:93], s[34:35], exec
	s_or_b64 s[92:93], s[20:21], s[92:93]
	s_andn2_b64 s[20:21], s[90:91], exec
	s_and_b64 s[90:91], s[30:31], exec
	s_or_b64 s[90:91], s[20:21], s[90:91]
.LBB2_57:                               ;   in Loop: Header=BB2_58 Depth=2
	s_or_b64 exec, exec, s[94:95]
	s_and_b64 s[20:21], exec, s[90:91]
	s_or_b64 s[78:79], s[20:21], s[78:79]
	s_andn2_b64 s[20:21], s[88:89], exec
	s_and_b64 s[88:89], s[92:93], exec
	s_or_b64 s[88:89], s[20:21], s[88:89]
	s_andn2_b64 exec, exec, s[78:79]
	s_cbranch_execz .LBB2_62
.LBB2_58:                               ;   Parent Loop BB2_49 Depth=1
                                        ; =>  This Inner Loop Header: Depth=2
	s_sleep 1
	s_waitcnt vmcnt(0) lgkmcnt(0)
	flat_load_dwordx2 v[28:29], v[22:23] glc
	s_or_b64 s[92:93], s[92:93], exec
	s_or_b64 s[90:91], s[90:91], exec
                                        ; implicit-def: $vgpr1
	s_and_saveexec_b64 s[94:95], vcc
	s_cbranch_execz .LBB2_57
; %bb.59:                               ;   in Loop: Header=BB2_58 Depth=2
	s_cmpk_lt_i32 s64, 0x270f
	s_cselect_b64 s[36:37], -1, 0
	s_cmpk_gt_i32 s64, 0x270e
	s_mov_b64 s[30:31], -1
	s_cbranch_scc0 .LBB2_61
; %bb.60:                               ;   in Loop: Header=BB2_58 Depth=2
	s_trap 2
	ds_read_b64 v[12:13], v0
	s_andn2_b64 s[36:37], s[36:37], exec
	s_mov_b32 s64, 0
	s_mov_b64 s[34:35], 0
	s_waitcnt vmcnt(0) lgkmcnt(0)
	flat_load_dword v1, v[12:13] glc
	s_waitcnt vmcnt(0) lgkmcnt(0)
	buffer_wbinvl1_vol
	v_cmp_eq_u32_e64 s[20:21], 0, v1
	s_and_b64 s[20:21], s[20:21], exec
	s_or_b64 s[36:37], s[36:37], s[20:21]
	s_and_saveexec_b64 s[38:39], s[36:37]
	s_cbranch_execz .LBB2_56
	s_branch .LBB2_55
.LBB2_61:                               ;   in Loop: Header=BB2_58 Depth=2
	s_add_i32 s64, s64, 1
	s_mov_b64 s[34:35], -1
                                        ; implicit-def: $vgpr1
	s_and_saveexec_b64 s[38:39], s[36:37]
	s_cbranch_execz .LBB2_56
	s_branch .LBB2_55
.LBB2_62:                               ;   in Loop: Header=BB2_49 Depth=1
	s_or_b64 exec, exec, s[78:79]
	s_xor_b64 s[20:21], s[88:89], -1
	s_and_saveexec_b64 s[78:79], s[20:21]
	s_xor_b64 s[20:21], exec, s[78:79]
	s_cbranch_execz .LBB2_64
; %bb.63:                               ;   in Loop: Header=BB2_49 Depth=1
	v_or_b32_e32 v57, 64, v57
	s_waitcnt lgkmcnt(0)
	ds_write_b32 v0, v1
	s_trap 2
.LBB2_64:                               ;   in Loop: Header=BB2_49 Depth=1
	s_or_b64 exec, exec, s[20:21]
.LBB2_65:                               ;   in Loop: Header=BB2_49 Depth=1
	s_or_b64 exec, exec, s[76:77]
	v_and_b32_e32 v1, 0x108, v57
	v_cmp_ne_u32_e32 vcc, s51, v1
	v_and_b32_e32 v1, 7, v8
	;;#ASMSTART
	s_wakeup
	;;#ASMEND
	s_and_saveexec_b64 s[20:21], vcc
	s_xor_b64 s[20:21], exec, s[20:21]
	s_andn2_saveexec_b64 s[20:21], s[20:21]
	s_cbranch_execz .LBB2_67
; %bb.66:                               ;   in Loop: Header=BB2_49 Depth=1
	v_mad_u64_u32 v[8:9], s[76:77], v1, 24, v[6:7]
	v_mov_b32_e32 v50, v37
	flat_store_dwordx2 v[8:9], v[49:50] offset:8
.LBB2_67:                               ;   in Loop: Header=BB2_49 Depth=1
	s_or_b64 exec, exec, s[20:21]
	v_and_b32_e32 v8, 0x100, v57
	v_cmp_ne_u32_e32 vcc, 0, v8
	s_mov_b64 s[20:21], -1
                                        ; implicit-def: $vgpr8_vgpr9
	s_and_saveexec_b64 s[76:77], vcc
	s_cbranch_execz .LBB2_71
; %bb.68:                               ;   in Loop: Header=BB2_49 Depth=1
	v_mad_u64_u32 v[12:13], s[20:21], v1, 24, v[6:7]
	v_mov_b32_e32 v8, v13
	v_mad_u64_u32 v[8:9], s[20:21], v37, 24, v[8:9]
	v_mov_b32_e32 v13, v8
	flat_load_dword v8, v[12:13]
	s_waitcnt vmcnt(0) lgkmcnt(0)
	v_cmp_ne_u32_e32 vcc, 1, v8
	v_cmp_eq_u32_e64 s[20:21], 1, v8
                                        ; implicit-def: $vgpr8_vgpr9
	s_and_saveexec_b64 s[78:79], s[20:21]
	s_cbranch_execz .LBB2_70
; %bb.69:                               ;   in Loop: Header=BB2_49 Depth=1
	flat_load_dword v8, v[12:13] offset:4 glc
	s_waitcnt vmcnt(0) lgkmcnt(0)
	v_ashrrev_i32_e32 v9, 31, v8
.LBB2_70:                               ;   in Loop: Header=BB2_49 Depth=1
	s_or_b64 exec, exec, s[78:79]
	s_orn2_b64 s[20:21], vcc, exec
.LBB2_71:                               ;   in Loop: Header=BB2_49 Depth=1
	s_or_b64 exec, exec, s[76:77]
	s_and_saveexec_b64 s[76:77], s[20:21]
	s_cbranch_execz .LBB2_73
; %bb.72:                               ;   in Loop: Header=BB2_49 Depth=1
	buffer_load_dword v8, off, s[0:3], s33 offset:88 ; 4-byte Folded Reload
	s_waitcnt vmcnt(0)
	v_mul_lo_u32 v13, v1, v52
	s_waitcnt vmcnt(0)
	v_mul_lo_u32 v12, v37, v8
	v_mad_u64_u32 v[8:9], s[20:21], v1, v8, 0
	v_add3_u32 v9, v9, v13, v12
.LBB2_73:                               ;   in Loop: Header=BB2_49 Depth=1
	s_or_b64 exec, exec, s[76:77]
	v_cmp_eq_u32_e32 vcc, 0, v0
	buffer_load_dword v0, off, s[0:3], s33 offset:60 ; 4-byte Folded Reload
	buffer_load_dword v1, off, s[0:3], s33 offset:64 ; 4-byte Folded Reload
	v_cndmask_b32_e32 v12, v40, v41, vcc
	s_waitcnt vmcnt(0)
	v_add_co_u32_e32 v0, vcc, v0, v8
	v_addc_co_u32_e32 v1, vcc, v1, v9, vcc
	v_add_u32_e32 v8, v0, v12
	ds_write_b64 v8, v[0:1] offset:584
	v_and_b32_e32 v0, 0x2000, v57
	v_cmp_ne_u32_e32 vcc, 0, v0
	s_and_saveexec_b64 s[20:21], vcc
	s_cbranch_execz .LBB2_75
; %bb.74:                               ;   in Loop: Header=BB2_49 Depth=1
	ds_read_b64 v[0:1], v0 offset:872
	s_waitcnt lgkmcnt(0)
	v_add_co_u32_e32 v0, vcc, 1, v0
	v_addc_co_u32_e32 v1, vcc, 0, v1, vcc
	ds_write_b64 v0, v[0:1] offset:872
.LBB2_75:                               ;   in Loop: Header=BB2_49 Depth=1
	s_or_b64 exec, exec, s[20:21]
	v_mov_b32_e32 v8, v10
	v_mov_b32_e32 v9, v11
.LBB2_76:                               ;   in Loop: Header=BB2_49 Depth=1
	s_or_b64 exec, exec, s[22:23]
	s_and_saveexec_b64 s[20:21], s[10:11]
	s_cbranch_execz .LBB2_95
; %bb.77:                               ;   in Loop: Header=BB2_49 Depth=1
	s_and_saveexec_b64 s[22:23], s[42:43]
	s_xor_b64 s[22:23], exec, s[22:23]
	s_cbranch_execz .LBB2_92
; %bb.78:                               ;   in Loop: Header=BB2_49 Depth=1
	s_and_saveexec_b64 s[76:77], s[12:13]
	s_cbranch_execz .LBB2_91
; %bb.79:                               ;   in Loop: Header=BB2_49 Depth=1
	s_mov_b64 s[88:89], exec
	v_mbcnt_lo_u32_b32 v0, s88, 0
	v_mbcnt_hi_u32_b32 v0, s89, v0
	v_cmp_eq_u32_e32 vcc, 0, v0
	s_waitcnt vmcnt(0) lgkmcnt(0)
	buffer_wbinvl1_vol
	s_and_saveexec_b64 s[78:79], vcc
	s_cbranch_execz .LBB2_81
; %bb.80:                               ;   in Loop: Header=BB2_49 Depth=1
	s_bcnt1_i32_b64 s88, s[88:89]
	v_mov_b32_e32 v36, s88
	ds_add_u64 v0, v[36:37]
	s_trap 2
.LBB2_81:                               ;   in Loop: Header=BB2_49 Depth=1
	s_or_b64 exec, exec, s[78:79]
	s_trap 2
	ds_read_b64 v[0:1], v0
	s_waitcnt lgkmcnt(0)
	v_add_co_u32_e32 v26, vcc, v26, v61
	v_addc_co_u32_e32 v27, vcc, 0, v27, vcc
	v_cmp_lt_u64_e32 vcc, v[0:1], v[26:27]
	s_and_saveexec_b64 s[78:79], vcc
	s_cbranch_execz .LBB2_90
; %bb.82:                               ;   in Loop: Header=BB2_49 Depth=1
	s_mov_b32 s34, 0
	s_mov_b64 s[88:89], 0
                                        ; implicit-def: $sgpr90_sgpr91
                                        ; implicit-def: $sgpr92_sgpr93
	s_branch .LBB2_84
.LBB2_83:                               ;   in Loop: Header=BB2_84 Depth=2
	s_or_b64 exec, exec, s[30:31]
	s_and_b64 s[94:95], exec, vcc
	s_or_b64 s[88:89], s[94:95], s[88:89]
	s_andn2_b64 s[90:91], s[90:91], exec
	s_and_b64 s[94:95], s[92:93], exec
	s_or_b64 s[90:91], s[90:91], s[94:95]
	s_andn2_b64 exec, exec, s[88:89]
	s_cbranch_execz .LBB2_88
.LBB2_84:                               ;   Parent Loop BB2_49 Depth=1
                                        ; =>  This Inner Loop Header: Depth=2
	s_add_i32 s34, s34, 1
	s_cmpk_lg_i32 s34, 0x2710
	s_cselect_b64 s[94:95], -1, 0
	s_and_b64 vcc, exec, s[94:95]
	s_cbranch_vccz .LBB2_86
; %bb.85:                               ;   in Loop: Header=BB2_84 Depth=2
	s_mov_b64 vcc, -1
	s_or_b64 s[92:93], s[92:93], exec
	s_and_saveexec_b64 s[30:31], s[94:95]
	s_cbranch_execz .LBB2_83
	s_branch .LBB2_87
.LBB2_86:                               ;   in Loop: Header=BB2_84 Depth=2
	s_trap 2
	ds_read_b64 v[0:1], v0
	s_andn2_b64 s[94:95], s[94:95], exec
	s_mov_b32 s34, 0
	s_waitcnt lgkmcnt(0)
	flat_load_dword v0, v[0:1] glc
	s_waitcnt vmcnt(0) lgkmcnt(0)
	buffer_wbinvl1_vol
	v_cmp_eq_u32_e32 vcc, 0, v0
	s_and_b64 vcc, vcc, exec
	s_or_b64 s[94:95], s[94:95], vcc
	s_mov_b64 vcc, -1
	s_or_b64 s[92:93], s[92:93], exec
	s_and_saveexec_b64 s[30:31], s[94:95]
	s_cbranch_execz .LBB2_83
.LBB2_87:                               ;   in Loop: Header=BB2_84 Depth=2
	s_sleep 1
	s_trap 2
	ds_read_b64 v[0:1], v0
	s_waitcnt lgkmcnt(0)
	s_andn2_b64 s[92:93], s[92:93], exec
	v_cmp_ge_u64_e32 vcc, v[0:1], v[26:27]
	s_orn2_b64 vcc, vcc, exec
	s_branch .LBB2_83
.LBB2_88:                               ;   in Loop: Header=BB2_49 Depth=1
	s_or_b64 exec, exec, s[88:89]
	s_and_saveexec_b64 s[88:89], s[90:91]
	s_xor_b64 s[88:89], exec, s[88:89]
	s_cbranch_execz .LBB2_90
; %bb.89:                               ;   in Loop: Header=BB2_49 Depth=1
	ds_write_b32 v0, v54
	s_trap 2
.LBB2_90:                               ;   in Loop: Header=BB2_49 Depth=1
	s_or_b64 exec, exec, s[78:79]
	;;#ASMSTART
	s_wakeup
	;;#ASMEND
.LBB2_91:                               ;   in Loop: Header=BB2_49 Depth=1
	s_or_b64 exec, exec, s[76:77]
.LBB2_92:                               ;   in Loop: Header=BB2_49 Depth=1
	s_andn2_saveexec_b64 s[22:23], s[22:23]
	s_cbranch_execz .LBB2_94
; %bb.93:                               ;   in Loop: Header=BB2_49 Depth=1
	s_waitcnt vmcnt(0) lgkmcnt(0)
	buffer_wbinvl1_vol
	s_barrier
.LBB2_94:                               ;   in Loop: Header=BB2_49 Depth=1
	s_or_b64 exec, exec, s[22:23]
.LBB2_95:                               ;   in Loop: Header=BB2_49 Depth=1
	s_or_b64 exec, exec, s[20:21]
	s_trap 2
	ds_read_b32 v0, v0
	v_and_b32_e32 v1, 0x4000, v57
	v_cmp_ne_u32_e32 vcc, 0, v1
	s_and_b64 s[22:23], s[46:47], vcc
	s_and_saveexec_b64 s[20:21], s[22:23]
	s_cbranch_execz .LBB2_114
; %bb.96:                               ;   in Loop: Header=BB2_49 Depth=1
	s_and_saveexec_b64 s[22:23], s[42:43]
	s_xor_b64 s[22:23], exec, s[22:23]
	s_cbranch_execz .LBB2_111
; %bb.97:                               ;   in Loop: Header=BB2_49 Depth=1
	s_and_saveexec_b64 s[76:77], s[12:13]
	s_cbranch_execz .LBB2_110
; %bb.98:                               ;   in Loop: Header=BB2_49 Depth=1
	s_mov_b64 s[88:89], exec
	v_mbcnt_lo_u32_b32 v1, s88, 0
	v_mbcnt_hi_u32_b32 v1, s89, v1
	v_cmp_eq_u32_e32 vcc, 0, v1
	s_waitcnt vmcnt(0) lgkmcnt(0)
	buffer_wbinvl1_vol
	s_and_saveexec_b64 s[78:79], vcc
	s_cbranch_execz .LBB2_100
; %bb.99:                               ;   in Loop: Header=BB2_49 Depth=1
	s_bcnt1_i32_b64 s88, s[88:89]
	v_mov_b32_e32 v36, s88
	ds_add_u64 v0, v[36:37]
	s_trap 2
.LBB2_100:                              ;   in Loop: Header=BB2_49 Depth=1
	s_or_b64 exec, exec, s[78:79]
	s_trap 2
	ds_read_b64 v[10:11], v0
	s_waitcnt lgkmcnt(0)
	v_add_co_u32_e32 v26, vcc, v26, v61
	v_addc_co_u32_e32 v27, vcc, 0, v27, vcc
	v_cmp_lt_u64_e32 vcc, v[10:11], v[26:27]
	s_and_saveexec_b64 s[78:79], vcc
	s_cbranch_execz .LBB2_109
; %bb.101:                              ;   in Loop: Header=BB2_49 Depth=1
	s_mov_b32 s34, 0
	s_mov_b64 s[88:89], 0
                                        ; implicit-def: $sgpr90_sgpr91
                                        ; implicit-def: $sgpr92_sgpr93
	s_branch .LBB2_103
.LBB2_102:                              ;   in Loop: Header=BB2_103 Depth=2
	s_or_b64 exec, exec, s[30:31]
	s_and_b64 s[94:95], exec, vcc
	s_or_b64 s[88:89], s[94:95], s[88:89]
	s_andn2_b64 s[90:91], s[90:91], exec
	s_and_b64 s[94:95], s[92:93], exec
	s_or_b64 s[90:91], s[90:91], s[94:95]
	s_andn2_b64 exec, exec, s[88:89]
	s_cbranch_execz .LBB2_107
.LBB2_103:                              ;   Parent Loop BB2_49 Depth=1
                                        ; =>  This Inner Loop Header: Depth=2
	s_add_i32 s34, s34, 1
	s_cmpk_lg_i32 s34, 0x2710
	s_cselect_b64 s[94:95], -1, 0
	s_and_b64 vcc, exec, s[94:95]
	s_cbranch_vccz .LBB2_105
; %bb.104:                              ;   in Loop: Header=BB2_103 Depth=2
	s_mov_b64 vcc, -1
	s_or_b64 s[92:93], s[92:93], exec
	s_and_saveexec_b64 s[30:31], s[94:95]
	s_cbranch_execz .LBB2_102
	s_branch .LBB2_106
.LBB2_105:                              ;   in Loop: Header=BB2_103 Depth=2
	s_trap 2
	ds_read_b64 v[10:11], v0
	s_andn2_b64 s[94:95], s[94:95], exec
	s_mov_b32 s34, 0
	s_waitcnt lgkmcnt(0)
	flat_load_dword v1, v[10:11] glc
	s_waitcnt vmcnt(0) lgkmcnt(0)
	buffer_wbinvl1_vol
	v_cmp_eq_u32_e32 vcc, 0, v1
	s_and_b64 vcc, vcc, exec
	s_or_b64 s[94:95], s[94:95], vcc
	s_mov_b64 vcc, -1
	s_or_b64 s[92:93], s[92:93], exec
	s_and_saveexec_b64 s[30:31], s[94:95]
	s_cbranch_execz .LBB2_102
.LBB2_106:                              ;   in Loop: Header=BB2_103 Depth=2
	s_sleep 1
	s_trap 2
	ds_read_b64 v[10:11], v0
	s_waitcnt lgkmcnt(0)
	s_andn2_b64 s[92:93], s[92:93], exec
	v_cmp_ge_u64_e32 vcc, v[10:11], v[26:27]
	s_orn2_b64 vcc, vcc, exec
	s_branch .LBB2_102
.LBB2_107:                              ;   in Loop: Header=BB2_49 Depth=1
	s_or_b64 exec, exec, s[88:89]
	s_and_saveexec_b64 s[88:89], s[90:91]
	s_xor_b64 s[88:89], exec, s[88:89]
	s_cbranch_execz .LBB2_109
; %bb.108:                              ;   in Loop: Header=BB2_49 Depth=1
	ds_write_b32 v0, v54
	s_trap 2
.LBB2_109:                              ;   in Loop: Header=BB2_49 Depth=1
	s_or_b64 exec, exec, s[78:79]
	;;#ASMSTART
	s_wakeup
	;;#ASMEND
.LBB2_110:                              ;   in Loop: Header=BB2_49 Depth=1
	s_or_b64 exec, exec, s[76:77]
.LBB2_111:                              ;   in Loop: Header=BB2_49 Depth=1
	s_andn2_saveexec_b64 s[22:23], s[22:23]
	s_cbranch_execz .LBB2_113
; %bb.112:                              ;   in Loop: Header=BB2_49 Depth=1
	s_waitcnt vmcnt(0) lgkmcnt(0)
	buffer_wbinvl1_vol
	s_barrier
.LBB2_113:                              ;   in Loop: Header=BB2_49 Depth=1
	s_or_b64 exec, exec, s[22:23]
.LBB2_114:                              ;   in Loop: Header=BB2_49 Depth=1
	s_or_b64 exec, exec, s[20:21]
	s_trap 2
	s_waitcnt lgkmcnt(0)
	ds_read_b64 v[18:19], v0
	s_waitcnt lgkmcnt(0)
	v_cmp_eq_u64_e32 vcc, 0, v[18:19]
	s_cbranch_vccnz .LBB2_122
; %bb.115:                              ;   in Loop: Header=BB2_49 Depth=1
	s_trap 2
	ds_read_b64 v[16:17], v0
	s_waitcnt lgkmcnt(0)
	v_cmp_eq_u64_e32 vcc, 0, v[16:17]
	s_cbranch_vccnz .LBB2_122
; %bb.116:                              ;   in Loop: Header=BB2_49 Depth=1
	s_mov_b64 s[20:21], -1
	s_and_saveexec_b64 s[22:23], s[14:15]
	s_cbranch_execz .LBB2_118
; %bb.117:                              ;   in Loop: Header=BB2_49 Depth=1
	ds_read_b32 v1, v0 offset:720
	s_waitcnt lgkmcnt(0)
	v_and_b32_e32 v1, 15, v1
	v_cmp_eq_u32_e32 vcc, 0, v1
	s_orn2_b64 s[20:21], vcc, exec
.LBB2_118:                              ;   in Loop: Header=BB2_49 Depth=1
	s_or_b64 exec, exec, s[22:23]
	s_and_saveexec_b64 s[22:23], s[16:17]
	s_cbranch_execz .LBB2_120
; %bb.119:                              ;   in Loop: Header=BB2_49 Depth=1
	ds_read_b32 v1, v0 offset:784
	s_waitcnt lgkmcnt(0)
	v_and_b32_e32 v1, 15, v1
	v_cmp_eq_u32_e32 vcc, 0, v1
	s_and_b64 s[76:77], s[20:21], vcc
	s_andn2_b64 s[20:21], s[20:21], exec
	s_and_b64 s[76:77], s[76:77], exec
	s_or_b64 s[20:21], s[20:21], s[76:77]
.LBB2_120:                              ;   in Loop: Header=BB2_49 Depth=1
	s_or_b64 exec, exec, s[22:23]
	v_cmp_eq_u32_e32 vcc, 0, v0
	s_xor_b64 s[20:21], s[20:21], -1
	v_cndmask_b32_e32 v42, 0, v49, vcc
	v_cndmask_b32_e64 v0, 0, 1, s[20:21]
	s_mov_b64 s[76:77], -1
	v_cmp_ne_u32_e32 vcc, 0, v0
	v_mov_b32_e32 v59, 0
	v_mov_b32_e32 v11, v42
	s_waitcnt vmcnt(0)
	v_mov_b32_e32 v0, v55
	s_cbranch_vccz .LBB2_123
; %bb.121:                              ;   in Loop: Header=BB2_49 Depth=1
	s_and_saveexec_b64 s[22:23], s[76:77]
	s_cbranch_execnz .LBB2_1030
	s_branch .LBB2_1326
.LBB2_122:                              ;   in Loop: Header=BB2_49 Depth=1
	s_mov_b64 s[20:21], 0
	s_and_saveexec_b64 s[22:23], s[10:11]
	s_cbranch_execnz .LBB2_1327
	s_branch .LBB2_1345
.LBB2_123:                              ;   in Loop: Header=BB2_49 Depth=1
	buffer_load_dword v0, off, s[0:3], s33 offset:96 ; 4-byte Folded Reload
	buffer_load_dword v1, off, s[0:3], s33 offset:160 ; 4-byte Folded Reload
	v_and_b32_e32 v10, 0x3ff, v42
	v_cmp_lt_u32_e32 vcc, 15, v10
	s_waitcnt vmcnt(1)
	v_sub_u32_e32 v58, v42, v0
	v_lshrrev_b32_e32 v0, 10, v42
	s_waitcnt vmcnt(0)
	v_addc_co_u32_e64 v34, s[20:21], v0, v1, vcc
	v_cmp_lt_i32_e64 s[20:21], 15, v58
	s_and_saveexec_b64 s[76:77], s[20:21]
	s_cbranch_execz .LBB2_575
; %bb.124:                              ;   in Loop: Header=BB2_49 Depth=1
	buffer_store_dword v10, off, s[0:3], s33 offset:164 ; 4-byte Folded Spill
	buffer_store_dword v42, off, s[0:3], s33 offset:136 ; 4-byte Folded Spill
	s_trap 2
	buffer_load_dword v10, off, s[0:3], s33 offset:96 ; 4-byte Folded Reload
	buffer_load_dword v11, off, s[0:3], s33 offset:172 ; 4-byte Folded Reload
	ds_read_b64 v[0:1], v0
	s_mov_b64 s[78:79], 0
	s_waitcnt vmcnt(1)
	v_add_co_u32_e64 v54, s[20:21], v18, v10
	buffer_store_dword v18, off, s[0:3], s33 offset:152 ; 4-byte Folded Spill
	s_nop 0
	buffer_store_dword v19, off, s[0:3], s33 offset:156 ; 4-byte Folded Spill
	s_waitcnt vmcnt(2)
	v_addc_co_u32_e64 v55, s[20:21], v19, v11, s[20:21]
	s_waitcnt lgkmcnt(0)
	v_add_co_u32_e64 v40, s[20:21], v0, v10
	v_addc_co_u32_e64 v41, s[20:21], v1, v11, s[20:21]
	v_add_co_u32_e64 v42, s[20:21], v16, v10
	buffer_store_dword v16, off, s[0:3], s33 offset:144 ; 4-byte Folded Spill
	s_nop 0
	buffer_store_dword v17, off, s[0:3], s33 offset:148 ; 4-byte Folded Spill
	v_addc_co_u32_e64 v43, s[20:21], v17, v11, s[20:21]
	s_branch .LBB2_126
.LBB2_125:                              ;   in Loop: Header=BB2_126 Depth=2
	s_or_b64 exec, exec, s[20:21]
	v_lshl_or_b32 v0, v0, 8, v51
	v_lshlrev_b32_e32 v11, 16, v30
	v_lshlrev_b32_e32 v12, 24, v46
	v_or3_b32 v12, v0, v11, v12
	v_lshl_or_b32 v0, v35, 8, v1
	v_lshlrev_b32_e32 v1, 16, v31
	v_lshlrev_b32_e32 v11, 24, v50
	v_add_co_u32_e64 v54, s[20:21], v54, v62
	v_or3_b32 v11, v0, v1, v11
	v_lshl_or_b32 v0, v18, 8, v47
	v_lshlrev_b32_e32 v1, 16, v19
	v_lshlrev_b32_e32 v13, 24, v59
	v_addc_co_u32_e64 v55, s[20:21], 0, v55, s[20:21]
	v_or3_b32 v13, v0, v1, v13
	v_lshlrev_b32_e32 v0, 24, v10
	v_lshlrev_b32_e32 v1, 16, v14
	v_lshl_or_b32 v10, v45, 8, v44
	v_add_co_u32_e64 v40, s[20:21], v40, v62
	v_or3_b32 v14, v10, v1, v0
	v_addc_co_u32_e64 v41, s[20:21], 0, v41, s[20:21]
	global_store_dwordx4 v[42:43], v[11:14], off glc slc
	v_add_co_u32_e64 v42, s[20:21], v42, v62
	v_addc_co_u32_e64 v43, s[20:21], 0, v43, s[20:21]
	v_sub_u32_e32 v58, v58, v62
	v_cmp_gt_i32_e64 s[20:21], 16, v58
	s_or_b64 s[78:79], s[20:21], s[78:79]
	v_sub_u32_e32 v34, v34, v61
	s_andn2_b64 exec, exec, s[78:79]
	s_cbranch_execz .LBB2_574
.LBB2_126:                              ;   Parent Loop BB2_49 Depth=1
                                        ; =>  This Inner Loop Header: Depth=2
	global_load_dwordx4 v[14:17], v[54:55], off glc slc
	global_load_dwordx4 v[10:13], v[40:41], off glc slc
	v_mov_b32_e32 v0, 0
	s_waitcnt vmcnt(1)
	v_cmp_ne_u16_sdwa s[20:21], v14, v37 src0_sel:BYTE_0 src1_sel:DWORD
	s_and_saveexec_b64 s[22:23], s[20:21]
	s_cbranch_execz .LBB2_132
; %bb.127:                              ;   in Loop: Header=BB2_126 Depth=2
	v_cmp_ne_u16_sdwa s[20:21], v14, s52 src0_sel:BYTE_0 src1_sel:DWORD
	v_bfrev_b32_e32 v0, 1
	s_and_saveexec_b64 s[88:89], s[20:21]
	s_cbranch_execz .LBB2_131
; %bb.128:                              ;   in Loop: Header=BB2_126 Depth=2
	v_and_b32_e32 v1, 0x7f, v14
	v_cmp_ne_u32_e64 s[20:21], s53, v1
	v_mov_b32_e32 v0, 0x7f800001
	s_and_saveexec_b64 s[90:91], s[20:21]
	s_cbranch_execz .LBB2_130
; %bb.129:                              ;   in Loop: Header=BB2_126 Depth=2
	v_and_b32_e32 v0, 7, v14
	v_ffbh_u32_e32 v0, v0
	v_min_u32_e32 v0, 32, v0
	v_lshrrev_b32_e32 v18, 3, v1
	v_cmp_gt_u32_e64 s[20:21], 8, v1
	v_subrev_u32_e32 v1, 28, v0
	v_sub_u32_e32 v0, 29, v0
	v_cndmask_b32_e64 v18, v18, v0, s[20:21]
	v_cndmask_b32_e64 v0, 0, v1, s[20:21]
	v_lshlrev_b64 v[0:1], v0, v[14:15]
	v_lshlrev_b32_e32 v1, 24, v14
	v_lshlrev_b32_e32 v0, 20, v0
	v_and_b32_e32 v0, 0x700000, v0
	v_and_b32_e32 v1, 0x80000000, v1
	v_lshl_add_u32 v18, v18, 23, v3
	v_or3_b32 v0, v1, v18, v0
.LBB2_130:                              ;   in Loop: Header=BB2_126 Depth=2
	s_or_b64 exec, exec, s[90:91]
.LBB2_131:                              ;   in Loop: Header=BB2_126 Depth=2
	s_or_b64 exec, exec, s[88:89]
.LBB2_132:                              ;   in Loop: Header=BB2_126 Depth=2
	s_or_b64 exec, exec, s[22:23]
	s_waitcnt vmcnt(0)
	v_cmp_gt_i16_sdwa s[22:23], v10, s53 src0_sel:BYTE_0 src1_sel:DWORD
	s_mov_b64 s[20:21], 0
	s_and_saveexec_b64 s[88:89], s[22:23]
	s_xor_b64 s[22:23], exec, s[88:89]
	s_cbranch_execz .LBB2_554
; %bb.133:                              ;   in Loop: Header=BB2_126 Depth=2
	v_cmp_eq_u16_sdwa s[90:91], v10, s52 src0_sel:BYTE_0 src1_sel:DWORD
	s_mov_b64 s[20:21], -1
	s_and_saveexec_b64 s[88:89], s[90:91]
; %bb.134:                              ;   in Loop: Header=BB2_126 Depth=2
	s_xor_b64 s[20:21], exec, -1
; %bb.135:                              ;   in Loop: Header=BB2_126 Depth=2
	s_or_b64 exec, exec, s[88:89]
	s_and_b64 s[20:21], s[20:21], exec
	s_or_saveexec_b64 s[22:23], s[22:23]
	v_bfrev_b32_e32 v1, 1
	s_xor_b64 exec, exec, s[22:23]
	s_cbranch_execnz .LBB2_555
.LBB2_136:                              ;   in Loop: Header=BB2_126 Depth=2
	s_or_b64 exec, exec, s[22:23]
	s_and_saveexec_b64 s[22:23], s[20:21]
	s_cbranch_execz .LBB2_138
.LBB2_137:                              ;   in Loop: Header=BB2_126 Depth=2
	v_and_b32_e32 v1, 7, v10
	v_ffbh_u32_e32 v1, v1
	v_and_b32_e32 v24, 0x7f, v10
	v_min_u32_e32 v1, 32, v1
	v_bfe_u32 v18, v10, 3, 4
	v_subrev_u32_e32 v19, 28, v1
	v_sub_u32_e32 v1, 29, v1
	v_cmp_gt_u32_e64 s[20:21], 8, v24
	v_cndmask_b32_e64 v1, v18, v1, s[20:21]
	v_cndmask_b32_e64 v18, 0, v19, s[20:21]
	v_lshlrev_b64 v[18:19], v18, v[10:11]
	v_lshlrev_b32_e32 v19, 24, v10
	v_lshlrev_b32_e32 v18, 20, v18
	v_and_b32_e32 v18, 0x700000, v18
	v_and_b32_e32 v19, 0x80000000, v19
	v_lshl_add_u32 v1, v1, 23, v3
	v_or3_b32 v1, v19, v1, v18
	v_cmp_ne_u32_e64 s[20:21], s53, v24
	v_cndmask_b32_e64 v1, v56, v1, s[20:21]
.LBB2_138:                              ;   in Loop: Header=BB2_126 Depth=2
	s_or_b64 exec, exec, s[22:23]
	v_add_f32_e32 v18, v0, v1
	v_and_b32_e32 v36, 0x7f800000, v18
	v_cmp_ne_u64_e64 s[20:21], s[56:57], v[36:37]
                                        ; implicit-def: $vgpr1
	s_and_saveexec_b64 s[22:23], s[20:21]
	s_xor_b64 s[88:89], exec, s[22:23]
	s_cbranch_execz .LBB2_152
; %bb.139:                              ;   in Loop: Header=BB2_126 Depth=2
	v_and_b32_e32 v36, 0x7fffffff, v18
	v_cmp_gt_u64_e64 s[20:21], s[58:59], v[36:37]
	v_and_b32_sdwa v0, v18, s52 dst_sel:DWORD dst_unused:UNUSED_PAD src0_sel:BYTE_3 src1_sel:DWORD
                                        ; implicit-def: $vgpr1
	s_and_saveexec_b64 s[22:23], s[20:21]
	s_xor_b64 s[90:91], exec, s[22:23]
	s_cbranch_execz .LBB2_149
; %bb.140:                              ;   in Loop: Header=BB2_126 Depth=2
	v_mov_b32_e32 v1, 0
	v_cmp_ne_u32_e64 s[20:21], 0, v18
	s_and_saveexec_b64 s[92:93], s[20:21]
	s_cbranch_execz .LBB2_148
; %bb.141:                              ;   in Loop: Header=BB2_126 Depth=2
	v_bfe_u32 v1, v18, 23, 8
	v_and_b32_e32 v19, 0x7fffff, v18
	v_cmp_gt_u32_e64 s[22:23], s54, v1
	v_sub_u32_e32 v18, 0x79, v1
	v_cmp_eq_u32_e64 s[20:21], 0, v1
	v_cndmask_b32_e64 v18, 0, v18, s[22:23]
	v_or_b32_e32 v24, 0x800000, v19
	v_cndmask_b32_e64 v18, v18, v2, s[20:21]
	v_cndmask_b32_e64 v36, v24, v19, s[20:21]
	v_add_u32_e32 v19, 20, v18
	v_lshlrev_b64 v[24:25], v19, -1
	v_add_u32_e32 v19, 19, v18
	v_lshlrev_b64 v[30:31], v19, 1
	v_lshrrev_b64 v[44:45], v18, v[36:37]
	v_bfi_b32 v25, v25, 0, 0
	v_bfi_b32 v24, v24, 0, v36
	v_cmp_eq_u64_e64 s[22:23], v[24:25], v[30:31]
	v_mov_b32_e32 v46, v45
	v_mov_b32_e32 v45, v44
	s_and_saveexec_b64 s[94:95], s[22:23]
; %bb.142:                              ;   in Loop: Header=BB2_126 Depth=2
	v_bfe_u32 v19, v44, 20, 1
	v_add_co_u32_e64 v19, s[22:23], v44, v19
	v_add_co_u32_e64 v45, s[22:23], -1, v19
; %bb.143:                              ;   in Loop: Header=BB2_126 Depth=2
	s_or_b64 exec, exec, s[94:95]
	v_add_u32_e32 v1, 0xffffff81, v1
	v_cndmask_b32_e64 v1, v1, v20, s[20:21]
	v_lshrrev_b32_e32 v19, 23, v44
	v_add3_u32 v19, v18, v1, v19
	v_add_u32_e32 v18, 6, v19
	v_and_b32_e32 v1, 0xfffff, v45
	v_add_u32_e32 v36, v1, v44
	v_cmp_ne_u32_e64 s[20:21], 0, v18
                                        ; implicit-def: $vgpr44_vgpr45
                                        ; implicit-def: $vgpr1
	s_and_saveexec_b64 s[22:23], s[20:21]
	s_xor_b64 s[22:23], exec, s[22:23]
; %bb.144:                              ;   in Loop: Header=BB2_126 Depth=2
	v_cmp_lt_u64_e64 s[20:21], s[60:61], v[36:37]
	v_add_u32_e32 v1, 7, v19
	v_cndmask_b32_e64 v1, v18, v1, s[20:21]
	v_cndmask_b32_e64 v18, 0, 1, s[20:21]
	v_lshrrev_b64 v[44:45], v18, v[36:37]
; %bb.145:                              ;   in Loop: Header=BB2_126 Depth=2
	s_andn2_saveexec_b64 s[20:21], s[22:23]
; %bb.146:                              ;   in Loop: Header=BB2_126 Depth=2
	v_mov_b32_e32 v45, v37
	v_bfe_u32 v1, v36, 23, 1
	v_mov_b32_e32 v44, v36
; %bb.147:                              ;   in Loop: Header=BB2_126 Depth=2
	s_or_b64 exec, exec, s[20:21]
	v_lshrrev_b64 v[18:19], 20, v[44:45]
	v_cmp_gt_i32_e64 s[20:21], 16, v1
	v_cndmask_b32_e64 v19, 0, v19, s[20:21]
	v_cndmask_b32_e64 v18, 7, v18, s[20:21]
	v_cmp_eq_u32_e64 s[20:21], 0, v1
	v_min_i32_e32 v1, 15, v1
	v_cmp_eq_u64_e64 s[22:23], 0, v[18:19]
	v_lshlrev_b32_e32 v1, 3, v1
	v_and_b32_e32 v1, 0xf8, v1
	v_and_or_b32 v1, v18, 7, v1
	s_and_b64 s[20:21], s[20:21], s[22:23]
	v_cndmask_b32_e64 v1, v1, 0, s[20:21]
	v_or_b32_e32 v1, v1, v0
.LBB2_148:                              ;   in Loop: Header=BB2_126 Depth=2
	s_or_b64 exec, exec, s[92:93]
                                        ; implicit-def: $vgpr0
.LBB2_149:                              ;   in Loop: Header=BB2_126 Depth=2
	s_andn2_saveexec_b64 s[20:21], s[90:91]
; %bb.150:                              ;   in Loop: Header=BB2_126 Depth=2
	v_or_b32_e32 v1, 0x7e, v0
; %bb.151:                              ;   in Loop: Header=BB2_126 Depth=2
	s_or_b64 exec, exec, s[20:21]
                                        ; implicit-def: $vgpr18
.LBB2_152:                              ;   in Loop: Header=BB2_126 Depth=2
	s_andn2_saveexec_b64 s[20:21], s[88:89]
; %bb.153:                              ;   in Loop: Header=BB2_126 Depth=2
	v_or_b32_sdwa v1, v18, s53 dst_sel:DWORD dst_unused:UNUSED_PAD src0_sel:BYTE_3 src1_sel:DWORD
; %bb.154:                              ;   in Loop: Header=BB2_126 Depth=2
	s_or_b64 exec, exec, s[20:21]
	v_lshrrev_b16_e32 v30, 8, v14
	v_cmp_ne_u16_e64 s[20:21], 0, v30
	v_mov_b32_e32 v0, 0
	s_and_saveexec_b64 s[22:23], s[20:21]
	s_cbranch_execz .LBB2_160
; %bb.155:                              ;   in Loop: Header=BB2_126 Depth=2
	v_cmp_ne_u16_e64 s[20:21], s52, v30
	v_bfrev_b32_e32 v0, 1
	s_and_saveexec_b64 s[88:89], s[20:21]
	s_cbranch_execz .LBB2_159
; %bb.156:                              ;   in Loop: Header=BB2_126 Depth=2
	v_and_b32_e32 v18, 0x7f, v30
	v_cmp_ne_u32_e64 s[20:21], s53, v18
	v_mov_b32_e32 v0, 0x7f800001
	s_and_saveexec_b64 s[90:91], s[20:21]
	s_cbranch_execz .LBB2_158
; %bb.157:                              ;   in Loop: Header=BB2_126 Depth=2
	v_and_b32_e32 v0, 7, v30
	v_lshrrev_b32_e32 v24, 3, v18
	v_cmp_gt_u32_e64 s[20:21], 8, v18
	v_ffbh_u32_e32 v18, v0
	v_min_u32_e32 v25, 32, v18
	v_subrev_u32_e32 v18, 28, v25
	v_lshlrev_b64 v[18:19], v18, v[30:31]
	v_sub_u32_e32 v19, 29, v25
	v_and_b32_e32 v18, 7, v18
	v_cndmask_b32_e64 v19, v24, v19, s[20:21]
	v_cndmask_b32_e64 v0, v0, v18, s[20:21]
	v_lshlrev_b32_e32 v18, 16, v14
	v_lshlrev_b32_e32 v0, 20, v0
	v_and_b32_e32 v18, 0x80000000, v18
	v_lshl_add_u32 v19, v19, 23, v3
	v_or3_b32 v0, v18, v19, v0
.LBB2_158:                              ;   in Loop: Header=BB2_126 Depth=2
	s_or_b64 exec, exec, s[90:91]
.LBB2_159:                              ;   in Loop: Header=BB2_126 Depth=2
	s_or_b64 exec, exec, s[88:89]
.LBB2_160:                              ;   in Loop: Header=BB2_126 Depth=2
	s_or_b64 exec, exec, s[22:23]
	v_lshrrev_b16_e32 v36, 8, v10
	v_cmp_lt_i16_e64 s[20:21], s53, v36
	s_mov_b64 s[22:23], 0
	s_and_saveexec_b64 s[88:89], s[20:21]
	s_xor_b64 s[88:89], exec, s[88:89]
	s_cbranch_execz .LBB2_556
; %bb.161:                              ;   in Loop: Header=BB2_126 Depth=2
	v_cmp_eq_u16_e64 s[20:21], s52, v36
	s_mov_b64 s[22:23], -1
	s_and_saveexec_b64 s[90:91], s[20:21]
; %bb.162:                              ;   in Loop: Header=BB2_126 Depth=2
	s_xor_b64 s[22:23], exec, -1
; %bb.163:                              ;   in Loop: Header=BB2_126 Depth=2
	s_or_b64 exec, exec, s[90:91]
	s_and_b64 s[22:23], s[22:23], exec
	s_or_saveexec_b64 s[88:89], s[88:89]
	v_bfrev_b32_e32 v18, 1
	s_xor_b64 exec, exec, s[88:89]
	s_cbranch_execnz .LBB2_557
.LBB2_164:                              ;   in Loop: Header=BB2_126 Depth=2
	s_or_b64 exec, exec, s[88:89]
	s_and_saveexec_b64 s[88:89], s[22:23]
	s_cbranch_execz .LBB2_166
.LBB2_165:                              ;   in Loop: Header=BB2_126 Depth=2
	v_and_b32_e32 v24, 7, v36
	v_ffbh_u32_e32 v18, v24
	v_min_u32_e32 v31, 32, v18
	v_subrev_u32_e32 v18, 28, v31
	v_lshlrev_b64 v[18:19], v18, v[36:37]
	v_and_b32_e32 v25, 0x7f, v36
	v_bfe_u32 v30, v36, 3, 4
	v_sub_u32_e32 v19, 29, v31
	v_and_b32_e32 v18, 7, v18
	v_cmp_gt_u32_e64 s[20:21], 8, v25
	v_cndmask_b32_e64 v19, v30, v19, s[20:21]
	v_cndmask_b32_e64 v18, v24, v18, s[20:21]
	v_lshlrev_b32_e32 v24, 24, v36
	v_lshlrev_b32_e32 v18, 20, v18
	v_and_b32_e32 v24, 0x80000000, v24
	v_lshl_add_u32 v19, v19, 23, v3
	v_or3_b32 v18, v24, v19, v18
	v_cmp_ne_u32_e64 s[20:21], s53, v25
	v_cndmask_b32_e64 v18, v56, v18, s[20:21]
.LBB2_166:                              ;   in Loop: Header=BB2_126 Depth=2
	s_or_b64 exec, exec, s[88:89]
	v_add_f32_e32 v18, v0, v18
	v_and_b32_e32 v36, 0x7f800000, v18
	v_cmp_ne_u64_e64 s[20:21], s[56:57], v[36:37]
                                        ; implicit-def: $vgpr35
	s_and_saveexec_b64 s[22:23], s[20:21]
	s_xor_b64 s[88:89], exec, s[22:23]
	s_cbranch_execz .LBB2_180
; %bb.167:                              ;   in Loop: Header=BB2_126 Depth=2
	v_and_b32_e32 v36, 0x7fffffff, v18
	v_cmp_gt_u64_e64 s[20:21], s[58:59], v[36:37]
	v_and_b32_sdwa v0, v18, s52 dst_sel:DWORD dst_unused:UNUSED_PAD src0_sel:BYTE_3 src1_sel:DWORD
                                        ; implicit-def: $vgpr35
	s_and_saveexec_b64 s[22:23], s[20:21]
	s_xor_b64 s[90:91], exec, s[22:23]
	s_cbranch_execz .LBB2_177
; %bb.168:                              ;   in Loop: Header=BB2_126 Depth=2
	v_mov_b32_e32 v35, 0
	v_cmp_ne_u32_e64 s[20:21], 0, v18
	s_and_saveexec_b64 s[92:93], s[20:21]
	s_cbranch_execz .LBB2_176
; %bb.169:                              ;   in Loop: Header=BB2_126 Depth=2
	v_and_b32_e32 v24, 0x7fffff, v18
	v_bfe_u32 v18, v18, 23, 8
	v_cmp_gt_u32_e64 s[22:23], s54, v18
	v_sub_u32_e32 v19, 0x79, v18
	v_cmp_eq_u32_e64 s[20:21], 0, v18
	v_cndmask_b32_e64 v19, 0, v19, s[22:23]
	v_or_b32_e32 v25, 0x800000, v24
	v_cndmask_b32_e64 v19, v19, v2, s[20:21]
	v_cndmask_b32_e64 v36, v25, v24, s[20:21]
	v_add_u32_e32 v24, 20, v19
	v_lshlrev_b64 v[24:25], v24, -1
	v_add_u32_e32 v30, 19, v19
	v_lshlrev_b64 v[30:31], v30, 1
	v_lshrrev_b64 v[44:45], v19, v[36:37]
	v_bfi_b32 v25, v25, 0, 0
	v_bfi_b32 v24, v24, 0, v36
	v_cmp_eq_u64_e64 s[22:23], v[24:25], v[30:31]
	v_mov_b32_e32 v46, v45
	v_mov_b32_e32 v45, v44
	s_and_saveexec_b64 s[94:95], s[22:23]
; %bb.170:                              ;   in Loop: Header=BB2_126 Depth=2
	v_bfe_u32 v24, v44, 20, 1
	v_add_co_u32_e64 v24, s[22:23], v44, v24
	v_add_co_u32_e64 v45, s[22:23], -1, v24
; %bb.171:                              ;   in Loop: Header=BB2_126 Depth=2
	s_or_b64 exec, exec, s[94:95]
	v_add_u32_e32 v18, 0xffffff81, v18
	v_cndmask_b32_e64 v18, v18, v20, s[20:21]
	v_lshrrev_b32_e32 v24, 23, v44
	v_add3_u32 v30, v19, v18, v24
	v_add_u32_e32 v19, 6, v30
	v_and_b32_e32 v18, 0xfffff, v45
	v_add_u32_e32 v36, v18, v44
	v_cmp_ne_u32_e64 s[20:21], 0, v19
                                        ; implicit-def: $vgpr44_vgpr45
                                        ; implicit-def: $vgpr18
	s_and_saveexec_b64 s[22:23], s[20:21]
	s_xor_b64 s[22:23], exec, s[22:23]
; %bb.172:                              ;   in Loop: Header=BB2_126 Depth=2
	v_cmp_lt_u64_e64 s[20:21], s[60:61], v[36:37]
	v_add_u32_e32 v18, 7, v30
	v_cndmask_b32_e64 v18, v19, v18, s[20:21]
	v_cndmask_b32_e64 v19, 0, 1, s[20:21]
	v_lshrrev_b64 v[44:45], v19, v[36:37]
; %bb.173:                              ;   in Loop: Header=BB2_126 Depth=2
	s_andn2_saveexec_b64 s[20:21], s[22:23]
; %bb.174:                              ;   in Loop: Header=BB2_126 Depth=2
	v_mov_b32_e32 v45, v37
	v_bfe_u32 v18, v36, 23, 1
	v_mov_b32_e32 v44, v36
; %bb.175:                              ;   in Loop: Header=BB2_126 Depth=2
	s_or_b64 exec, exec, s[20:21]
	v_lshrrev_b64 v[24:25], 20, v[44:45]
	v_cmp_gt_i32_e64 s[20:21], 16, v18
	v_cndmask_b32_e64 v25, 0, v25, s[20:21]
	v_cndmask_b32_e64 v24, 7, v24, s[20:21]
	v_cmp_eq_u32_e64 s[20:21], 0, v18
	v_min_i32_e32 v18, 15, v18
	v_cmp_eq_u64_e64 s[22:23], 0, v[24:25]
	v_lshlrev_b32_e32 v18, 3, v18
	v_and_b32_e32 v18, 0xf8, v18
	v_and_or_b32 v18, v24, 7, v18
	s_and_b64 s[20:21], s[20:21], s[22:23]
	v_cndmask_b32_e64 v18, v18, 0, s[20:21]
	v_or_b32_e32 v35, v18, v0
.LBB2_176:                              ;   in Loop: Header=BB2_126 Depth=2
	s_or_b64 exec, exec, s[92:93]
                                        ; implicit-def: $vgpr0
.LBB2_177:                              ;   in Loop: Header=BB2_126 Depth=2
	s_andn2_saveexec_b64 s[20:21], s[90:91]
; %bb.178:                              ;   in Loop: Header=BB2_126 Depth=2
	v_or_b32_e32 v35, 0x7e, v0
; %bb.179:                              ;   in Loop: Header=BB2_126 Depth=2
	s_or_b64 exec, exec, s[20:21]
                                        ; implicit-def: $vgpr18
.LBB2_180:                              ;   in Loop: Header=BB2_126 Depth=2
	s_andn2_saveexec_b64 s[20:21], s[88:89]
; %bb.181:                              ;   in Loop: Header=BB2_126 Depth=2
	v_or_b32_sdwa v35, v18, s53 dst_sel:DWORD dst_unused:UNUSED_PAD src0_sel:BYTE_3 src1_sel:DWORD
; %bb.182:                              ;   in Loop: Header=BB2_126 Depth=2
	s_or_b64 exec, exec, s[20:21]
	v_lshrrev_b32_e32 v30, 16, v14
	v_cmp_ne_u16_sdwa s[20:21], v30, v37 src0_sel:BYTE_0 src1_sel:DWORD
	v_mov_b32_e32 v0, 0
	s_and_saveexec_b64 s[22:23], s[20:21]
	s_cbranch_execz .LBB2_188
; %bb.183:                              ;   in Loop: Header=BB2_126 Depth=2
	v_cmp_ne_u16_sdwa s[20:21], v30, s52 src0_sel:BYTE_0 src1_sel:DWORD
	v_bfrev_b32_e32 v0, 1
	s_and_saveexec_b64 s[88:89], s[20:21]
	s_cbranch_execz .LBB2_187
; %bb.184:                              ;   in Loop: Header=BB2_126 Depth=2
	v_bfe_u32 v18, v14, 16, 7
	v_cmp_ne_u32_e64 s[20:21], s53, v18
	v_mov_b32_e32 v0, 0x7f800001
	s_and_saveexec_b64 s[90:91], s[20:21]
	s_cbranch_execz .LBB2_186
; %bb.185:                              ;   in Loop: Header=BB2_126 Depth=2
	v_and_b32_e32 v0, 7, v30
	v_lshrrev_b32_e32 v24, 3, v18
	v_cmp_gt_u32_e64 s[20:21], 8, v18
	v_ffbh_u32_e32 v18, v0
	v_min_u32_e32 v25, 32, v18
	v_subrev_u32_e32 v18, 28, v25
	v_lshlrev_b64 v[18:19], v18, v[30:31]
	v_sub_u32_e32 v19, 29, v25
	v_and_b32_e32 v18, 7, v18
	v_cndmask_b32_e64 v19, v24, v19, s[20:21]
	v_cndmask_b32_e64 v0, v0, v18, s[20:21]
	v_lshlrev_b32_e32 v18, 24, v30
	v_lshlrev_b32_e32 v0, 20, v0
	v_and_b32_e32 v18, 0x80000000, v18
	v_lshl_add_u32 v19, v19, 23, v3
	v_or3_b32 v0, v18, v19, v0
.LBB2_186:                              ;   in Loop: Header=BB2_126 Depth=2
	s_or_b64 exec, exec, s[90:91]
.LBB2_187:                              ;   in Loop: Header=BB2_126 Depth=2
	s_or_b64 exec, exec, s[88:89]
.LBB2_188:                              ;   in Loop: Header=BB2_126 Depth=2
	s_or_b64 exec, exec, s[22:23]
	v_lshrrev_b32_e32 v30, 16, v10
	v_cmp_gt_i16_sdwa s[22:23], v30, s53 src0_sel:BYTE_0 src1_sel:DWORD
	s_mov_b64 s[20:21], 0
	s_and_saveexec_b64 s[88:89], s[22:23]
	s_xor_b64 s[22:23], exec, s[88:89]
	s_cbranch_execz .LBB2_558
; %bb.189:                              ;   in Loop: Header=BB2_126 Depth=2
	v_cmp_eq_u16_sdwa s[90:91], v30, s52 src0_sel:BYTE_0 src1_sel:DWORD
	s_mov_b64 s[20:21], -1
	s_and_saveexec_b64 s[88:89], s[90:91]
; %bb.190:                              ;   in Loop: Header=BB2_126 Depth=2
	s_xor_b64 s[20:21], exec, -1
; %bb.191:                              ;   in Loop: Header=BB2_126 Depth=2
	s_or_b64 exec, exec, s[88:89]
	s_and_b64 s[20:21], s[20:21], exec
	s_or_saveexec_b64 s[22:23], s[22:23]
	v_bfrev_b32_e32 v18, 1
	s_xor_b64 exec, exec, s[22:23]
	s_cbranch_execnz .LBB2_559
.LBB2_192:                              ;   in Loop: Header=BB2_126 Depth=2
	s_or_b64 exec, exec, s[22:23]
	s_and_saveexec_b64 s[22:23], s[20:21]
	s_cbranch_execz .LBB2_194
.LBB2_193:                              ;   in Loop: Header=BB2_126 Depth=2
	v_and_b32_e32 v24, 7, v30
	v_ffbh_u32_e32 v18, v24
	v_min_u32_e32 v36, 32, v18
	v_bfe_u32 v31, v30, 3, 4
	v_subrev_u32_e32 v18, 28, v36
	v_lshlrev_b64 v[18:19], v18, v[30:31]
	v_and_b32_e32 v25, 0x7f, v30
	v_sub_u32_e32 v19, 29, v36
	v_and_b32_e32 v18, 7, v18
	v_cmp_gt_u32_e64 s[20:21], 8, v25
	v_cndmask_b32_e64 v19, v31, v19, s[20:21]
	v_cndmask_b32_e64 v18, v24, v18, s[20:21]
	v_lshlrev_b32_e32 v24, 24, v30
	v_lshlrev_b32_e32 v18, 20, v18
	v_and_b32_e32 v24, 0x80000000, v24
	v_lshl_add_u32 v19, v19, 23, v3
	v_or3_b32 v18, v24, v19, v18
	v_cmp_ne_u32_e64 s[20:21], s53, v25
	v_cndmask_b32_e64 v18, v56, v18, s[20:21]
.LBB2_194:                              ;   in Loop: Header=BB2_126 Depth=2
	s_or_b64 exec, exec, s[22:23]
	v_add_f32_e32 v18, v0, v18
	v_and_b32_e32 v36, 0x7f800000, v18
	v_cmp_ne_u64_e64 s[20:21], s[56:57], v[36:37]
                                        ; implicit-def: $vgpr31
	s_and_saveexec_b64 s[22:23], s[20:21]
	s_xor_b64 s[88:89], exec, s[22:23]
	s_cbranch_execz .LBB2_208
; %bb.195:                              ;   in Loop: Header=BB2_126 Depth=2
	v_and_b32_e32 v36, 0x7fffffff, v18
	v_cmp_gt_u64_e64 s[20:21], s[58:59], v[36:37]
	v_and_b32_sdwa v0, v18, s52 dst_sel:DWORD dst_unused:UNUSED_PAD src0_sel:BYTE_3 src1_sel:DWORD
                                        ; implicit-def: $vgpr31
	s_and_saveexec_b64 s[22:23], s[20:21]
	s_xor_b64 s[90:91], exec, s[22:23]
	s_cbranch_execz .LBB2_205
; %bb.196:                              ;   in Loop: Header=BB2_126 Depth=2
	v_mov_b32_e32 v31, 0
	v_cmp_ne_u32_e64 s[20:21], 0, v18
	s_and_saveexec_b64 s[92:93], s[20:21]
	s_cbranch_execz .LBB2_204
; %bb.197:                              ;   in Loop: Header=BB2_126 Depth=2
	v_and_b32_e32 v24, 0x7fffff, v18
	v_bfe_u32 v18, v18, 23, 8
	v_cmp_gt_u32_e64 s[22:23], s54, v18
	v_sub_u32_e32 v19, 0x79, v18
	v_cmp_eq_u32_e64 s[20:21], 0, v18
	v_cndmask_b32_e64 v19, 0, v19, s[22:23]
	v_or_b32_e32 v25, 0x800000, v24
	v_cndmask_b32_e64 v19, v19, v2, s[20:21]
	v_cndmask_b32_e64 v36, v25, v24, s[20:21]
	v_add_u32_e32 v24, 20, v19
	v_lshlrev_b64 v[24:25], v24, -1
	v_add_u32_e32 v30, 19, v19
	v_lshlrev_b64 v[30:31], v30, 1
	v_lshrrev_b64 v[44:45], v19, v[36:37]
	v_bfi_b32 v25, v25, 0, 0
	v_bfi_b32 v24, v24, 0, v36
	v_cmp_eq_u64_e64 s[22:23], v[24:25], v[30:31]
	v_mov_b32_e32 v46, v45
	v_mov_b32_e32 v45, v44
	s_and_saveexec_b64 s[94:95], s[22:23]
; %bb.198:                              ;   in Loop: Header=BB2_126 Depth=2
	v_bfe_u32 v24, v44, 20, 1
	v_add_co_u32_e64 v24, s[22:23], v44, v24
	v_add_co_u32_e64 v45, s[22:23], -1, v24
; %bb.199:                              ;   in Loop: Header=BB2_126 Depth=2
	s_or_b64 exec, exec, s[94:95]
	v_add_u32_e32 v18, 0xffffff81, v18
	v_cndmask_b32_e64 v18, v18, v20, s[20:21]
	v_lshrrev_b32_e32 v24, 23, v44
	v_add3_u32 v30, v19, v18, v24
	v_add_u32_e32 v19, 6, v30
	v_and_b32_e32 v18, 0xfffff, v45
	v_add_u32_e32 v36, v18, v44
	v_cmp_ne_u32_e64 s[20:21], 0, v19
                                        ; implicit-def: $vgpr44_vgpr45
                                        ; implicit-def: $vgpr18
	s_and_saveexec_b64 s[22:23], s[20:21]
	s_xor_b64 s[22:23], exec, s[22:23]
; %bb.200:                              ;   in Loop: Header=BB2_126 Depth=2
	v_cmp_lt_u64_e64 s[20:21], s[60:61], v[36:37]
	v_add_u32_e32 v18, 7, v30
	v_cndmask_b32_e64 v18, v19, v18, s[20:21]
	v_cndmask_b32_e64 v19, 0, 1, s[20:21]
	v_lshrrev_b64 v[44:45], v19, v[36:37]
; %bb.201:                              ;   in Loop: Header=BB2_126 Depth=2
	s_andn2_saveexec_b64 s[20:21], s[22:23]
; %bb.202:                              ;   in Loop: Header=BB2_126 Depth=2
	v_mov_b32_e32 v45, v37
	v_bfe_u32 v18, v36, 23, 1
	v_mov_b32_e32 v44, v36
; %bb.203:                              ;   in Loop: Header=BB2_126 Depth=2
	s_or_b64 exec, exec, s[20:21]
	v_lshrrev_b64 v[24:25], 20, v[44:45]
	v_cmp_gt_i32_e64 s[20:21], 16, v18
	v_cndmask_b32_e64 v25, 0, v25, s[20:21]
	v_cndmask_b32_e64 v24, 7, v24, s[20:21]
	v_cmp_eq_u32_e64 s[20:21], 0, v18
	v_min_i32_e32 v18, 15, v18
	v_cmp_eq_u64_e64 s[22:23], 0, v[24:25]
	v_lshlrev_b32_e32 v18, 3, v18
	v_and_b32_e32 v18, 0xf8, v18
	v_and_or_b32 v18, v24, 7, v18
	s_and_b64 s[20:21], s[20:21], s[22:23]
	v_cndmask_b32_e64 v18, v18, 0, s[20:21]
	v_or_b32_e32 v31, v18, v0
.LBB2_204:                              ;   in Loop: Header=BB2_126 Depth=2
	s_or_b64 exec, exec, s[92:93]
                                        ; implicit-def: $vgpr0
.LBB2_205:                              ;   in Loop: Header=BB2_126 Depth=2
	s_andn2_saveexec_b64 s[20:21], s[90:91]
; %bb.206:                              ;   in Loop: Header=BB2_126 Depth=2
	v_or_b32_e32 v31, 0x7e, v0
; %bb.207:                              ;   in Loop: Header=BB2_126 Depth=2
	s_or_b64 exec, exec, s[20:21]
                                        ; implicit-def: $vgpr18
.LBB2_208:                              ;   in Loop: Header=BB2_126 Depth=2
	s_andn2_saveexec_b64 s[20:21], s[88:89]
; %bb.209:                              ;   in Loop: Header=BB2_126 Depth=2
	v_or_b32_sdwa v31, v18, s53 dst_sel:DWORD dst_unused:UNUSED_PAD src0_sel:BYTE_3 src1_sel:DWORD
; %bb.210:                              ;   in Loop: Header=BB2_126 Depth=2
	s_or_b64 exec, exec, s[20:21]
	v_cmp_lt_u32_e64 s[20:21], s63, v14
	v_mov_b32_e32 v0, 0
	s_and_saveexec_b64 s[22:23], s[20:21]
	s_cbranch_execz .LBB2_216
; %bb.211:                              ;   in Loop: Header=BB2_126 Depth=2
	v_lshrrev_b32_e32 v30, 24, v14
	v_cmp_ne_u32_e64 s[20:21], s52, v30
	v_bfrev_b32_e32 v0, 1
	s_and_saveexec_b64 s[88:89], s[20:21]
	s_cbranch_execz .LBB2_215
; %bb.212:                              ;   in Loop: Header=BB2_126 Depth=2
	v_bfe_u32 v18, v14, 24, 7
	v_cmp_ne_u32_e64 s[20:21], s53, v18
	v_mov_b32_e32 v0, 0x7f800001
	s_and_saveexec_b64 s[90:91], s[20:21]
	s_cbranch_execz .LBB2_214
; %bb.213:                              ;   in Loop: Header=BB2_126 Depth=2
	v_and_b32_e32 v0, 7, v30
	v_lshrrev_b32_e32 v24, 3, v18
	v_cmp_gt_u32_e64 s[20:21], 8, v18
	v_ffbh_u32_e32 v18, v0
	v_min_u32_e32 v25, 32, v18
	v_subrev_u32_e32 v18, 28, v25
	v_lshlrev_b64 v[18:19], v18, v[30:31]
	v_sub_u32_e32 v19, 29, v25
	v_and_b32_e32 v18, 7, v18
	v_cndmask_b32_e64 v19, v24, v19, s[20:21]
	v_cndmask_b32_e64 v0, v0, v18, s[20:21]
	v_lshlrev_b32_e32 v18, 24, v30
	v_lshlrev_b32_e32 v0, 20, v0
	v_and_b32_e32 v18, 0x80000000, v18
	v_lshl_add_u32 v19, v19, 23, v3
	v_or3_b32 v0, v18, v19, v0
.LBB2_214:                              ;   in Loop: Header=BB2_126 Depth=2
	s_or_b64 exec, exec, s[90:91]
.LBB2_215:                              ;   in Loop: Header=BB2_126 Depth=2
	s_or_b64 exec, exec, s[88:89]
.LBB2_216:                              ;   in Loop: Header=BB2_126 Depth=2
	s_or_b64 exec, exec, s[22:23]
	v_bfe_u32 v19, v10, 24, 3
	v_ffbh_u32_e32 v24, v19
	v_min_u32_e32 v50, 32, v24
	v_lshrrev_b32_e32 v18, 24, v10
	v_subrev_u32_e32 v24, 28, v50
	v_lshlrev_b64 v[24:25], v24, v[18:19]
	v_bfe_u32 v30, v10, 24, 7
	v_bfe_u32 v36, v18, 3, 4
	v_sub_u32_e32 v25, 29, v50
	v_and_b32_e32 v24, 7, v24
	v_cmp_gt_u32_e64 s[20:21], 8, v30
	v_cndmask_b32_e64 v25, v36, v25, s[20:21]
	v_cndmask_b32_e64 v19, v19, v24, s[20:21]
	v_lshlrev_b32_e32 v19, 20, v19
	v_and_b32_e32 v24, 0x80000000, v10
	v_lshl_add_u32 v25, v25, 23, v3
	v_or3_b32 v19, v24, v25, v19
	v_cmp_ne_u32_e64 s[20:21], s53, v30
	v_cndmask_b32_e64 v19, v56, v19, s[20:21]
	v_cmp_ne_u32_e64 s[20:21], s52, v18
	v_cndmask_b32_e64 v18, v21, v19, s[20:21]
	v_cmp_lt_u32_e64 s[20:21], s63, v10
	v_cndmask_b32_e64 v18, 0, v18, s[20:21]
	v_add_f32_e32 v18, v18, v0
	v_and_b32_e32 v36, 0x7f800000, v18
	v_cmp_ne_u64_e64 s[20:21], s[56:57], v[36:37]
                                        ; implicit-def: $vgpr50
	s_and_saveexec_b64 s[22:23], s[20:21]
	s_xor_b64 s[88:89], exec, s[22:23]
	s_cbranch_execz .LBB2_230
; %bb.217:                              ;   in Loop: Header=BB2_126 Depth=2
	v_and_b32_e32 v36, 0x7fffffff, v18
	v_cmp_gt_u64_e64 s[20:21], s[58:59], v[36:37]
	v_and_b32_sdwa v0, v18, s52 dst_sel:DWORD dst_unused:UNUSED_PAD src0_sel:BYTE_3 src1_sel:DWORD
                                        ; implicit-def: $vgpr50
	s_and_saveexec_b64 s[22:23], s[20:21]
	s_xor_b64 s[90:91], exec, s[22:23]
	s_cbranch_execz .LBB2_227
; %bb.218:                              ;   in Loop: Header=BB2_126 Depth=2
	v_mov_b32_e32 v50, 0
	v_cmp_ne_u32_e64 s[20:21], 0, v18
	s_and_saveexec_b64 s[92:93], s[20:21]
	s_cbranch_execz .LBB2_226
; %bb.219:                              ;   in Loop: Header=BB2_126 Depth=2
	v_and_b32_e32 v24, 0x7fffff, v18
	v_bfe_u32 v18, v18, 23, 8
	v_cmp_gt_u32_e64 s[22:23], s54, v18
	v_sub_u32_e32 v19, 0x79, v18
	v_cmp_eq_u32_e64 s[20:21], 0, v18
	v_cndmask_b32_e64 v19, 0, v19, s[22:23]
	v_or_b32_e32 v25, 0x800000, v24
	v_cndmask_b32_e64 v19, v19, v2, s[20:21]
	v_cndmask_b32_e64 v36, v25, v24, s[20:21]
	v_add_u32_e32 v24, 20, v19
	v_lshlrev_b64 v[24:25], v24, -1
	v_add_u32_e32 v30, 19, v19
	v_lshlrev_b64 v[50:51], v30, 1
	v_lshrrev_b64 v[44:45], v19, v[36:37]
	v_bfi_b32 v25, v25, 0, 0
	v_bfi_b32 v24, v24, 0, v36
	v_cmp_eq_u64_e64 s[22:23], v[24:25], v[50:51]
	v_mov_b32_e32 v46, v45
	v_mov_b32_e32 v45, v44
	s_and_saveexec_b64 s[94:95], s[22:23]
; %bb.220:                              ;   in Loop: Header=BB2_126 Depth=2
	v_bfe_u32 v24, v44, 20, 1
	v_add_co_u32_e64 v24, s[22:23], v44, v24
	v_add_co_u32_e64 v45, s[22:23], -1, v24
; %bb.221:                              ;   in Loop: Header=BB2_126 Depth=2
	s_or_b64 exec, exec, s[94:95]
	v_add_u32_e32 v18, 0xffffff81, v18
	v_cndmask_b32_e64 v18, v18, v20, s[20:21]
	v_lshrrev_b32_e32 v24, 23, v44
	v_add3_u32 v30, v19, v18, v24
	v_add_u32_e32 v19, 6, v30
	v_and_b32_e32 v18, 0xfffff, v45
	v_add_u32_e32 v36, v18, v44
	v_cmp_ne_u32_e64 s[20:21], 0, v19
                                        ; implicit-def: $vgpr44_vgpr45
                                        ; implicit-def: $vgpr18
	s_and_saveexec_b64 s[22:23], s[20:21]
	s_xor_b64 s[22:23], exec, s[22:23]
; %bb.222:                              ;   in Loop: Header=BB2_126 Depth=2
	v_cmp_lt_u64_e64 s[20:21], s[60:61], v[36:37]
	v_add_u32_e32 v18, 7, v30
	v_cndmask_b32_e64 v18, v19, v18, s[20:21]
	v_cndmask_b32_e64 v19, 0, 1, s[20:21]
	v_lshrrev_b64 v[44:45], v19, v[36:37]
; %bb.223:                              ;   in Loop: Header=BB2_126 Depth=2
	s_andn2_saveexec_b64 s[20:21], s[22:23]
; %bb.224:                              ;   in Loop: Header=BB2_126 Depth=2
	v_mov_b32_e32 v45, v37
	v_bfe_u32 v18, v36, 23, 1
	v_mov_b32_e32 v44, v36
; %bb.225:                              ;   in Loop: Header=BB2_126 Depth=2
	s_or_b64 exec, exec, s[20:21]
	v_lshrrev_b64 v[24:25], 20, v[44:45]
	v_cmp_gt_i32_e64 s[20:21], 16, v18
	v_cndmask_b32_e64 v25, 0, v25, s[20:21]
	v_cndmask_b32_e64 v24, 7, v24, s[20:21]
	v_cmp_eq_u32_e64 s[20:21], 0, v18
	v_min_i32_e32 v18, 15, v18
	v_cmp_eq_u64_e64 s[22:23], 0, v[24:25]
	v_lshlrev_b32_e32 v18, 3, v18
	v_and_b32_e32 v18, 0xf8, v18
	v_and_or_b32 v18, v24, 7, v18
	s_and_b64 s[20:21], s[20:21], s[22:23]
	v_cndmask_b32_e64 v18, v18, 0, s[20:21]
	v_or_b32_e32 v50, v18, v0
.LBB2_226:                              ;   in Loop: Header=BB2_126 Depth=2
	s_or_b64 exec, exec, s[92:93]
                                        ; implicit-def: $vgpr0
.LBB2_227:                              ;   in Loop: Header=BB2_126 Depth=2
	s_andn2_saveexec_b64 s[20:21], s[90:91]
; %bb.228:                              ;   in Loop: Header=BB2_126 Depth=2
	v_or_b32_e32 v50, 0x7e, v0
; %bb.229:                              ;   in Loop: Header=BB2_126 Depth=2
	s_or_b64 exec, exec, s[20:21]
                                        ; implicit-def: $vgpr18
.LBB2_230:                              ;   in Loop: Header=BB2_126 Depth=2
	s_andn2_saveexec_b64 s[20:21], s[88:89]
; %bb.231:                              ;   in Loop: Header=BB2_126 Depth=2
	v_or_b32_sdwa v50, v18, s53 dst_sel:DWORD dst_unused:UNUSED_PAD src0_sel:BYTE_3 src1_sel:DWORD
; %bb.232:                              ;   in Loop: Header=BB2_126 Depth=2
	s_or_b64 exec, exec, s[20:21]
	v_mov_b32_e32 v36, v15
	v_cmp_ne_u16_sdwa s[20:21], v15, v37 src0_sel:BYTE_0 src1_sel:DWORD
	v_mov_b32_e32 v0, 0
	s_and_saveexec_b64 s[22:23], s[20:21]
	s_cbranch_execz .LBB2_238
; %bb.233:                              ;   in Loop: Header=BB2_126 Depth=2
	v_cmp_ne_u16_sdwa s[20:21], v15, s52 src0_sel:BYTE_0 src1_sel:DWORD
	v_bfrev_b32_e32 v0, 1
	s_and_saveexec_b64 s[88:89], s[20:21]
	s_cbranch_execz .LBB2_237
; %bb.234:                              ;   in Loop: Header=BB2_126 Depth=2
	v_and_b32_e32 v18, 0x7f, v15
	v_cmp_ne_u32_e64 s[20:21], s53, v18
	v_mov_b32_e32 v0, 0x7f800001
	s_and_saveexec_b64 s[90:91], s[20:21]
	s_cbranch_execz .LBB2_236
; %bb.235:                              ;   in Loop: Header=BB2_126 Depth=2
	v_and_b32_e32 v0, 7, v15
	v_ffbh_u32_e32 v0, v0
	v_min_u32_e32 v0, 32, v0
	v_lshrrev_b32_e32 v19, 3, v18
	v_cmp_gt_u32_e64 s[20:21], 8, v18
	v_subrev_u32_e32 v18, 28, v0
	v_sub_u32_e32 v0, 29, v0
	v_cndmask_b32_e64 v18, 0, v18, s[20:21]
	v_cndmask_b32_e64 v0, v19, v0, s[20:21]
	v_lshlrev_b64 v[18:19], v18, v[36:37]
	v_lshlrev_b32_e32 v19, 24, v36
	v_lshlrev_b32_e32 v18, 20, v18
	v_and_b32_e32 v18, 0x700000, v18
	v_and_b32_e32 v19, 0x80000000, v19
	v_lshl_add_u32 v0, v0, 23, v3
	v_or3_b32 v0, v19, v0, v18
.LBB2_236:                              ;   in Loop: Header=BB2_126 Depth=2
	s_or_b64 exec, exec, s[90:91]
.LBB2_237:                              ;   in Loop: Header=BB2_126 Depth=2
	s_or_b64 exec, exec, s[88:89]
.LBB2_238:                              ;   in Loop: Header=BB2_126 Depth=2
	s_or_b64 exec, exec, s[22:23]
	v_cmp_gt_i16_sdwa s[22:23], v11, s53 src0_sel:BYTE_0 src1_sel:DWORD
	s_mov_b64 s[20:21], 0
	s_and_saveexec_b64 s[88:89], s[22:23]
	s_xor_b64 s[22:23], exec, s[88:89]
	s_cbranch_execz .LBB2_242
; %bb.239:                              ;   in Loop: Header=BB2_126 Depth=2
	v_cmp_eq_u16_sdwa s[90:91], v11, s52 src0_sel:BYTE_0 src1_sel:DWORD
	s_mov_b64 s[20:21], -1
	s_and_saveexec_b64 s[88:89], s[90:91]
; %bb.240:                              ;   in Loop: Header=BB2_126 Depth=2
	s_xor_b64 s[20:21], exec, -1
; %bb.241:                              ;   in Loop: Header=BB2_126 Depth=2
	s_or_b64 exec, exec, s[88:89]
	s_and_b64 s[20:21], s[20:21], exec
.LBB2_242:                              ;   in Loop: Header=BB2_126 Depth=2
	s_or_saveexec_b64 s[22:23], s[22:23]
	v_bfrev_b32_e32 v18, 1
	s_xor_b64 exec, exec, s[22:23]
; %bb.243:                              ;   in Loop: Header=BB2_126 Depth=2
	v_cmp_ne_u16_sdwa s[88:89], v11, v37 src0_sel:BYTE_0 src1_sel:DWORD
	s_andn2_b64 s[20:21], s[20:21], exec
	s_and_b64 s[88:89], s[88:89], exec
	v_mov_b32_e32 v18, 0
	s_or_b64 s[20:21], s[20:21], s[88:89]
; %bb.244:                              ;   in Loop: Header=BB2_126 Depth=2
	s_or_b64 exec, exec, s[22:23]
	v_mov_b32_e32 v44, v11
	v_mov_b32_e32 v45, v37
	s_and_saveexec_b64 s[22:23], s[20:21]
	s_cbranch_execz .LBB2_246
; %bb.245:                              ;   in Loop: Header=BB2_126 Depth=2
	v_and_b32_e32 v18, 7, v11
	v_ffbh_u32_e32 v18, v18
	v_and_b32_e32 v24, 0x7f, v11
	v_min_u32_e32 v18, 32, v18
	v_bfe_u32 v19, v11, 3, 4
	v_subrev_u32_e32 v25, 28, v18
	v_sub_u32_e32 v18, 29, v18
	v_cmp_gt_u32_e64 s[20:21], 8, v24
	v_cndmask_b32_e64 v30, v19, v18, s[20:21]
	v_cndmask_b32_e64 v18, 0, v25, s[20:21]
	v_lshlrev_b64 v[18:19], v18, v[44:45]
	v_lshlrev_b32_e32 v19, 24, v44
	v_lshlrev_b32_e32 v18, 20, v18
	v_and_b32_e32 v18, 0x700000, v18
	v_and_b32_e32 v19, 0x80000000, v19
	v_lshl_add_u32 v25, v30, 23, v3
	v_or3_b32 v18, v19, v25, v18
	v_cmp_ne_u32_e64 s[20:21], s53, v24
	v_cndmask_b32_e64 v18, v56, v18, s[20:21]
.LBB2_246:                              ;   in Loop: Header=BB2_126 Depth=2
	s_or_b64 exec, exec, s[22:23]
	v_add_f32_e32 v18, v0, v18
	v_and_b32_e32 v24, 0x7f800000, v18
	v_mov_b32_e32 v25, v37
	v_cmp_ne_u64_e64 s[20:21], s[56:57], v[24:25]
                                        ; implicit-def: $vgpr51
	s_and_saveexec_b64 s[22:23], s[20:21]
	s_xor_b64 s[88:89], exec, s[22:23]
	s_cbranch_execz .LBB2_260
; %bb.247:                              ;   in Loop: Header=BB2_126 Depth=2
	v_and_b32_e32 v24, 0x7fffffff, v18
	v_mov_b32_e32 v25, v37
	v_cmp_gt_u64_e64 s[20:21], s[58:59], v[24:25]
	v_and_b32_sdwa v0, v18, s52 dst_sel:DWORD dst_unused:UNUSED_PAD src0_sel:BYTE_3 src1_sel:DWORD
                                        ; implicit-def: $vgpr51
	s_and_saveexec_b64 s[22:23], s[20:21]
	s_xor_b64 s[90:91], exec, s[22:23]
	s_cbranch_execz .LBB2_257
; %bb.248:                              ;   in Loop: Header=BB2_126 Depth=2
	v_mov_b32_e32 v51, 0
	v_cmp_ne_u32_e64 s[20:21], 0, v18
	s_and_saveexec_b64 s[92:93], s[20:21]
	s_cbranch_execz .LBB2_256
; %bb.249:                              ;   in Loop: Header=BB2_126 Depth=2
	v_and_b32_e32 v24, 0x7fffff, v18
	v_bfe_u32 v18, v18, 23, 8
	v_cmp_gt_u32_e64 s[22:23], s54, v18
	v_sub_u32_e32 v19, 0x79, v18
	v_cmp_eq_u32_e64 s[20:21], 0, v18
	v_cndmask_b32_e64 v19, 0, v19, s[22:23]
	v_cndmask_b32_e64 v19, v19, v2, s[20:21]
	v_add_u32_e32 v30, 20, v19
	v_or_b32_e32 v25, 0x800000, v24
	v_lshlrev_b64 v[51:52], v30, -1
	v_add_u32_e32 v30, 19, v19
	v_cndmask_b32_e64 v24, v25, v24, s[20:21]
	v_lshlrev_b64 v[45:46], v30, 1
	v_mov_b32_e32 v25, v37
	v_bfi_b32 v52, v52, 0, 0
	v_bfi_b32 v51, v51, 0, v24
	v_cmp_eq_u64_e64 s[22:23], v[51:52], v[45:46]
	v_lshrrev_b64 v[45:46], v19, v[24:25]
	v_mov_b32_e32 v47, v46
	v_mov_b32_e32 v46, v45
	s_and_saveexec_b64 s[94:95], s[22:23]
; %bb.250:                              ;   in Loop: Header=BB2_126 Depth=2
	v_bfe_u32 v24, v45, 20, 1
	v_add_co_u32_e64 v24, s[22:23], v45, v24
	v_add_co_u32_e64 v46, s[22:23], -1, v24
; %bb.251:                              ;   in Loop: Header=BB2_126 Depth=2
	s_or_b64 exec, exec, s[94:95]
	v_add_u32_e32 v18, 0xffffff81, v18
	v_cndmask_b32_e64 v18, v18, v20, s[20:21]
	v_lshrrev_b32_e32 v24, 23, v45
	v_add3_u32 v30, v19, v18, v24
	v_add_u32_e32 v19, 6, v30
	v_and_b32_e32 v18, 0xfffff, v46
	v_add_u32_e32 v45, v18, v45
	v_mov_b32_e32 v46, v37
	v_cmp_ne_u32_e64 s[20:21], 0, v19
                                        ; implicit-def: $vgpr18
	s_and_saveexec_b64 s[22:23], s[20:21]
	s_xor_b64 s[22:23], exec, s[22:23]
; %bb.252:                              ;   in Loop: Header=BB2_126 Depth=2
	v_cmp_lt_u64_e64 s[20:21], s[60:61], v[45:46]
	v_add_u32_e32 v18, 7, v30
	v_cndmask_b32_e64 v18, v19, v18, s[20:21]
	v_cndmask_b32_e64 v19, 0, 1, s[20:21]
	v_lshrrev_b64 v[45:46], v19, v[45:46]
; %bb.253:                              ;   in Loop: Header=BB2_126 Depth=2
	s_andn2_saveexec_b64 s[20:21], s[22:23]
; %bb.254:                              ;   in Loop: Header=BB2_126 Depth=2
	v_bfe_u32 v18, v45, 23, 1
; %bb.255:                              ;   in Loop: Header=BB2_126 Depth=2
	s_or_b64 exec, exec, s[20:21]
	v_lshrrev_b64 v[24:25], 20, v[45:46]
	v_cmp_gt_i32_e64 s[20:21], 16, v18
	v_cndmask_b32_e64 v25, 0, v25, s[20:21]
	v_cndmask_b32_e64 v24, 7, v24, s[20:21]
	v_cmp_eq_u32_e64 s[20:21], 0, v18
	v_min_i32_e32 v18, 15, v18
	v_cmp_eq_u64_e64 s[22:23], 0, v[24:25]
	v_lshlrev_b32_e32 v18, 3, v18
	v_and_b32_e32 v18, 0xf8, v18
	v_and_or_b32 v18, v24, 7, v18
	s_and_b64 s[20:21], s[20:21], s[22:23]
	v_cndmask_b32_e64 v18, v18, 0, s[20:21]
	v_or_b32_e32 v51, v18, v0
.LBB2_256:                              ;   in Loop: Header=BB2_126 Depth=2
	s_or_b64 exec, exec, s[92:93]
                                        ; implicit-def: $vgpr0
.LBB2_257:                              ;   in Loop: Header=BB2_126 Depth=2
	s_andn2_saveexec_b64 s[20:21], s[90:91]
; %bb.258:                              ;   in Loop: Header=BB2_126 Depth=2
	v_or_b32_e32 v51, 0x7e, v0
; %bb.259:                              ;   in Loop: Header=BB2_126 Depth=2
	s_or_b64 exec, exec, s[20:21]
                                        ; implicit-def: $vgpr18
.LBB2_260:                              ;   in Loop: Header=BB2_126 Depth=2
	s_andn2_saveexec_b64 s[20:21], s[88:89]
; %bb.261:                              ;   in Loop: Header=BB2_126 Depth=2
	v_or_b32_sdwa v51, v18, s53 dst_sel:DWORD dst_unused:UNUSED_PAD src0_sel:BYTE_3 src1_sel:DWORD
; %bb.262:                              ;   in Loop: Header=BB2_126 Depth=2
	s_or_b64 exec, exec, s[20:21]
	v_lshrrev_b16_e32 v30, 8, v36
	v_cmp_ne_u16_e64 s[20:21], 0, v30
	v_mov_b32_e32 v0, 0
	s_and_saveexec_b64 s[22:23], s[20:21]
	s_cbranch_execz .LBB2_268
; %bb.263:                              ;   in Loop: Header=BB2_126 Depth=2
	v_cmp_ne_u16_e64 s[20:21], s52, v30
	v_bfrev_b32_e32 v0, 1
	s_and_saveexec_b64 s[88:89], s[20:21]
	s_cbranch_execz .LBB2_267
; %bb.264:                              ;   in Loop: Header=BB2_126 Depth=2
	v_and_b32_e32 v18, 0x7f, v30
	v_cmp_ne_u32_e64 s[20:21], s53, v18
	v_mov_b32_e32 v0, 0x7f800001
	s_and_saveexec_b64 s[90:91], s[20:21]
	s_cbranch_execz .LBB2_266
; %bb.265:                              ;   in Loop: Header=BB2_126 Depth=2
	v_and_b32_e32 v0, 7, v30
	v_lshrrev_b32_e32 v24, 3, v18
	v_cmp_gt_u32_e64 s[20:21], 8, v18
	v_ffbh_u32_e32 v18, v0
	v_min_u32_e32 v25, 32, v18
	v_subrev_u32_e32 v18, 28, v25
	v_lshlrev_b64 v[18:19], v18, v[30:31]
	v_sub_u32_e32 v19, 29, v25
	v_and_b32_e32 v18, 7, v18
	v_cndmask_b32_e64 v19, v24, v19, s[20:21]
	v_cndmask_b32_e64 v0, v0, v18, s[20:21]
	v_lshlrev_b32_e32 v18, 16, v36
	v_lshlrev_b32_e32 v0, 20, v0
	v_and_b32_e32 v18, 0x80000000, v18
	v_lshl_add_u32 v19, v19, 23, v3
	v_or3_b32 v0, v18, v19, v0
.LBB2_266:                              ;   in Loop: Header=BB2_126 Depth=2
	s_or_b64 exec, exec, s[90:91]
.LBB2_267:                              ;   in Loop: Header=BB2_126 Depth=2
	s_or_b64 exec, exec, s[88:89]
.LBB2_268:                              ;   in Loop: Header=BB2_126 Depth=2
	s_or_b64 exec, exec, s[22:23]
	v_lshrrev_b16_e32 v36, 8, v44
	v_cmp_lt_i16_e64 s[20:21], s53, v36
	s_mov_b64 s[22:23], 0
	s_and_saveexec_b64 s[88:89], s[20:21]
	s_xor_b64 s[88:89], exec, s[88:89]
	s_cbranch_execz .LBB2_560
; %bb.269:                              ;   in Loop: Header=BB2_126 Depth=2
	v_cmp_eq_u16_e64 s[20:21], s52, v36
	s_mov_b64 s[22:23], -1
	s_and_saveexec_b64 s[90:91], s[20:21]
; %bb.270:                              ;   in Loop: Header=BB2_126 Depth=2
	s_xor_b64 s[22:23], exec, -1
; %bb.271:                              ;   in Loop: Header=BB2_126 Depth=2
	s_or_b64 exec, exec, s[90:91]
	s_and_b64 s[22:23], s[22:23], exec
	s_or_saveexec_b64 s[88:89], s[88:89]
	v_bfrev_b32_e32 v18, 1
	s_xor_b64 exec, exec, s[88:89]
	s_cbranch_execnz .LBB2_561
.LBB2_272:                              ;   in Loop: Header=BB2_126 Depth=2
	s_or_b64 exec, exec, s[88:89]
	s_and_saveexec_b64 s[88:89], s[22:23]
	s_cbranch_execz .LBB2_274
.LBB2_273:                              ;   in Loop: Header=BB2_126 Depth=2
	v_and_b32_e32 v24, 7, v36
	v_ffbh_u32_e32 v18, v24
	v_min_u32_e32 v52, 32, v18
	v_subrev_u32_e32 v18, 28, v52
	v_lshlrev_b64 v[18:19], v18, v[36:37]
	v_and_b32_e32 v25, 0x7f, v36
	v_bfe_u32 v30, v36, 3, 4
	v_sub_u32_e32 v19, 29, v52
	v_and_b32_e32 v18, 7, v18
	v_cmp_gt_u32_e64 s[20:21], 8, v25
	v_cndmask_b32_e64 v19, v30, v19, s[20:21]
	v_cndmask_b32_e64 v18, v24, v18, s[20:21]
	v_lshlrev_b32_e32 v24, 24, v36
	v_lshlrev_b32_e32 v18, 20, v18
	v_and_b32_e32 v24, 0x80000000, v24
	v_lshl_add_u32 v19, v19, 23, v3
	v_or3_b32 v18, v24, v19, v18
	v_cmp_ne_u32_e64 s[20:21], s53, v25
	v_cndmask_b32_e64 v18, v56, v18, s[20:21]
.LBB2_274:                              ;   in Loop: Header=BB2_126 Depth=2
	s_or_b64 exec, exec, s[88:89]
	v_add_f32_e32 v19, v0, v18
	v_and_b32_e32 v36, 0x7f800000, v19
	v_cmp_ne_u64_e64 s[20:21], s[56:57], v[36:37]
                                        ; implicit-def: $vgpr0
	s_and_saveexec_b64 s[22:23], s[20:21]
	s_xor_b64 s[88:89], exec, s[22:23]
	s_cbranch_execz .LBB2_288
; %bb.275:                              ;   in Loop: Header=BB2_126 Depth=2
	v_and_b32_e32 v36, 0x7fffffff, v19
	v_cmp_gt_u64_e64 s[20:21], s[58:59], v[36:37]
	v_and_b32_sdwa v18, v19, s52 dst_sel:DWORD dst_unused:UNUSED_PAD src0_sel:BYTE_3 src1_sel:DWORD
                                        ; implicit-def: $vgpr0
	s_and_saveexec_b64 s[22:23], s[20:21]
	s_xor_b64 s[90:91], exec, s[22:23]
	s_cbranch_execz .LBB2_285
; %bb.276:                              ;   in Loop: Header=BB2_126 Depth=2
	v_mov_b32_e32 v0, 0
	v_cmp_ne_u32_e64 s[20:21], 0, v19
	s_and_saveexec_b64 s[92:93], s[20:21]
	s_cbranch_execz .LBB2_284
; %bb.277:                              ;   in Loop: Header=BB2_126 Depth=2
	v_bfe_u32 v0, v19, 23, 8
	v_and_b32_e32 v24, 0x7fffff, v19
	v_cmp_gt_u32_e64 s[22:23], s54, v0
	v_sub_u32_e32 v19, 0x79, v0
	v_cmp_eq_u32_e64 s[20:21], 0, v0
	v_cndmask_b32_e64 v19, 0, v19, s[22:23]
	v_or_b32_e32 v25, 0x800000, v24
	v_cndmask_b32_e64 v19, v19, v2, s[20:21]
	v_cndmask_b32_e64 v36, v25, v24, s[20:21]
	v_add_u32_e32 v24, 20, v19
	v_lshlrev_b64 v[24:25], v24, -1
	v_add_u32_e32 v30, 19, v19
	v_lshlrev_b64 v[52:53], v30, 1
	v_lshrrev_b64 v[44:45], v19, v[36:37]
	v_bfi_b32 v25, v25, 0, 0
	v_bfi_b32 v24, v24, 0, v36
	v_cmp_eq_u64_e64 s[22:23], v[24:25], v[52:53]
	v_mov_b32_e32 v46, v45
	v_mov_b32_e32 v45, v44
	s_and_saveexec_b64 s[94:95], s[22:23]
; %bb.278:                              ;   in Loop: Header=BB2_126 Depth=2
	v_bfe_u32 v24, v44, 20, 1
	v_add_co_u32_e64 v24, s[22:23], v44, v24
	v_add_co_u32_e64 v45, s[22:23], -1, v24
; %bb.279:                              ;   in Loop: Header=BB2_126 Depth=2
	s_or_b64 exec, exec, s[94:95]
	v_add_u32_e32 v0, 0xffffff81, v0
	v_cndmask_b32_e64 v0, v0, v20, s[20:21]
	v_lshrrev_b32_e32 v24, 23, v44
	v_add3_u32 v30, v19, v0, v24
	v_add_u32_e32 v19, 6, v30
	v_and_b32_e32 v0, 0xfffff, v45
	v_add_u32_e32 v36, v0, v44
	v_cmp_ne_u32_e64 s[20:21], 0, v19
                                        ; implicit-def: $vgpr44_vgpr45
                                        ; implicit-def: $vgpr0
	s_and_saveexec_b64 s[22:23], s[20:21]
	s_xor_b64 s[22:23], exec, s[22:23]
; %bb.280:                              ;   in Loop: Header=BB2_126 Depth=2
	v_cmp_lt_u64_e64 s[20:21], s[60:61], v[36:37]
	v_add_u32_e32 v0, 7, v30
	v_cndmask_b32_e64 v0, v19, v0, s[20:21]
	v_cndmask_b32_e64 v19, 0, 1, s[20:21]
	v_lshrrev_b64 v[44:45], v19, v[36:37]
; %bb.281:                              ;   in Loop: Header=BB2_126 Depth=2
	s_andn2_saveexec_b64 s[20:21], s[22:23]
; %bb.282:                              ;   in Loop: Header=BB2_126 Depth=2
	v_mov_b32_e32 v45, v37
	v_bfe_u32 v0, v36, 23, 1
	v_mov_b32_e32 v44, v36
; %bb.283:                              ;   in Loop: Header=BB2_126 Depth=2
	s_or_b64 exec, exec, s[20:21]
	v_lshrrev_b64 v[24:25], 20, v[44:45]
	v_cmp_gt_i32_e64 s[20:21], 16, v0
	v_cndmask_b32_e64 v25, 0, v25, s[20:21]
	v_cndmask_b32_e64 v24, 7, v24, s[20:21]
	v_cmp_eq_u32_e64 s[20:21], 0, v0
	v_min_i32_e32 v0, 15, v0
	v_cmp_eq_u64_e64 s[22:23], 0, v[24:25]
	v_lshlrev_b32_e32 v0, 3, v0
	v_and_b32_e32 v0, 0xf8, v0
	v_and_or_b32 v0, v24, 7, v0
	s_and_b64 s[20:21], s[20:21], s[22:23]
	v_cndmask_b32_e64 v0, v0, 0, s[20:21]
	v_or_b32_e32 v0, v0, v18
.LBB2_284:                              ;   in Loop: Header=BB2_126 Depth=2
	s_or_b64 exec, exec, s[92:93]
                                        ; implicit-def: $vgpr18
.LBB2_285:                              ;   in Loop: Header=BB2_126 Depth=2
	s_andn2_saveexec_b64 s[20:21], s[90:91]
; %bb.286:                              ;   in Loop: Header=BB2_126 Depth=2
	v_or_b32_e32 v0, 0x7e, v18
; %bb.287:                              ;   in Loop: Header=BB2_126 Depth=2
	s_or_b64 exec, exec, s[20:21]
                                        ; implicit-def: $vgpr19
.LBB2_288:                              ;   in Loop: Header=BB2_126 Depth=2
	s_andn2_saveexec_b64 s[20:21], s[88:89]
; %bb.289:                              ;   in Loop: Header=BB2_126 Depth=2
	v_or_b32_sdwa v0, v19, s53 dst_sel:DWORD dst_unused:UNUSED_PAD src0_sel:BYTE_3 src1_sel:DWORD
; %bb.290:                              ;   in Loop: Header=BB2_126 Depth=2
	s_or_b64 exec, exec, s[20:21]
	v_lshrrev_b32_e32 v30, 16, v15
	v_cmp_ne_u16_sdwa s[20:21], v30, v37 src0_sel:BYTE_0 src1_sel:DWORD
	v_mov_b32_e32 v18, 0
	s_and_saveexec_b64 s[22:23], s[20:21]
	s_cbranch_execz .LBB2_296
; %bb.291:                              ;   in Loop: Header=BB2_126 Depth=2
	v_cmp_ne_u16_sdwa s[20:21], v30, s52 src0_sel:BYTE_0 src1_sel:DWORD
	v_bfrev_b32_e32 v18, 1
	s_and_saveexec_b64 s[88:89], s[20:21]
	s_cbranch_execz .LBB2_295
; %bb.292:                              ;   in Loop: Header=BB2_126 Depth=2
	v_bfe_u32 v19, v15, 16, 7
	v_cmp_ne_u32_e64 s[20:21], s53, v19
	v_mov_b32_e32 v18, 0x7f800001
	s_and_saveexec_b64 s[90:91], s[20:21]
	s_cbranch_execz .LBB2_294
; %bb.293:                              ;   in Loop: Header=BB2_126 Depth=2
	v_and_b32_e32 v24, 7, v30
	v_ffbh_u32_e32 v18, v24
	v_min_u32_e32 v36, 32, v18
	v_subrev_u32_e32 v18, 28, v36
	v_lshrrev_b32_e32 v25, 3, v19
	v_cmp_gt_u32_e64 s[20:21], 8, v19
	v_lshlrev_b64 v[18:19], v18, v[30:31]
	v_sub_u32_e32 v19, 29, v36
	v_and_b32_e32 v18, 7, v18
	v_cndmask_b32_e64 v19, v25, v19, s[20:21]
	v_cndmask_b32_e64 v18, v24, v18, s[20:21]
	v_lshlrev_b32_e32 v24, 24, v30
	v_lshlrev_b32_e32 v18, 20, v18
	v_and_b32_e32 v24, 0x80000000, v24
	v_lshl_add_u32 v19, v19, 23, v3
	v_or3_b32 v18, v24, v19, v18
.LBB2_294:                              ;   in Loop: Header=BB2_126 Depth=2
	s_or_b64 exec, exec, s[90:91]
.LBB2_295:                              ;   in Loop: Header=BB2_126 Depth=2
	s_or_b64 exec, exec, s[88:89]
.LBB2_296:                              ;   in Loop: Header=BB2_126 Depth=2
	s_or_b64 exec, exec, s[22:23]
	v_lshrrev_b32_e32 v30, 16, v11
	v_cmp_gt_i16_sdwa s[22:23], v30, s53 src0_sel:BYTE_0 src1_sel:DWORD
	s_mov_b64 s[20:21], 0
	s_and_saveexec_b64 s[88:89], s[22:23]
	s_xor_b64 s[22:23], exec, s[88:89]
	s_cbranch_execz .LBB2_562
; %bb.297:                              ;   in Loop: Header=BB2_126 Depth=2
	v_cmp_eq_u16_sdwa s[90:91], v30, s52 src0_sel:BYTE_0 src1_sel:DWORD
	s_mov_b64 s[20:21], -1
	s_and_saveexec_b64 s[88:89], s[90:91]
; %bb.298:                              ;   in Loop: Header=BB2_126 Depth=2
	s_xor_b64 s[20:21], exec, -1
; %bb.299:                              ;   in Loop: Header=BB2_126 Depth=2
	s_or_b64 exec, exec, s[88:89]
	s_and_b64 s[20:21], s[20:21], exec
	s_or_saveexec_b64 s[22:23], s[22:23]
	v_bfrev_b32_e32 v19, 1
	s_xor_b64 exec, exec, s[22:23]
	s_cbranch_execnz .LBB2_563
.LBB2_300:                              ;   in Loop: Header=BB2_126 Depth=2
	s_or_b64 exec, exec, s[22:23]
	s_and_saveexec_b64 s[22:23], s[20:21]
	s_cbranch_execz .LBB2_302
.LBB2_301:                              ;   in Loop: Header=BB2_126 Depth=2
	v_and_b32_e32 v19, 7, v30
	v_ffbh_u32_e32 v24, v19
	v_min_u32_e32 v53, 32, v24
	v_subrev_u32_e32 v24, 28, v53
	v_lshlrev_b64 v[24:25], v24, v[30:31]
	v_and_b32_e32 v36, 0x7f, v30
	v_bfe_u32 v52, v30, 3, 4
	v_sub_u32_e32 v25, 29, v53
	v_and_b32_e32 v24, 7, v24
	v_cmp_gt_u32_e64 s[20:21], 8, v36
	v_cndmask_b32_e64 v25, v52, v25, s[20:21]
	v_cndmask_b32_e64 v19, v19, v24, s[20:21]
	v_lshlrev_b32_e32 v24, 24, v30
	v_lshlrev_b32_e32 v19, 20, v19
	v_and_b32_e32 v24, 0x80000000, v24
	v_lshl_add_u32 v25, v25, 23, v3
	v_or3_b32 v19, v24, v25, v19
	v_cmp_ne_u32_e64 s[20:21], s53, v36
	v_cndmask_b32_e64 v19, v56, v19, s[20:21]
.LBB2_302:                              ;   in Loop: Header=BB2_126 Depth=2
	s_or_b64 exec, exec, s[22:23]
	v_add_f32_e32 v19, v18, v19
	v_and_b32_e32 v36, 0x7f800000, v19
	v_cmp_ne_u64_e64 s[20:21], s[56:57], v[36:37]
                                        ; implicit-def: $vgpr30
	s_and_saveexec_b64 s[22:23], s[20:21]
	s_xor_b64 s[88:89], exec, s[22:23]
	s_cbranch_execz .LBB2_316
; %bb.303:                              ;   in Loop: Header=BB2_126 Depth=2
	v_and_b32_e32 v36, 0x7fffffff, v19
	v_cmp_gt_u64_e64 s[20:21], s[58:59], v[36:37]
	v_and_b32_sdwa v18, v19, s52 dst_sel:DWORD dst_unused:UNUSED_PAD src0_sel:BYTE_3 src1_sel:DWORD
                                        ; implicit-def: $vgpr30
	s_and_saveexec_b64 s[22:23], s[20:21]
	s_xor_b64 s[90:91], exec, s[22:23]
	s_cbranch_execz .LBB2_313
; %bb.304:                              ;   in Loop: Header=BB2_126 Depth=2
	v_mov_b32_e32 v30, 0
	v_cmp_ne_u32_e64 s[20:21], 0, v19
	s_and_saveexec_b64 s[92:93], s[20:21]
	s_cbranch_execz .LBB2_312
; %bb.305:                              ;   in Loop: Header=BB2_126 Depth=2
	v_and_b32_e32 v24, 0x7fffff, v19
	v_bfe_u32 v19, v19, 23, 8
	v_cmp_gt_u32_e64 s[22:23], s54, v19
	v_sub_u32_e32 v25, 0x79, v19
	v_cmp_eq_u32_e64 s[20:21], 0, v19
	v_cndmask_b32_e64 v25, 0, v25, s[22:23]
	v_or_b32_e32 v36, 0x800000, v24
	v_cndmask_b32_e64 v30, v25, v2, s[20:21]
	v_cndmask_b32_e64 v36, v36, v24, s[20:21]
	v_add_u32_e32 v24, 20, v30
	v_lshlrev_b64 v[24:25], v24, -1
	v_add_u32_e32 v52, 19, v30
	v_lshlrev_b64 v[52:53], v52, 1
	v_lshrrev_b64 v[44:45], v30, v[36:37]
	v_bfi_b32 v25, v25, 0, 0
	v_bfi_b32 v24, v24, 0, v36
	v_cmp_eq_u64_e64 s[22:23], v[24:25], v[52:53]
	v_mov_b32_e32 v46, v45
	v_mov_b32_e32 v45, v44
	s_and_saveexec_b64 s[94:95], s[22:23]
; %bb.306:                              ;   in Loop: Header=BB2_126 Depth=2
	v_bfe_u32 v24, v44, 20, 1
	v_add_co_u32_e64 v24, s[22:23], v44, v24
	v_add_co_u32_e64 v45, s[22:23], -1, v24
; %bb.307:                              ;   in Loop: Header=BB2_126 Depth=2
	s_or_b64 exec, exec, s[94:95]
	v_add_u32_e32 v19, 0xffffff81, v19
	v_cndmask_b32_e64 v19, v19, v20, s[20:21]
	v_lshrrev_b32_e32 v24, 23, v44
	v_add3_u32 v52, v30, v19, v24
	v_add_u32_e32 v30, 6, v52
	v_and_b32_e32 v19, 0xfffff, v45
	v_add_u32_e32 v36, v19, v44
	v_cmp_ne_u32_e64 s[20:21], 0, v30
                                        ; implicit-def: $vgpr44_vgpr45
                                        ; implicit-def: $vgpr19
	s_and_saveexec_b64 s[22:23], s[20:21]
	s_xor_b64 s[22:23], exec, s[22:23]
; %bb.308:                              ;   in Loop: Header=BB2_126 Depth=2
	v_cmp_lt_u64_e64 s[20:21], s[60:61], v[36:37]
	v_add_u32_e32 v19, 7, v52
	v_cndmask_b32_e64 v24, 0, 1, s[20:21]
	v_cndmask_b32_e64 v19, v30, v19, s[20:21]
	v_lshrrev_b64 v[44:45], v24, v[36:37]
; %bb.309:                              ;   in Loop: Header=BB2_126 Depth=2
	s_andn2_saveexec_b64 s[20:21], s[22:23]
; %bb.310:                              ;   in Loop: Header=BB2_126 Depth=2
	v_mov_b32_e32 v45, v37
	v_bfe_u32 v19, v36, 23, 1
	v_mov_b32_e32 v44, v36
; %bb.311:                              ;   in Loop: Header=BB2_126 Depth=2
	s_or_b64 exec, exec, s[20:21]
	v_lshrrev_b64 v[24:25], 20, v[44:45]
	v_cmp_gt_i32_e64 s[20:21], 16, v19
	v_cndmask_b32_e64 v25, 0, v25, s[20:21]
	v_cndmask_b32_e64 v24, 7, v24, s[20:21]
	v_cmp_eq_u32_e64 s[20:21], 0, v19
	v_min_i32_e32 v19, 15, v19
	v_cmp_eq_u64_e64 s[22:23], 0, v[24:25]
	v_lshlrev_b32_e32 v19, 3, v19
	v_and_b32_e32 v19, 0xf8, v19
	v_and_or_b32 v19, v24, 7, v19
	s_and_b64 s[20:21], s[20:21], s[22:23]
	v_cndmask_b32_e64 v19, v19, 0, s[20:21]
	v_or_b32_e32 v30, v19, v18
.LBB2_312:                              ;   in Loop: Header=BB2_126 Depth=2
	s_or_b64 exec, exec, s[92:93]
                                        ; implicit-def: $vgpr18
.LBB2_313:                              ;   in Loop: Header=BB2_126 Depth=2
	s_andn2_saveexec_b64 s[20:21], s[90:91]
; %bb.314:                              ;   in Loop: Header=BB2_126 Depth=2
	v_or_b32_e32 v30, 0x7e, v18
; %bb.315:                              ;   in Loop: Header=BB2_126 Depth=2
	s_or_b64 exec, exec, s[20:21]
                                        ; implicit-def: $vgpr19
.LBB2_316:                              ;   in Loop: Header=BB2_126 Depth=2
	s_andn2_saveexec_b64 s[20:21], s[88:89]
; %bb.317:                              ;   in Loop: Header=BB2_126 Depth=2
	v_or_b32_sdwa v30, v19, s53 dst_sel:DWORD dst_unused:UNUSED_PAD src0_sel:BYTE_3 src1_sel:DWORD
; %bb.318:                              ;   in Loop: Header=BB2_126 Depth=2
	s_or_b64 exec, exec, s[20:21]
	v_cmp_lt_u64_e64 s[20:21], s[62:63], v[14:15]
	v_mov_b32_e32 v18, 0
	s_and_saveexec_b64 s[22:23], s[20:21]
	s_cbranch_execz .LBB2_324
; %bb.319:                              ;   in Loop: Header=BB2_126 Depth=2
	v_lshrrev_b32_e32 v14, 24, v15
	v_cmp_ne_u32_e64 s[20:21], s52, v14
	v_bfrev_b32_e32 v18, 1
	s_and_saveexec_b64 s[88:89], s[20:21]
	s_cbranch_execz .LBB2_323
; %bb.320:                              ;   in Loop: Header=BB2_126 Depth=2
	v_bfe_u32 v15, v15, 24, 7
	v_cmp_ne_u32_e64 s[20:21], s53, v15
	v_mov_b32_e32 v18, 0x7f800001
	s_and_saveexec_b64 s[90:91], s[20:21]
	s_cbranch_execz .LBB2_322
; %bb.321:                              ;   in Loop: Header=BB2_126 Depth=2
	v_and_b32_e32 v24, 7, v14
	v_lshrrev_b32_e32 v25, 3, v15
	v_cmp_gt_u32_e64 s[20:21], 8, v15
	v_ffbh_u32_e32 v15, v24
	v_min_u32_e32 v15, 32, v15
	v_subrev_u32_e32 v18, 28, v15
	v_lshlrev_b64 v[18:19], v18, v[14:15]
	v_sub_u32_e32 v15, 29, v15
	v_and_b32_e32 v18, 7, v18
	v_cndmask_b32_e64 v15, v25, v15, s[20:21]
	v_cndmask_b32_e64 v18, v24, v18, s[20:21]
	v_lshlrev_b32_e32 v14, 24, v14
	v_lshlrev_b32_e32 v18, 20, v18
	v_and_b32_e32 v14, 0x80000000, v14
	v_lshl_add_u32 v15, v15, 23, v3
	v_or3_b32 v18, v14, v15, v18
.LBB2_322:                              ;   in Loop: Header=BB2_126 Depth=2
	s_or_b64 exec, exec, s[90:91]
.LBB2_323:                              ;   in Loop: Header=BB2_126 Depth=2
	s_or_b64 exec, exec, s[88:89]
.LBB2_324:                              ;   in Loop: Header=BB2_126 Depth=2
	s_or_b64 exec, exec, s[22:23]
	v_bfe_u32 v15, v11, 24, 3
	v_ffbh_u32_e32 v24, v15
	v_min_u32_e32 v52, 32, v24
	v_lshrrev_b32_e32 v14, 24, v11
	v_subrev_u32_e32 v24, 28, v52
	v_lshlrev_b64 v[24:25], v24, v[14:15]
	v_bfe_u32 v19, v11, 24, 7
	v_bfe_u32 v36, v14, 3, 4
	v_sub_u32_e32 v25, 29, v52
	v_and_b32_e32 v24, 7, v24
	v_cmp_gt_u32_e64 s[20:21], 8, v19
	v_cndmask_b32_e64 v25, v36, v25, s[20:21]
	v_cndmask_b32_e64 v15, v15, v24, s[20:21]
	v_lshlrev_b32_e32 v15, 20, v15
	v_and_b32_e32 v24, 0x80000000, v11
	v_lshl_add_u32 v25, v25, 23, v3
	v_or3_b32 v15, v24, v25, v15
	v_cmp_ne_u32_e64 s[20:21], s53, v19
	v_cndmask_b32_e64 v15, v56, v15, s[20:21]
	v_cmp_ne_u32_e64 s[20:21], s52, v14
	v_cndmask_b32_e64 v14, v21, v15, s[20:21]
	v_cmp_lt_u64_e64 s[20:21], s[62:63], v[10:11]
                                        ; implicit-def: $vgpr46
	v_cndmask_b32_e64 v10, 0, v14, s[20:21]
	v_add_f32_e32 v10, v10, v18
	v_and_b32_e32 v36, 0x7f800000, v10
	v_cmp_ne_u64_e64 s[20:21], s[56:57], v[36:37]
	s_and_saveexec_b64 s[22:23], s[20:21]
	s_xor_b64 s[88:89], exec, s[22:23]
	s_cbranch_execz .LBB2_338
; %bb.325:                              ;   in Loop: Header=BB2_126 Depth=2
	v_and_b32_e32 v36, 0x7fffffff, v10
	v_cmp_gt_u64_e64 s[20:21], s[58:59], v[36:37]
	v_and_b32_sdwa v18, v10, s52 dst_sel:DWORD dst_unused:UNUSED_PAD src0_sel:BYTE_3 src1_sel:DWORD
                                        ; implicit-def: $vgpr46
	s_and_saveexec_b64 s[22:23], s[20:21]
	s_xor_b64 s[90:91], exec, s[22:23]
	s_cbranch_execz .LBB2_335
; %bb.326:                              ;   in Loop: Header=BB2_126 Depth=2
	v_mov_b32_e32 v46, 0
	v_cmp_ne_u32_e64 s[20:21], 0, v10
	s_and_saveexec_b64 s[92:93], s[20:21]
	s_cbranch_execz .LBB2_334
; %bb.327:                              ;   in Loop: Header=BB2_126 Depth=2
	v_bfe_u32 v19, v10, 23, 8
	v_and_b32_e32 v11, 0x7fffff, v10
	v_cmp_gt_u32_e64 s[22:23], s54, v19
	v_sub_u32_e32 v10, 0x79, v19
	v_cmp_eq_u32_e64 s[20:21], 0, v19
	v_cndmask_b32_e64 v10, 0, v10, s[22:23]
	v_cndmask_b32_e64 v52, v10, v2, s[20:21]
	v_or_b32_e32 v14, 0x800000, v11
	v_add_u32_e32 v10, 20, v52
	v_cndmask_b32_e64 v36, v14, v11, s[20:21]
	v_lshlrev_b64 v[10:11], v10, -1
	v_add_u32_e32 v14, 19, v52
	v_lshlrev_b64 v[14:15], v14, 1
	v_bfi_b32 v11, v11, 0, 0
	v_bfi_b32 v10, v10, 0, v36
	v_cmp_eq_u64_e64 s[22:23], v[10:11], v[14:15]
	v_lshrrev_b64 v[10:11], v52, v[36:37]
	v_mov_b32_e32 v15, v11
	v_mov_b32_e32 v14, v10
	s_and_saveexec_b64 s[94:95], s[22:23]
; %bb.328:                              ;   in Loop: Header=BB2_126 Depth=2
	v_bfe_u32 v11, v10, 20, 1
	v_add_co_u32_e64 v11, s[22:23], v10, v11
	v_add_co_u32_e64 v14, s[22:23], -1, v11
; %bb.329:                              ;   in Loop: Header=BB2_126 Depth=2
	s_or_b64 exec, exec, s[94:95]
	v_add_u32_e32 v11, 0xffffff81, v19
	v_cndmask_b32_e64 v11, v11, v20, s[20:21]
	v_lshrrev_b32_e32 v15, 23, v10
	v_add3_u32 v19, v52, v11, v15
	v_add_u32_e32 v15, 6, v19
	v_and_b32_e32 v11, 0xfffff, v14
	v_add_u32_e32 v36, v11, v10
	v_cmp_ne_u32_e64 s[20:21], 0, v15
                                        ; implicit-def: $vgpr10_vgpr11
                                        ; implicit-def: $vgpr14
	s_and_saveexec_b64 s[22:23], s[20:21]
	s_xor_b64 s[22:23], exec, s[22:23]
; %bb.330:                              ;   in Loop: Header=BB2_126 Depth=2
	v_cmp_lt_u64_e64 s[20:21], s[60:61], v[36:37]
	v_add_u32_e32 v10, 7, v19
	v_cndmask_b32_e64 v14, v15, v10, s[20:21]
	v_cndmask_b32_e64 v10, 0, 1, s[20:21]
	v_lshrrev_b64 v[10:11], v10, v[36:37]
; %bb.331:                              ;   in Loop: Header=BB2_126 Depth=2
	s_andn2_saveexec_b64 s[20:21], s[22:23]
; %bb.332:                              ;   in Loop: Header=BB2_126 Depth=2
	v_mov_b32_e32 v10, v36
	v_bfe_u32 v14, v36, 23, 1
	v_mov_b32_e32 v11, v37
; %bb.333:                              ;   in Loop: Header=BB2_126 Depth=2
	s_or_b64 exec, exec, s[20:21]
	v_lshrrev_b64 v[10:11], 20, v[10:11]
	v_cmp_gt_i32_e64 s[20:21], 16, v14
	v_cndmask_b32_e64 v11, 0, v11, s[20:21]
	v_cndmask_b32_e64 v10, 7, v10, s[20:21]
	v_cmp_eq_u64_e64 s[22:23], 0, v[10:11]
	v_min_i32_e32 v11, 15, v14
	v_lshlrev_b32_e32 v11, 3, v11
	v_cmp_eq_u32_e64 s[20:21], 0, v14
	v_and_b32_e32 v11, 0xf8, v11
	v_and_or_b32 v10, v10, 7, v11
	s_and_b64 s[20:21], s[20:21], s[22:23]
	v_cndmask_b32_e64 v10, v10, 0, s[20:21]
	v_or_b32_e32 v46, v10, v18
.LBB2_334:                              ;   in Loop: Header=BB2_126 Depth=2
	s_or_b64 exec, exec, s[92:93]
                                        ; implicit-def: $vgpr18
.LBB2_335:                              ;   in Loop: Header=BB2_126 Depth=2
	s_andn2_saveexec_b64 s[20:21], s[90:91]
; %bb.336:                              ;   in Loop: Header=BB2_126 Depth=2
	v_or_b32_e32 v46, 0x7e, v18
; %bb.337:                              ;   in Loop: Header=BB2_126 Depth=2
	s_or_b64 exec, exec, s[20:21]
                                        ; implicit-def: $vgpr10
.LBB2_338:                              ;   in Loop: Header=BB2_126 Depth=2
	s_andn2_saveexec_b64 s[20:21], s[88:89]
; %bb.339:                              ;   in Loop: Header=BB2_126 Depth=2
	v_or_b32_sdwa v46, v10, s53 dst_sel:DWORD dst_unused:UNUSED_PAD src0_sel:BYTE_3 src1_sel:DWORD
; %bb.340:                              ;   in Loop: Header=BB2_126 Depth=2
	s_or_b64 exec, exec, s[20:21]
	v_cmp_ne_u16_sdwa s[20:21], v16, v37 src0_sel:BYTE_0 src1_sel:DWORD
	v_mov_b32_e32 v10, 0
	s_and_saveexec_b64 s[22:23], s[20:21]
	s_cbranch_execz .LBB2_346
; %bb.341:                              ;   in Loop: Header=BB2_126 Depth=2
	v_cmp_ne_u16_sdwa s[20:21], v16, s52 src0_sel:BYTE_0 src1_sel:DWORD
	v_bfrev_b32_e32 v10, 1
	s_and_saveexec_b64 s[88:89], s[20:21]
	s_cbranch_execz .LBB2_345
; %bb.342:                              ;   in Loop: Header=BB2_126 Depth=2
	v_and_b32_e32 v11, 0x7f, v16
	v_cmp_ne_u32_e64 s[20:21], s53, v11
	v_mov_b32_e32 v10, 0x7f800001
	s_and_saveexec_b64 s[90:91], s[20:21]
	s_cbranch_execz .LBB2_344
; %bb.343:                              ;   in Loop: Header=BB2_126 Depth=2
	v_and_b32_e32 v10, 7, v16
	v_ffbh_u32_e32 v10, v10
	v_min_u32_e32 v10, 32, v10
	v_lshrrev_b32_e32 v14, 3, v11
	v_cmp_gt_u32_e64 s[20:21], 8, v11
	v_subrev_u32_e32 v11, 28, v10
	v_sub_u32_e32 v10, 29, v10
	v_cndmask_b32_e64 v14, v14, v10, s[20:21]
	v_cndmask_b32_e64 v10, 0, v11, s[20:21]
	v_lshlrev_b64 v[10:11], v10, v[16:17]
	v_lshlrev_b32_e32 v11, 24, v16
	v_lshlrev_b32_e32 v10, 20, v10
	v_and_b32_e32 v10, 0x700000, v10
	v_and_b32_e32 v11, 0x80000000, v11
	v_lshl_add_u32 v14, v14, 23, v3
	v_or3_b32 v10, v11, v14, v10
.LBB2_344:                              ;   in Loop: Header=BB2_126 Depth=2
	s_or_b64 exec, exec, s[90:91]
.LBB2_345:                              ;   in Loop: Header=BB2_126 Depth=2
	s_or_b64 exec, exec, s[88:89]
.LBB2_346:                              ;   in Loop: Header=BB2_126 Depth=2
	s_or_b64 exec, exec, s[22:23]
	v_cmp_gt_i16_sdwa s[22:23], v12, s53 src0_sel:BYTE_0 src1_sel:DWORD
	s_mov_b64 s[20:21], 0
	s_and_saveexec_b64 s[88:89], s[22:23]
	s_xor_b64 s[22:23], exec, s[88:89]
	s_cbranch_execz .LBB2_564
; %bb.347:                              ;   in Loop: Header=BB2_126 Depth=2
	v_cmp_eq_u16_sdwa s[90:91], v12, s52 src0_sel:BYTE_0 src1_sel:DWORD
	s_mov_b64 s[20:21], -1
	s_and_saveexec_b64 s[88:89], s[90:91]
; %bb.348:                              ;   in Loop: Header=BB2_126 Depth=2
	s_xor_b64 s[20:21], exec, -1
; %bb.349:                              ;   in Loop: Header=BB2_126 Depth=2
	s_or_b64 exec, exec, s[88:89]
	s_and_b64 s[20:21], s[20:21], exec
	s_or_saveexec_b64 s[22:23], s[22:23]
	v_bfrev_b32_e32 v11, 1
	s_xor_b64 exec, exec, s[22:23]
	s_cbranch_execnz .LBB2_565
.LBB2_350:                              ;   in Loop: Header=BB2_126 Depth=2
	s_or_b64 exec, exec, s[22:23]
	s_and_saveexec_b64 s[22:23], s[20:21]
	s_cbranch_execz .LBB2_352
.LBB2_351:                              ;   in Loop: Header=BB2_126 Depth=2
	v_and_b32_e32 v11, 7, v12
	v_ffbh_u32_e32 v11, v11
	v_and_b32_e32 v18, 0x7f, v12
	v_min_u32_e32 v11, 32, v11
	v_bfe_u32 v14, v12, 3, 4
	v_subrev_u32_e32 v15, 28, v11
	v_sub_u32_e32 v11, 29, v11
	v_cmp_gt_u32_e64 s[20:21], 8, v18
	v_cndmask_b32_e64 v11, v14, v11, s[20:21]
	v_cndmask_b32_e64 v14, 0, v15, s[20:21]
	v_lshlrev_b64 v[14:15], v14, v[12:13]
	v_lshlrev_b32_e32 v15, 24, v12
	v_lshlrev_b32_e32 v14, 20, v14
	v_and_b32_e32 v14, 0x700000, v14
	v_and_b32_e32 v15, 0x80000000, v15
	v_lshl_add_u32 v11, v11, 23, v3
	v_or3_b32 v11, v15, v11, v14
	v_cmp_ne_u32_e64 s[20:21], s53, v18
	v_cndmask_b32_e64 v11, v56, v11, s[20:21]
.LBB2_352:                              ;   in Loop: Header=BB2_126 Depth=2
	s_or_b64 exec, exec, s[22:23]
	v_add_f32_e32 v10, v10, v11
	v_and_b32_e32 v36, 0x7f800000, v10
	v_cmp_ne_u64_e64 s[20:21], s[56:57], v[36:37]
                                        ; implicit-def: $vgpr47
	s_and_saveexec_b64 s[22:23], s[20:21]
	s_xor_b64 s[88:89], exec, s[22:23]
	s_cbranch_execz .LBB2_366
; %bb.353:                              ;   in Loop: Header=BB2_126 Depth=2
	v_and_b32_e32 v36, 0x7fffffff, v10
	v_cmp_gt_u64_e64 s[20:21], s[58:59], v[36:37]
	v_and_b32_sdwa v18, v10, s52 dst_sel:DWORD dst_unused:UNUSED_PAD src0_sel:BYTE_3 src1_sel:DWORD
                                        ; implicit-def: $vgpr47
	s_and_saveexec_b64 s[22:23], s[20:21]
	s_xor_b64 s[90:91], exec, s[22:23]
	s_cbranch_execz .LBB2_363
; %bb.354:                              ;   in Loop: Header=BB2_126 Depth=2
	v_mov_b32_e32 v47, 0
	v_cmp_ne_u32_e64 s[20:21], 0, v10
	s_and_saveexec_b64 s[92:93], s[20:21]
	s_cbranch_execz .LBB2_362
; %bb.355:                              ;   in Loop: Header=BB2_126 Depth=2
	v_bfe_u32 v19, v10, 23, 8
	v_and_b32_e32 v11, 0x7fffff, v10
	v_cmp_gt_u32_e64 s[22:23], s54, v19
	v_sub_u32_e32 v10, 0x79, v19
	v_cmp_eq_u32_e64 s[20:21], 0, v19
	v_cndmask_b32_e64 v10, 0, v10, s[22:23]
	v_cndmask_b32_e64 v52, v10, v2, s[20:21]
	v_or_b32_e32 v14, 0x800000, v11
	v_add_u32_e32 v10, 20, v52
	v_cndmask_b32_e64 v36, v14, v11, s[20:21]
	v_lshlrev_b64 v[10:11], v10, -1
	v_add_u32_e32 v14, 19, v52
	v_lshlrev_b64 v[14:15], v14, 1
	v_bfi_b32 v11, v11, 0, 0
	v_bfi_b32 v10, v10, 0, v36
	v_cmp_eq_u64_e64 s[22:23], v[10:11], v[14:15]
	v_lshrrev_b64 v[10:11], v52, v[36:37]
	v_mov_b32_e32 v15, v11
	v_mov_b32_e32 v14, v10
	s_and_saveexec_b64 s[94:95], s[22:23]
; %bb.356:                              ;   in Loop: Header=BB2_126 Depth=2
	v_bfe_u32 v11, v10, 20, 1
	v_add_co_u32_e64 v11, s[22:23], v10, v11
	v_add_co_u32_e64 v14, s[22:23], -1, v11
; %bb.357:                              ;   in Loop: Header=BB2_126 Depth=2
	s_or_b64 exec, exec, s[94:95]
	v_add_u32_e32 v11, 0xffffff81, v19
	v_cndmask_b32_e64 v11, v11, v20, s[20:21]
	v_lshrrev_b32_e32 v15, 23, v10
	v_add3_u32 v19, v52, v11, v15
	v_add_u32_e32 v15, 6, v19
	v_and_b32_e32 v11, 0xfffff, v14
	v_add_u32_e32 v36, v11, v10
	v_cmp_ne_u32_e64 s[20:21], 0, v15
                                        ; implicit-def: $vgpr10_vgpr11
                                        ; implicit-def: $vgpr14
	s_and_saveexec_b64 s[22:23], s[20:21]
	s_xor_b64 s[22:23], exec, s[22:23]
; %bb.358:                              ;   in Loop: Header=BB2_126 Depth=2
	v_cmp_lt_u64_e64 s[20:21], s[60:61], v[36:37]
	v_add_u32_e32 v10, 7, v19
	v_cndmask_b32_e64 v14, v15, v10, s[20:21]
	v_cndmask_b32_e64 v10, 0, 1, s[20:21]
	v_lshrrev_b64 v[10:11], v10, v[36:37]
; %bb.359:                              ;   in Loop: Header=BB2_126 Depth=2
	s_andn2_saveexec_b64 s[20:21], s[22:23]
; %bb.360:                              ;   in Loop: Header=BB2_126 Depth=2
	v_mov_b32_e32 v10, v36
	v_bfe_u32 v14, v36, 23, 1
	v_mov_b32_e32 v11, v37
; %bb.361:                              ;   in Loop: Header=BB2_126 Depth=2
	s_or_b64 exec, exec, s[20:21]
	v_lshrrev_b64 v[10:11], 20, v[10:11]
	v_cmp_gt_i32_e64 s[20:21], 16, v14
	v_cndmask_b32_e64 v11, 0, v11, s[20:21]
	v_cndmask_b32_e64 v10, 7, v10, s[20:21]
	v_cmp_eq_u64_e64 s[22:23], 0, v[10:11]
	v_min_i32_e32 v11, 15, v14
	v_lshlrev_b32_e32 v11, 3, v11
	v_cmp_eq_u32_e64 s[20:21], 0, v14
	v_and_b32_e32 v11, 0xf8, v11
	v_and_or_b32 v10, v10, 7, v11
	s_and_b64 s[20:21], s[20:21], s[22:23]
	v_cndmask_b32_e64 v10, v10, 0, s[20:21]
	v_or_b32_e32 v47, v10, v18
.LBB2_362:                              ;   in Loop: Header=BB2_126 Depth=2
	s_or_b64 exec, exec, s[92:93]
                                        ; implicit-def: $vgpr18
.LBB2_363:                              ;   in Loop: Header=BB2_126 Depth=2
	s_andn2_saveexec_b64 s[20:21], s[90:91]
; %bb.364:                              ;   in Loop: Header=BB2_126 Depth=2
	v_or_b32_e32 v47, 0x7e, v18
; %bb.365:                              ;   in Loop: Header=BB2_126 Depth=2
	s_or_b64 exec, exec, s[20:21]
                                        ; implicit-def: $vgpr10
.LBB2_366:                              ;   in Loop: Header=BB2_126 Depth=2
	s_andn2_saveexec_b64 s[20:21], s[88:89]
; %bb.367:                              ;   in Loop: Header=BB2_126 Depth=2
	v_or_b32_sdwa v47, v10, s53 dst_sel:DWORD dst_unused:UNUSED_PAD src0_sel:BYTE_3 src1_sel:DWORD
; %bb.368:                              ;   in Loop: Header=BB2_126 Depth=2
	s_or_b64 exec, exec, s[20:21]
	v_lshrrev_b16_e32 v10, 8, v16
	v_cmp_ne_u16_e64 s[20:21], 0, v10
	v_mov_b32_e32 v11, 0
	s_and_saveexec_b64 s[22:23], s[20:21]
	s_cbranch_execz .LBB2_374
; %bb.369:                              ;   in Loop: Header=BB2_126 Depth=2
	v_cmp_ne_u16_e64 s[20:21], s52, v10
	v_bfrev_b32_e32 v11, 1
	s_and_saveexec_b64 s[88:89], s[20:21]
	s_cbranch_execz .LBB2_373
; %bb.370:                              ;   in Loop: Header=BB2_126 Depth=2
	v_and_b32_e32 v14, 0x7f, v10
	v_cmp_ne_u32_e64 s[20:21], s53, v14
	v_mov_b32_e32 v11, 0x7f800001
	s_and_saveexec_b64 s[90:91], s[20:21]
	s_cbranch_execz .LBB2_372
; %bb.371:                              ;   in Loop: Header=BB2_126 Depth=2
	v_and_b32_e32 v15, 7, v10
	v_ffbh_u32_e32 v11, v15
	v_lshrrev_b32_e32 v18, 3, v14
	v_cmp_gt_u32_e64 s[20:21], 8, v14
	v_min_u32_e32 v14, 32, v11
	v_subrev_u32_e32 v11, 28, v14
	v_lshlrev_b64 v[10:11], v11, v[10:11]
	v_sub_u32_e32 v11, 29, v14
	v_and_b32_e32 v10, 7, v10
	v_cndmask_b32_e64 v11, v18, v11, s[20:21]
	v_cndmask_b32_e64 v10, v15, v10, s[20:21]
	v_lshlrev_b32_e32 v14, 16, v16
	v_lshlrev_b32_e32 v10, 20, v10
	v_and_b32_e32 v14, 0x80000000, v14
	v_lshl_add_u32 v11, v11, 23, v3
	v_or3_b32 v11, v14, v11, v10
.LBB2_372:                              ;   in Loop: Header=BB2_126 Depth=2
	s_or_b64 exec, exec, s[90:91]
.LBB2_373:                              ;   in Loop: Header=BB2_126 Depth=2
	s_or_b64 exec, exec, s[88:89]
.LBB2_374:                              ;   in Loop: Header=BB2_126 Depth=2
	s_or_b64 exec, exec, s[22:23]
	v_lshrrev_b16_e32 v36, 8, v12
	v_cmp_lt_i16_e64 s[20:21], s53, v36
	s_mov_b64 s[22:23], 0
	s_and_saveexec_b64 s[88:89], s[20:21]
	s_xor_b64 s[88:89], exec, s[88:89]
	s_cbranch_execz .LBB2_566
; %bb.375:                              ;   in Loop: Header=BB2_126 Depth=2
	v_cmp_eq_u16_e64 s[20:21], s52, v36
	s_mov_b64 s[22:23], -1
	s_and_saveexec_b64 s[90:91], s[20:21]
; %bb.376:                              ;   in Loop: Header=BB2_126 Depth=2
	s_xor_b64 s[22:23], exec, -1
; %bb.377:                              ;   in Loop: Header=BB2_126 Depth=2
	s_or_b64 exec, exec, s[90:91]
	s_and_b64 s[22:23], s[22:23], exec
	s_or_saveexec_b64 s[88:89], s[88:89]
	v_bfrev_b32_e32 v10, 1
	s_xor_b64 exec, exec, s[88:89]
	s_cbranch_execnz .LBB2_567
.LBB2_378:                              ;   in Loop: Header=BB2_126 Depth=2
	s_or_b64 exec, exec, s[88:89]
	s_and_saveexec_b64 s[88:89], s[22:23]
	s_cbranch_execz .LBB2_380
.LBB2_379:                              ;   in Loop: Header=BB2_126 Depth=2
	v_and_b32_e32 v10, 7, v36
	v_ffbh_u32_e32 v14, v10
	v_min_u32_e32 v24, 32, v14
	v_subrev_u32_e32 v14, 28, v24
	v_lshlrev_b64 v[14:15], v14, v[36:37]
	v_and_b32_e32 v18, 0x7f, v36
	v_bfe_u32 v19, v36, 3, 4
	v_sub_u32_e32 v15, 29, v24
	v_and_b32_e32 v14, 7, v14
	v_cmp_gt_u32_e64 s[20:21], 8, v18
	v_cndmask_b32_e64 v15, v19, v15, s[20:21]
	v_cndmask_b32_e64 v10, v10, v14, s[20:21]
	v_lshlrev_b32_e32 v14, 24, v36
	v_lshlrev_b32_e32 v10, 20, v10
	v_and_b32_e32 v14, 0x80000000, v14
	v_lshl_add_u32 v15, v15, 23, v3
	v_or3_b32 v10, v14, v15, v10
	v_cmp_ne_u32_e64 s[20:21], s53, v18
	v_cndmask_b32_e64 v10, v56, v10, s[20:21]
.LBB2_380:                              ;   in Loop: Header=BB2_126 Depth=2
	s_or_b64 exec, exec, s[88:89]
	v_add_f32_e32 v10, v11, v10
	v_and_b32_e32 v36, 0x7f800000, v10
	v_cmp_ne_u64_e64 s[20:21], s[56:57], v[36:37]
                                        ; implicit-def: $vgpr18
	s_and_saveexec_b64 s[22:23], s[20:21]
	s_xor_b64 s[88:89], exec, s[22:23]
	s_cbranch_execz .LBB2_394
; %bb.381:                              ;   in Loop: Header=BB2_126 Depth=2
	v_and_b32_e32 v36, 0x7fffffff, v10
	v_cmp_gt_u64_e64 s[20:21], s[58:59], v[36:37]
	v_and_b32_sdwa v19, v10, s52 dst_sel:DWORD dst_unused:UNUSED_PAD src0_sel:BYTE_3 src1_sel:DWORD
                                        ; implicit-def: $vgpr18
	s_and_saveexec_b64 s[22:23], s[20:21]
	s_xor_b64 s[90:91], exec, s[22:23]
	s_cbranch_execz .LBB2_391
; %bb.382:                              ;   in Loop: Header=BB2_126 Depth=2
	v_mov_b32_e32 v18, 0
	v_cmp_ne_u32_e64 s[20:21], 0, v10
	s_and_saveexec_b64 s[92:93], s[20:21]
	s_cbranch_execz .LBB2_390
; %bb.383:                              ;   in Loop: Header=BB2_126 Depth=2
	v_bfe_u32 v18, v10, 23, 8
	v_and_b32_e32 v11, 0x7fffff, v10
	v_cmp_gt_u32_e64 s[22:23], s54, v18
	v_sub_u32_e32 v10, 0x79, v18
	v_cmp_eq_u32_e64 s[20:21], 0, v18
	v_cndmask_b32_e64 v10, 0, v10, s[22:23]
	v_cndmask_b32_e64 v52, v10, v2, s[20:21]
	v_or_b32_e32 v14, 0x800000, v11
	v_add_u32_e32 v10, 20, v52
	v_cndmask_b32_e64 v36, v14, v11, s[20:21]
	v_lshlrev_b64 v[10:11], v10, -1
	v_add_u32_e32 v14, 19, v52
	v_lshlrev_b64 v[14:15], v14, 1
	v_bfi_b32 v11, v11, 0, 0
	v_bfi_b32 v10, v10, 0, v36
	v_cmp_eq_u64_e64 s[22:23], v[10:11], v[14:15]
	v_lshrrev_b64 v[10:11], v52, v[36:37]
	v_mov_b32_e32 v15, v11
	v_mov_b32_e32 v14, v10
	s_and_saveexec_b64 s[94:95], s[22:23]
; %bb.384:                              ;   in Loop: Header=BB2_126 Depth=2
	v_bfe_u32 v11, v10, 20, 1
	v_add_co_u32_e64 v11, s[22:23], v10, v11
	v_add_co_u32_e64 v14, s[22:23], -1, v11
; %bb.385:                              ;   in Loop: Header=BB2_126 Depth=2
	s_or_b64 exec, exec, s[94:95]
	v_add_u32_e32 v11, 0xffffff81, v18
	v_cndmask_b32_e64 v11, v11, v20, s[20:21]
	v_lshrrev_b32_e32 v15, 23, v10
	v_add3_u32 v18, v52, v11, v15
	v_add_u32_e32 v15, 6, v18
	v_and_b32_e32 v11, 0xfffff, v14
	v_add_u32_e32 v36, v11, v10
	v_cmp_ne_u32_e64 s[20:21], 0, v15
                                        ; implicit-def: $vgpr10_vgpr11
                                        ; implicit-def: $vgpr14
	s_and_saveexec_b64 s[22:23], s[20:21]
	s_xor_b64 s[22:23], exec, s[22:23]
; %bb.386:                              ;   in Loop: Header=BB2_126 Depth=2
	v_cmp_lt_u64_e64 s[20:21], s[60:61], v[36:37]
	v_add_u32_e32 v10, 7, v18
	v_cndmask_b32_e64 v14, v15, v10, s[20:21]
	v_cndmask_b32_e64 v10, 0, 1, s[20:21]
	v_lshrrev_b64 v[10:11], v10, v[36:37]
; %bb.387:                              ;   in Loop: Header=BB2_126 Depth=2
	s_andn2_saveexec_b64 s[20:21], s[22:23]
; %bb.388:                              ;   in Loop: Header=BB2_126 Depth=2
	v_mov_b32_e32 v10, v36
	v_bfe_u32 v14, v36, 23, 1
	v_mov_b32_e32 v11, v37
; %bb.389:                              ;   in Loop: Header=BB2_126 Depth=2
	s_or_b64 exec, exec, s[20:21]
	v_lshrrev_b64 v[10:11], 20, v[10:11]
	v_cmp_gt_i32_e64 s[20:21], 16, v14
	v_cndmask_b32_e64 v11, 0, v11, s[20:21]
	v_cndmask_b32_e64 v10, 7, v10, s[20:21]
	v_cmp_eq_u64_e64 s[22:23], 0, v[10:11]
	v_min_i32_e32 v11, 15, v14
	v_lshlrev_b32_e32 v11, 3, v11
	v_cmp_eq_u32_e64 s[20:21], 0, v14
	v_and_b32_e32 v11, 0xf8, v11
	v_and_or_b32 v10, v10, 7, v11
	s_and_b64 s[20:21], s[20:21], s[22:23]
	v_cndmask_b32_e64 v10, v10, 0, s[20:21]
	v_or_b32_e32 v18, v10, v19
.LBB2_390:                              ;   in Loop: Header=BB2_126 Depth=2
	s_or_b64 exec, exec, s[92:93]
                                        ; implicit-def: $vgpr19
.LBB2_391:                              ;   in Loop: Header=BB2_126 Depth=2
	s_andn2_saveexec_b64 s[20:21], s[90:91]
; %bb.392:                              ;   in Loop: Header=BB2_126 Depth=2
	v_or_b32_e32 v18, 0x7e, v19
; %bb.393:                              ;   in Loop: Header=BB2_126 Depth=2
	s_or_b64 exec, exec, s[20:21]
                                        ; implicit-def: $vgpr10
.LBB2_394:                              ;   in Loop: Header=BB2_126 Depth=2
	s_andn2_saveexec_b64 s[20:21], s[88:89]
; %bb.395:                              ;   in Loop: Header=BB2_126 Depth=2
	v_or_b32_sdwa v18, v10, s53 dst_sel:DWORD dst_unused:UNUSED_PAD src0_sel:BYTE_3 src1_sel:DWORD
; %bb.396:                              ;   in Loop: Header=BB2_126 Depth=2
	s_or_b64 exec, exec, s[20:21]
	v_lshrrev_b32_e32 v10, 16, v16
	v_cmp_ne_u16_sdwa s[20:21], v10, v37 src0_sel:BYTE_0 src1_sel:DWORD
	v_mov_b32_e32 v11, 0
	s_and_saveexec_b64 s[22:23], s[20:21]
	s_cbranch_execz .LBB2_402
; %bb.397:                              ;   in Loop: Header=BB2_126 Depth=2
	v_cmp_ne_u16_sdwa s[20:21], v10, s52 src0_sel:BYTE_0 src1_sel:DWORD
	v_bfrev_b32_e32 v11, 1
	s_and_saveexec_b64 s[88:89], s[20:21]
	s_cbranch_execz .LBB2_401
; %bb.398:                              ;   in Loop: Header=BB2_126 Depth=2
	v_bfe_u32 v14, v16, 16, 7
	v_cmp_ne_u32_e64 s[20:21], s53, v14
	v_mov_b32_e32 v11, 0x7f800001
	s_and_saveexec_b64 s[90:91], s[20:21]
	s_cbranch_execz .LBB2_400
; %bb.399:                              ;   in Loop: Header=BB2_126 Depth=2
	v_and_b32_e32 v11, 7, v10
	v_lshrrev_b32_e32 v19, 3, v14
	v_cmp_gt_u32_e64 s[20:21], 8, v14
	v_ffbh_u32_e32 v14, v11
	v_min_u32_e32 v24, 32, v14
	v_subrev_u32_e32 v14, 28, v24
	v_lshlrev_b64 v[14:15], v14, v[10:11]
	v_sub_u32_e32 v15, 29, v24
	v_and_b32_e32 v14, 7, v14
	v_cndmask_b32_e64 v15, v19, v15, s[20:21]
	v_cndmask_b32_e64 v11, v11, v14, s[20:21]
	v_lshlrev_b32_e32 v10, 24, v10
	v_lshlrev_b32_e32 v11, 20, v11
	v_and_b32_e32 v10, 0x80000000, v10
	v_lshl_add_u32 v14, v15, 23, v3
	v_or3_b32 v11, v10, v14, v11
.LBB2_400:                              ;   in Loop: Header=BB2_126 Depth=2
	s_or_b64 exec, exec, s[90:91]
.LBB2_401:                              ;   in Loop: Header=BB2_126 Depth=2
	s_or_b64 exec, exec, s[88:89]
.LBB2_402:                              ;   in Loop: Header=BB2_126 Depth=2
	s_or_b64 exec, exec, s[22:23]
	v_lshrrev_b32_e32 v10, 16, v12
	v_cmp_gt_i16_sdwa s[22:23], v10, s53 src0_sel:BYTE_0 src1_sel:DWORD
	s_mov_b64 s[20:21], 0
	s_and_saveexec_b64 s[88:89], s[22:23]
	s_xor_b64 s[22:23], exec, s[88:89]
	s_cbranch_execz .LBB2_568
; %bb.403:                              ;   in Loop: Header=BB2_126 Depth=2
	v_cmp_eq_u16_sdwa s[90:91], v10, s52 src0_sel:BYTE_0 src1_sel:DWORD
	s_mov_b64 s[20:21], -1
	s_and_saveexec_b64 s[88:89], s[90:91]
; %bb.404:                              ;   in Loop: Header=BB2_126 Depth=2
	s_xor_b64 s[20:21], exec, -1
; %bb.405:                              ;   in Loop: Header=BB2_126 Depth=2
	s_or_b64 exec, exec, s[88:89]
	s_and_b64 s[20:21], s[20:21], exec
	s_or_saveexec_b64 s[22:23], s[22:23]
	v_bfrev_b32_e32 v14, 1
	s_xor_b64 exec, exec, s[22:23]
	s_cbranch_execnz .LBB2_569
.LBB2_406:                              ;   in Loop: Header=BB2_126 Depth=2
	s_or_b64 exec, exec, s[22:23]
	s_and_saveexec_b64 s[22:23], s[20:21]
	s_cbranch_execz .LBB2_408
.LBB2_407:                              ;   in Loop: Header=BB2_126 Depth=2
	v_and_b32_e32 v19, 7, v10
	v_ffbh_u32_e32 v14, v19
	v_min_u32_e32 v36, 32, v14
	v_subrev_u32_e32 v14, 28, v36
	v_lshlrev_b64 v[14:15], v14, v[10:11]
	v_and_b32_e32 v24, 0x7f, v10
	v_bfe_u32 v25, v10, 3, 4
	v_sub_u32_e32 v15, 29, v36
	v_and_b32_e32 v14, 7, v14
	v_cmp_gt_u32_e64 s[20:21], 8, v24
	v_cndmask_b32_e64 v15, v25, v15, s[20:21]
	v_cndmask_b32_e64 v14, v19, v14, s[20:21]
	v_lshlrev_b32_e32 v10, 24, v10
	v_lshlrev_b32_e32 v14, 20, v14
	v_and_b32_e32 v10, 0x80000000, v10
	v_lshl_add_u32 v15, v15, 23, v3
	v_or3_b32 v10, v10, v15, v14
	v_cmp_ne_u32_e64 s[20:21], s53, v24
	v_cndmask_b32_e64 v14, v56, v10, s[20:21]
.LBB2_408:                              ;   in Loop: Header=BB2_126 Depth=2
	s_or_b64 exec, exec, s[22:23]
	v_add_f32_e32 v10, v11, v14
	v_and_b32_e32 v36, 0x7f800000, v10
	v_cmp_ne_u64_e64 s[20:21], s[56:57], v[36:37]
                                        ; implicit-def: $vgpr19
	s_and_saveexec_b64 s[22:23], s[20:21]
	s_xor_b64 s[88:89], exec, s[22:23]
	s_cbranch_execz .LBB2_422
; %bb.409:                              ;   in Loop: Header=BB2_126 Depth=2
	v_and_b32_e32 v36, 0x7fffffff, v10
	v_cmp_gt_u64_e64 s[20:21], s[58:59], v[36:37]
	v_and_b32_sdwa v44, v10, s52 dst_sel:DWORD dst_unused:UNUSED_PAD src0_sel:BYTE_3 src1_sel:DWORD
                                        ; implicit-def: $vgpr19
	s_and_saveexec_b64 s[22:23], s[20:21]
	s_xor_b64 s[90:91], exec, s[22:23]
	s_cbranch_execz .LBB2_419
; %bb.410:                              ;   in Loop: Header=BB2_126 Depth=2
	v_mov_b32_e32 v19, 0
	v_cmp_ne_u32_e64 s[20:21], 0, v10
	s_and_saveexec_b64 s[92:93], s[20:21]
	s_cbranch_execz .LBB2_418
; %bb.411:                              ;   in Loop: Header=BB2_126 Depth=2
	v_bfe_u32 v19, v10, 23, 8
	v_and_b32_e32 v11, 0x7fffff, v10
	v_cmp_gt_u32_e64 s[22:23], s54, v19
	v_sub_u32_e32 v10, 0x79, v19
	v_cmp_eq_u32_e64 s[20:21], 0, v19
	v_cndmask_b32_e64 v10, 0, v10, s[22:23]
	v_cndmask_b32_e64 v52, v10, v2, s[20:21]
	v_or_b32_e32 v14, 0x800000, v11
	v_add_u32_e32 v10, 20, v52
	v_cndmask_b32_e64 v36, v14, v11, s[20:21]
	v_lshlrev_b64 v[10:11], v10, -1
	v_add_u32_e32 v14, 19, v52
	v_lshlrev_b64 v[14:15], v14, 1
	v_bfi_b32 v11, v11, 0, 0
	v_bfi_b32 v10, v10, 0, v36
	v_cmp_eq_u64_e64 s[22:23], v[10:11], v[14:15]
	v_lshrrev_b64 v[10:11], v52, v[36:37]
	v_mov_b32_e32 v15, v11
	v_mov_b32_e32 v14, v10
	s_and_saveexec_b64 s[94:95], s[22:23]
; %bb.412:                              ;   in Loop: Header=BB2_126 Depth=2
	v_bfe_u32 v11, v10, 20, 1
	v_add_co_u32_e64 v11, s[22:23], v10, v11
	v_add_co_u32_e64 v14, s[22:23], -1, v11
; %bb.413:                              ;   in Loop: Header=BB2_126 Depth=2
	s_or_b64 exec, exec, s[94:95]
	v_add_u32_e32 v11, 0xffffff81, v19
	v_cndmask_b32_e64 v11, v11, v20, s[20:21]
	v_lshrrev_b32_e32 v15, 23, v10
	v_add3_u32 v19, v52, v11, v15
	v_add_u32_e32 v15, 6, v19
	v_and_b32_e32 v11, 0xfffff, v14
	v_add_u32_e32 v36, v11, v10
	v_cmp_ne_u32_e64 s[20:21], 0, v15
                                        ; implicit-def: $vgpr10_vgpr11
                                        ; implicit-def: $vgpr14
	s_and_saveexec_b64 s[22:23], s[20:21]
	s_xor_b64 s[22:23], exec, s[22:23]
; %bb.414:                              ;   in Loop: Header=BB2_126 Depth=2
	v_cmp_lt_u64_e64 s[20:21], s[60:61], v[36:37]
	v_add_u32_e32 v10, 7, v19
	v_cndmask_b32_e64 v14, v15, v10, s[20:21]
	v_cndmask_b32_e64 v10, 0, 1, s[20:21]
	v_lshrrev_b64 v[10:11], v10, v[36:37]
; %bb.415:                              ;   in Loop: Header=BB2_126 Depth=2
	s_andn2_saveexec_b64 s[20:21], s[22:23]
; %bb.416:                              ;   in Loop: Header=BB2_126 Depth=2
	v_mov_b32_e32 v10, v36
	v_bfe_u32 v14, v36, 23, 1
	v_mov_b32_e32 v11, v37
; %bb.417:                              ;   in Loop: Header=BB2_126 Depth=2
	s_or_b64 exec, exec, s[20:21]
	v_lshrrev_b64 v[10:11], 20, v[10:11]
	v_cmp_gt_i32_e64 s[20:21], 16, v14
	v_cndmask_b32_e64 v11, 0, v11, s[20:21]
	v_cndmask_b32_e64 v10, 7, v10, s[20:21]
	v_cmp_eq_u64_e64 s[22:23], 0, v[10:11]
	v_min_i32_e32 v11, 15, v14
	v_lshlrev_b32_e32 v11, 3, v11
	v_cmp_eq_u32_e64 s[20:21], 0, v14
	v_and_b32_e32 v11, 0xf8, v11
	v_and_or_b32 v10, v10, 7, v11
	s_and_b64 s[20:21], s[20:21], s[22:23]
	v_cndmask_b32_e64 v10, v10, 0, s[20:21]
	v_or_b32_e32 v19, v10, v44
.LBB2_418:                              ;   in Loop: Header=BB2_126 Depth=2
	s_or_b64 exec, exec, s[92:93]
                                        ; implicit-def: $vgpr44
.LBB2_419:                              ;   in Loop: Header=BB2_126 Depth=2
	s_andn2_saveexec_b64 s[20:21], s[90:91]
; %bb.420:                              ;   in Loop: Header=BB2_126 Depth=2
	v_or_b32_e32 v19, 0x7e, v44
; %bb.421:                              ;   in Loop: Header=BB2_126 Depth=2
	s_or_b64 exec, exec, s[20:21]
                                        ; implicit-def: $vgpr10
.LBB2_422:                              ;   in Loop: Header=BB2_126 Depth=2
	s_andn2_saveexec_b64 s[20:21], s[88:89]
; %bb.423:                              ;   in Loop: Header=BB2_126 Depth=2
	v_or_b32_sdwa v19, v10, s53 dst_sel:DWORD dst_unused:UNUSED_PAD src0_sel:BYTE_3 src1_sel:DWORD
; %bb.424:                              ;   in Loop: Header=BB2_126 Depth=2
	s_or_b64 exec, exec, s[20:21]
	v_cmp_lt_u32_e64 s[20:21], s63, v16
	v_mov_b32_e32 v11, 0
	s_and_saveexec_b64 s[22:23], s[20:21]
	s_cbranch_execz .LBB2_430
; %bb.425:                              ;   in Loop: Header=BB2_126 Depth=2
	v_lshrrev_b32_e32 v10, 24, v16
	v_cmp_ne_u32_e64 s[20:21], s52, v10
	v_bfrev_b32_e32 v11, 1
	s_and_saveexec_b64 s[88:89], s[20:21]
	s_cbranch_execz .LBB2_429
; %bb.426:                              ;   in Loop: Header=BB2_126 Depth=2
	v_bfe_u32 v14, v16, 24, 7
	v_cmp_ne_u32_e64 s[20:21], s53, v14
	v_mov_b32_e32 v11, 0x7f800001
	s_and_saveexec_b64 s[90:91], s[20:21]
	s_cbranch_execz .LBB2_428
; %bb.427:                              ;   in Loop: Header=BB2_126 Depth=2
	v_and_b32_e32 v11, 7, v10
	v_lshrrev_b32_e32 v24, 3, v14
	v_cmp_gt_u32_e64 s[20:21], 8, v14
	v_ffbh_u32_e32 v14, v11
	v_min_u32_e32 v25, 32, v14
	v_subrev_u32_e32 v14, 28, v25
	v_lshlrev_b64 v[14:15], v14, v[10:11]
	v_sub_u32_e32 v15, 29, v25
	v_and_b32_e32 v14, 7, v14
	v_cndmask_b32_e64 v15, v24, v15, s[20:21]
	v_cndmask_b32_e64 v11, v11, v14, s[20:21]
	v_lshlrev_b32_e32 v10, 24, v10
	v_lshlrev_b32_e32 v11, 20, v11
	v_and_b32_e32 v10, 0x80000000, v10
	v_lshl_add_u32 v14, v15, 23, v3
	v_or3_b32 v11, v10, v14, v11
.LBB2_428:                              ;   in Loop: Header=BB2_126 Depth=2
	s_or_b64 exec, exec, s[90:91]
.LBB2_429:                              ;   in Loop: Header=BB2_126 Depth=2
	s_or_b64 exec, exec, s[88:89]
.LBB2_430:                              ;   in Loop: Header=BB2_126 Depth=2
	s_or_b64 exec, exec, s[22:23]
	v_bfe_u32 v24, v12, 24, 3
	v_ffbh_u32_e32 v14, v24
	v_min_u32_e32 v52, 32, v14
	v_lshrrev_b32_e32 v10, 24, v12
	v_subrev_u32_e32 v14, 28, v52
	v_lshlrev_b64 v[14:15], v14, v[10:11]
	v_bfe_u32 v25, v12, 24, 7
	v_bfe_u32 v36, v10, 3, 4
	v_sub_u32_e32 v15, 29, v52
	v_and_b32_e32 v14, 7, v14
	v_cmp_gt_u32_e64 s[20:21], 8, v25
	v_cndmask_b32_e64 v15, v36, v15, s[20:21]
	v_cndmask_b32_e64 v14, v24, v14, s[20:21]
	v_lshlrev_b32_e32 v14, 20, v14
	v_and_b32_e32 v24, 0x80000000, v12
	v_lshl_add_u32 v15, v15, 23, v3
	v_or3_b32 v14, v24, v15, v14
	v_cmp_ne_u32_e64 s[20:21], s53, v25
	v_cndmask_b32_e64 v14, v56, v14, s[20:21]
	v_cmp_ne_u32_e64 s[20:21], s52, v10
	v_cndmask_b32_e64 v10, v21, v14, s[20:21]
	v_cmp_lt_u32_e64 s[20:21], s63, v12
	v_cndmask_b32_e64 v10, 0, v10, s[20:21]
	v_add_f32_e32 v10, v10, v11
	v_and_b32_e32 v36, 0x7f800000, v10
	v_cmp_ne_u64_e64 s[20:21], s[56:57], v[36:37]
                                        ; implicit-def: $vgpr59
	s_and_saveexec_b64 s[22:23], s[20:21]
	s_xor_b64 s[88:89], exec, s[22:23]
	s_cbranch_execz .LBB2_444
; %bb.431:                              ;   in Loop: Header=BB2_126 Depth=2
	v_and_b32_e32 v36, 0x7fffffff, v10
	v_cmp_gt_u64_e64 s[20:21], s[58:59], v[36:37]
	v_and_b32_sdwa v44, v10, s52 dst_sel:DWORD dst_unused:UNUSED_PAD src0_sel:BYTE_3 src1_sel:DWORD
                                        ; implicit-def: $vgpr59
	s_and_saveexec_b64 s[22:23], s[20:21]
	s_xor_b64 s[90:91], exec, s[22:23]
	s_cbranch_execz .LBB2_441
; %bb.432:                              ;   in Loop: Header=BB2_126 Depth=2
	v_mov_b32_e32 v59, 0
	v_cmp_ne_u32_e64 s[20:21], 0, v10
	s_and_saveexec_b64 s[92:93], s[20:21]
	s_cbranch_execz .LBB2_440
; %bb.433:                              ;   in Loop: Header=BB2_126 Depth=2
	v_bfe_u32 v52, v10, 23, 8
	v_and_b32_e32 v11, 0x7fffff, v10
	v_cmp_gt_u32_e64 s[22:23], s54, v52
	v_sub_u32_e32 v10, 0x79, v52
	v_cmp_eq_u32_e64 s[20:21], 0, v52
	v_cndmask_b32_e64 v10, 0, v10, s[22:23]
	v_cndmask_b32_e64 v53, v10, v2, s[20:21]
	v_or_b32_e32 v14, 0x800000, v11
	v_add_u32_e32 v10, 20, v53
	v_cndmask_b32_e64 v36, v14, v11, s[20:21]
	v_lshlrev_b64 v[10:11], v10, -1
	v_add_u32_e32 v14, 19, v53
	v_lshlrev_b64 v[14:15], v14, 1
	v_bfi_b32 v11, v11, 0, 0
	v_bfi_b32 v10, v10, 0, v36
	v_cmp_eq_u64_e64 s[22:23], v[10:11], v[14:15]
	v_lshrrev_b64 v[10:11], v53, v[36:37]
	v_mov_b32_e32 v15, v11
	v_mov_b32_e32 v14, v10
	s_and_saveexec_b64 s[94:95], s[22:23]
; %bb.434:                              ;   in Loop: Header=BB2_126 Depth=2
	v_bfe_u32 v11, v10, 20, 1
	v_add_co_u32_e64 v11, s[22:23], v10, v11
	v_add_co_u32_e64 v14, s[22:23], -1, v11
; %bb.435:                              ;   in Loop: Header=BB2_126 Depth=2
	s_or_b64 exec, exec, s[94:95]
	v_add_u32_e32 v11, 0xffffff81, v52
	v_cndmask_b32_e64 v11, v11, v20, s[20:21]
	v_lshrrev_b32_e32 v15, 23, v10
	v_add3_u32 v52, v53, v11, v15
	v_add_u32_e32 v15, 6, v52
	v_and_b32_e32 v11, 0xfffff, v14
	v_add_u32_e32 v36, v11, v10
	v_cmp_ne_u32_e64 s[20:21], 0, v15
                                        ; implicit-def: $vgpr10_vgpr11
                                        ; implicit-def: $vgpr14
	s_and_saveexec_b64 s[22:23], s[20:21]
	s_xor_b64 s[22:23], exec, s[22:23]
; %bb.436:                              ;   in Loop: Header=BB2_126 Depth=2
	v_cmp_lt_u64_e64 s[20:21], s[60:61], v[36:37]
	v_add_u32_e32 v10, 7, v52
	v_cndmask_b32_e64 v14, v15, v10, s[20:21]
	v_cndmask_b32_e64 v10, 0, 1, s[20:21]
	v_lshrrev_b64 v[10:11], v10, v[36:37]
; %bb.437:                              ;   in Loop: Header=BB2_126 Depth=2
	s_andn2_saveexec_b64 s[20:21], s[22:23]
; %bb.438:                              ;   in Loop: Header=BB2_126 Depth=2
	v_mov_b32_e32 v10, v36
	v_bfe_u32 v14, v36, 23, 1
	v_mov_b32_e32 v11, v37
; %bb.439:                              ;   in Loop: Header=BB2_126 Depth=2
	s_or_b64 exec, exec, s[20:21]
	v_lshrrev_b64 v[10:11], 20, v[10:11]
	v_cmp_gt_i32_e64 s[20:21], 16, v14
	v_cndmask_b32_e64 v11, 0, v11, s[20:21]
	v_cndmask_b32_e64 v10, 7, v10, s[20:21]
	v_cmp_eq_u64_e64 s[22:23], 0, v[10:11]
	v_min_i32_e32 v11, 15, v14
	v_lshlrev_b32_e32 v11, 3, v11
	v_cmp_eq_u32_e64 s[20:21], 0, v14
	v_and_b32_e32 v11, 0xf8, v11
	v_and_or_b32 v10, v10, 7, v11
	s_and_b64 s[20:21], s[20:21], s[22:23]
	v_cndmask_b32_e64 v10, v10, 0, s[20:21]
	v_or_b32_e32 v59, v10, v44
.LBB2_440:                              ;   in Loop: Header=BB2_126 Depth=2
	s_or_b64 exec, exec, s[92:93]
                                        ; implicit-def: $vgpr44
.LBB2_441:                              ;   in Loop: Header=BB2_126 Depth=2
	s_andn2_saveexec_b64 s[20:21], s[90:91]
; %bb.442:                              ;   in Loop: Header=BB2_126 Depth=2
	v_or_b32_e32 v59, 0x7e, v44
; %bb.443:                              ;   in Loop: Header=BB2_126 Depth=2
	s_or_b64 exec, exec, s[20:21]
                                        ; implicit-def: $vgpr10
.LBB2_444:                              ;   in Loop: Header=BB2_126 Depth=2
	s_andn2_saveexec_b64 s[20:21], s[88:89]
; %bb.445:                              ;   in Loop: Header=BB2_126 Depth=2
	v_or_b32_sdwa v59, v10, s53 dst_sel:DWORD dst_unused:UNUSED_PAD src0_sel:BYTE_3 src1_sel:DWORD
; %bb.446:                              ;   in Loop: Header=BB2_126 Depth=2
	s_or_b64 exec, exec, s[20:21]
	v_mov_b32_e32 v36, v17
	v_cmp_ne_u16_sdwa s[20:21], v17, v37 src0_sel:BYTE_0 src1_sel:DWORD
	v_mov_b32_e32 v14, 0
	s_and_saveexec_b64 s[22:23], s[20:21]
	s_cbranch_execz .LBB2_452
; %bb.447:                              ;   in Loop: Header=BB2_126 Depth=2
	v_cmp_ne_u16_sdwa s[20:21], v17, s52 src0_sel:BYTE_0 src1_sel:DWORD
	v_bfrev_b32_e32 v14, 1
	s_and_saveexec_b64 s[88:89], s[20:21]
	s_cbranch_execz .LBB2_451
; %bb.448:                              ;   in Loop: Header=BB2_126 Depth=2
	v_and_b32_e32 v10, 0x7f, v17
	v_cmp_ne_u32_e64 s[20:21], s53, v10
	v_mov_b32_e32 v14, 0x7f800001
	s_and_saveexec_b64 s[90:91], s[20:21]
	s_cbranch_execz .LBB2_450
; %bb.449:                              ;   in Loop: Header=BB2_126 Depth=2
	v_and_b32_e32 v11, 7, v17
	v_lshrrev_b32_e32 v14, 3, v10
	v_cmp_gt_u32_e64 s[20:21], 8, v10
	v_ffbh_u32_e32 v10, v11
	v_min_u32_e32 v10, 32, v10
	v_subrev_u32_e32 v11, 28, v10
	v_sub_u32_e32 v10, 29, v10
	v_cndmask_b32_e64 v14, v14, v10, s[20:21]
	v_cndmask_b32_e64 v10, 0, v11, s[20:21]
	v_lshlrev_b64 v[10:11], v10, v[36:37]
	v_lshlrev_b32_e32 v11, 24, v36
	v_lshlrev_b32_e32 v10, 20, v10
	v_and_b32_e32 v10, 0x700000, v10
	v_and_b32_e32 v11, 0x80000000, v11
	v_lshl_add_u32 v14, v14, 23, v3
	v_or3_b32 v14, v11, v14, v10
.LBB2_450:                              ;   in Loop: Header=BB2_126 Depth=2
	s_or_b64 exec, exec, s[90:91]
.LBB2_451:                              ;   in Loop: Header=BB2_126 Depth=2
	s_or_b64 exec, exec, s[88:89]
.LBB2_452:                              ;   in Loop: Header=BB2_126 Depth=2
	s_or_b64 exec, exec, s[22:23]
	v_cmp_gt_i16_sdwa s[22:23], v13, s53 src0_sel:BYTE_0 src1_sel:DWORD
	s_mov_b64 s[20:21], 0
	s_and_saveexec_b64 s[88:89], s[22:23]
	s_xor_b64 s[22:23], exec, s[88:89]
	s_cbranch_execz .LBB2_456
; %bb.453:                              ;   in Loop: Header=BB2_126 Depth=2
	v_cmp_eq_u16_sdwa s[90:91], v13, s52 src0_sel:BYTE_0 src1_sel:DWORD
	s_mov_b64 s[20:21], -1
	s_and_saveexec_b64 s[88:89], s[90:91]
; %bb.454:                              ;   in Loop: Header=BB2_126 Depth=2
	s_xor_b64 s[20:21], exec, -1
; %bb.455:                              ;   in Loop: Header=BB2_126 Depth=2
	s_or_b64 exec, exec, s[88:89]
	s_and_b64 s[20:21], s[20:21], exec
.LBB2_456:                              ;   in Loop: Header=BB2_126 Depth=2
	s_or_saveexec_b64 s[22:23], s[22:23]
	v_bfrev_b32_e32 v15, 1
	s_xor_b64 exec, exec, s[22:23]
; %bb.457:                              ;   in Loop: Header=BB2_126 Depth=2
	v_cmp_ne_u16_sdwa s[88:89], v13, v37 src0_sel:BYTE_0 src1_sel:DWORD
	s_andn2_b64 s[20:21], s[20:21], exec
	s_and_b64 s[88:89], s[88:89], exec
	v_mov_b32_e32 v15, 0
	s_or_b64 s[20:21], s[20:21], s[88:89]
; %bb.458:                              ;   in Loop: Header=BB2_126 Depth=2
	s_or_b64 exec, exec, s[22:23]
	v_mov_b32_e32 v10, v13
	v_mov_b32_e32 v11, v37
	s_and_saveexec_b64 s[22:23], s[20:21]
	s_cbranch_execz .LBB2_460
; %bb.459:                              ;   in Loop: Header=BB2_126 Depth=2
	v_and_b32_e32 v15, 7, v13
	v_ffbh_u32_e32 v15, v15
	v_and_b32_e32 v52, 0x7f, v13
	v_min_u32_e32 v15, 32, v15
	v_bfe_u32 v24, v13, 3, 4
	v_subrev_u32_e32 v25, 28, v15
	v_sub_u32_e32 v15, 29, v15
	v_cmp_gt_u32_e64 s[20:21], 8, v52
	v_cndmask_b32_e64 v15, v24, v15, s[20:21]
	v_cndmask_b32_e64 v24, 0, v25, s[20:21]
	v_lshlrev_b64 v[24:25], v24, v[10:11]
	v_lshl_add_u32 v15, v15, 23, v3
	v_lshlrev_b32_e32 v11, 20, v24
	v_lshlrev_b32_e32 v24, 24, v10
	v_and_b32_e32 v11, 0x700000, v11
	v_and_b32_e32 v24, 0x80000000, v24
	v_or3_b32 v11, v24, v15, v11
	v_cmp_ne_u32_e64 s[20:21], s53, v52
	v_cndmask_b32_e64 v15, v56, v11, s[20:21]
.LBB2_460:                              ;   in Loop: Header=BB2_126 Depth=2
	s_or_b64 exec, exec, s[22:23]
	v_add_f32_e32 v14, v14, v15
	v_and_b32_e32 v24, 0x7f800000, v14
	v_mov_b32_e32 v25, v37
	v_cmp_ne_u64_e64 s[20:21], s[56:57], v[24:25]
                                        ; implicit-def: $vgpr44
	s_and_saveexec_b64 s[22:23], s[20:21]
	s_xor_b64 s[88:89], exec, s[22:23]
	s_cbranch_execz .LBB2_474
; %bb.461:                              ;   in Loop: Header=BB2_126 Depth=2
	v_and_b32_e32 v24, 0x7fffffff, v14
	v_mov_b32_e32 v25, v37
	v_cmp_gt_u64_e64 s[20:21], s[58:59], v[24:25]
	v_and_b32_sdwa v11, v14, s52 dst_sel:DWORD dst_unused:UNUSED_PAD src0_sel:BYTE_3 src1_sel:DWORD
                                        ; implicit-def: $vgpr44
	s_and_saveexec_b64 s[22:23], s[20:21]
	s_xor_b64 s[90:91], exec, s[22:23]
	s_cbranch_execz .LBB2_471
; %bb.462:                              ;   in Loop: Header=BB2_126 Depth=2
	v_mov_b32_e32 v44, 0
	v_cmp_ne_u32_e64 s[20:21], 0, v14
	s_and_saveexec_b64 s[92:93], s[20:21]
	s_cbranch_execz .LBB2_470
; %bb.463:                              ;   in Loop: Header=BB2_126 Depth=2
	v_bfe_u32 v52, v14, 23, 8
	v_and_b32_e32 v15, 0x7fffff, v14
	v_cmp_gt_u32_e64 s[22:23], s54, v52
	v_sub_u32_e32 v14, 0x79, v52
	v_cmp_eq_u32_e64 s[20:21], 0, v52
	v_cndmask_b32_e64 v14, 0, v14, s[22:23]
	v_or_b32_e32 v24, 0x800000, v15
	v_cndmask_b32_e64 v53, v14, v2, s[20:21]
	v_cndmask_b32_e64 v14, v24, v15, s[20:21]
	v_add_u32_e32 v24, 20, v53
	v_lshlrev_b64 v[24:25], v24, -1
	v_mov_b32_e32 v15, v37
	v_add_u32_e32 v44, 19, v53
	v_bfi_b32 v24, v24, 0, v14
	v_lshlrev_b64 v[44:45], v44, 1
	v_lshrrev_b64 v[14:15], v53, v[14:15]
	v_bfi_b32 v25, v25, 0, 0
	v_cmp_eq_u64_e64 s[22:23], v[24:25], v[44:45]
	v_mov_b32_e32 v45, v15
	v_mov_b32_e32 v44, v14
	s_and_saveexec_b64 s[94:95], s[22:23]
; %bb.464:                              ;   in Loop: Header=BB2_126 Depth=2
	v_bfe_u32 v15, v14, 20, 1
	v_add_co_u32_e64 v15, s[22:23], v14, v15
	v_add_co_u32_e64 v44, s[22:23], -1, v15
; %bb.465:                              ;   in Loop: Header=BB2_126 Depth=2
	s_or_b64 exec, exec, s[94:95]
	v_add_u32_e32 v15, 0xffffff81, v52
	v_cndmask_b32_e64 v15, v15, v20, s[20:21]
	v_lshrrev_b32_e32 v24, 23, v14
	v_add3_u32 v45, v53, v15, v24
	v_add_u32_e32 v53, 6, v45
	v_and_b32_e32 v15, 0xfffff, v44
	v_add_u32_e32 v14, v15, v14
	v_mov_b32_e32 v15, v37
	v_cmp_ne_u32_e64 s[20:21], 0, v53
                                        ; implicit-def: $vgpr52
	s_and_saveexec_b64 s[22:23], s[20:21]
	s_xor_b64 s[22:23], exec, s[22:23]
; %bb.466:                              ;   in Loop: Header=BB2_126 Depth=2
	v_cmp_lt_u64_e64 s[20:21], s[60:61], v[14:15]
	v_add_u32_e32 v24, 7, v45
	v_cndmask_b32_e64 v52, v53, v24, s[20:21]
	v_cndmask_b32_e64 v24, 0, 1, s[20:21]
	v_lshrrev_b64 v[14:15], v24, v[14:15]
; %bb.467:                              ;   in Loop: Header=BB2_126 Depth=2
	s_andn2_saveexec_b64 s[20:21], s[22:23]
; %bb.468:                              ;   in Loop: Header=BB2_126 Depth=2
	v_bfe_u32 v52, v14, 23, 1
; %bb.469:                              ;   in Loop: Header=BB2_126 Depth=2
	s_or_b64 exec, exec, s[20:21]
	v_lshrrev_b64 v[14:15], 20, v[14:15]
	v_cmp_gt_i32_e64 s[20:21], 16, v52
	v_cndmask_b32_e64 v15, 0, v15, s[20:21]
	v_cndmask_b32_e64 v14, 7, v14, s[20:21]
	v_cmp_eq_u64_e64 s[22:23], 0, v[14:15]
	v_min_i32_e32 v15, 15, v52
	v_lshlrev_b32_e32 v15, 3, v15
	v_cmp_eq_u32_e64 s[20:21], 0, v52
	v_and_b32_e32 v15, 0xf8, v15
	v_and_or_b32 v14, v14, 7, v15
	s_and_b64 s[20:21], s[20:21], s[22:23]
	v_cndmask_b32_e64 v14, v14, 0, s[20:21]
	v_or_b32_e32 v44, v14, v11
.LBB2_470:                              ;   in Loop: Header=BB2_126 Depth=2
	s_or_b64 exec, exec, s[92:93]
                                        ; implicit-def: $vgpr11
.LBB2_471:                              ;   in Loop: Header=BB2_126 Depth=2
	s_andn2_saveexec_b64 s[20:21], s[90:91]
; %bb.472:                              ;   in Loop: Header=BB2_126 Depth=2
	v_or_b32_e32 v44, 0x7e, v11
; %bb.473:                              ;   in Loop: Header=BB2_126 Depth=2
	s_or_b64 exec, exec, s[20:21]
                                        ; implicit-def: $vgpr14
.LBB2_474:                              ;   in Loop: Header=BB2_126 Depth=2
	s_andn2_saveexec_b64 s[20:21], s[88:89]
; %bb.475:                              ;   in Loop: Header=BB2_126 Depth=2
	v_or_b32_sdwa v44, v14, s53 dst_sel:DWORD dst_unused:UNUSED_PAD src0_sel:BYTE_3 src1_sel:DWORD
; %bb.476:                              ;   in Loop: Header=BB2_126 Depth=2
	s_or_b64 exec, exec, s[20:21]
	v_lshrrev_b16_e32 v11, 8, v36
	v_cmp_ne_u16_e64 s[20:21], 0, v11
	v_mov_b32_e32 v14, 0
	s_and_saveexec_b64 s[22:23], s[20:21]
	s_cbranch_execz .LBB2_482
; %bb.477:                              ;   in Loop: Header=BB2_126 Depth=2
	v_cmp_ne_u16_e64 s[20:21], s52, v11
	v_bfrev_b32_e32 v14, 1
	s_and_saveexec_b64 s[88:89], s[20:21]
	s_cbranch_execz .LBB2_481
; %bb.478:                              ;   in Loop: Header=BB2_126 Depth=2
	v_and_b32_e32 v15, 0x7f, v11
	v_cmp_ne_u32_e64 s[20:21], s53, v15
	v_mov_b32_e32 v14, 0x7f800001
	s_and_saveexec_b64 s[90:91], s[20:21]
	s_cbranch_execz .LBB2_480
; %bb.479:                              ;   in Loop: Header=BB2_126 Depth=2
	v_and_b32_e32 v24, 7, v11
	v_ffbh_u32_e32 v14, v24
	v_min_u32_e32 v52, 32, v14
	v_subrev_u32_e32 v14, 28, v52
	v_lshrrev_b32_e32 v25, 3, v15
	v_cmp_gt_u32_e64 s[20:21], 8, v15
	v_lshlrev_b64 v[14:15], v14, v[11:12]
	v_sub_u32_e32 v11, 29, v52
	v_and_b32_e32 v14, 7, v14
	v_cndmask_b32_e64 v11, v25, v11, s[20:21]
	v_cndmask_b32_e64 v14, v24, v14, s[20:21]
	v_lshlrev_b32_e32 v15, 16, v36
	v_lshlrev_b32_e32 v14, 20, v14
	v_and_b32_e32 v15, 0x80000000, v15
	v_lshl_add_u32 v11, v11, 23, v3
	v_or3_b32 v14, v15, v11, v14
.LBB2_480:                              ;   in Loop: Header=BB2_126 Depth=2
	s_or_b64 exec, exec, s[90:91]
.LBB2_481:                              ;   in Loop: Header=BB2_126 Depth=2
	s_or_b64 exec, exec, s[88:89]
.LBB2_482:                              ;   in Loop: Header=BB2_126 Depth=2
	s_or_b64 exec, exec, s[22:23]
	v_lshrrev_b16_e32 v36, 8, v10
	v_cmp_lt_i16_e64 s[20:21], s53, v36
	s_mov_b64 s[22:23], 0
	s_and_saveexec_b64 s[88:89], s[20:21]
	s_xor_b64 s[88:89], exec, s[88:89]
	s_cbranch_execz .LBB2_570
; %bb.483:                              ;   in Loop: Header=BB2_126 Depth=2
	v_cmp_eq_u16_e64 s[20:21], s52, v36
	s_mov_b64 s[22:23], -1
	s_and_saveexec_b64 s[90:91], s[20:21]
; %bb.484:                              ;   in Loop: Header=BB2_126 Depth=2
	s_xor_b64 s[22:23], exec, -1
; %bb.485:                              ;   in Loop: Header=BB2_126 Depth=2
	s_or_b64 exec, exec, s[90:91]
	s_and_b64 s[22:23], s[22:23], exec
	s_or_saveexec_b64 s[88:89], s[88:89]
	v_bfrev_b32_e32 v10, 1
	s_xor_b64 exec, exec, s[88:89]
	s_cbranch_execnz .LBB2_571
.LBB2_486:                              ;   in Loop: Header=BB2_126 Depth=2
	s_or_b64 exec, exec, s[88:89]
	s_and_saveexec_b64 s[88:89], s[22:23]
	s_cbranch_execz .LBB2_488
.LBB2_487:                              ;   in Loop: Header=BB2_126 Depth=2
	v_and_b32_e32 v15, 7, v36
	v_ffbh_u32_e32 v10, v15
	v_min_u32_e32 v52, 32, v10
	v_subrev_u32_e32 v10, 28, v52
	v_lshlrev_b64 v[10:11], v10, v[36:37]
	v_and_b32_e32 v24, 0x7f, v36
	v_bfe_u32 v25, v36, 3, 4
	v_sub_u32_e32 v11, 29, v52
	v_and_b32_e32 v10, 7, v10
	v_cmp_gt_u32_e64 s[20:21], 8, v24
	v_cndmask_b32_e64 v11, v25, v11, s[20:21]
	v_cndmask_b32_e64 v10, v15, v10, s[20:21]
	v_lshlrev_b32_e32 v15, 24, v36
	v_lshlrev_b32_e32 v10, 20, v10
	v_and_b32_e32 v15, 0x80000000, v15
	v_lshl_add_u32 v11, v11, 23, v3
	v_or3_b32 v10, v15, v11, v10
	v_cmp_ne_u32_e64 s[20:21], s53, v24
	v_cndmask_b32_e64 v10, v56, v10, s[20:21]
.LBB2_488:                              ;   in Loop: Header=BB2_126 Depth=2
	s_or_b64 exec, exec, s[88:89]
	v_add_f32_e32 v10, v14, v10
	v_and_b32_e32 v36, 0x7f800000, v10
	v_cmp_ne_u64_e64 s[20:21], s[56:57], v[36:37]
                                        ; implicit-def: $vgpr45
	s_and_saveexec_b64 s[22:23], s[20:21]
	s_xor_b64 s[88:89], exec, s[22:23]
	s_cbranch_execz .LBB2_502
; %bb.489:                              ;   in Loop: Header=BB2_126 Depth=2
	v_and_b32_e32 v36, 0x7fffffff, v10
	v_cmp_gt_u64_e64 s[20:21], s[58:59], v[36:37]
	v_and_b32_sdwa v52, v10, s52 dst_sel:DWORD dst_unused:UNUSED_PAD src0_sel:BYTE_3 src1_sel:DWORD
                                        ; implicit-def: $vgpr45
	s_and_saveexec_b64 s[22:23], s[20:21]
	s_xor_b64 s[90:91], exec, s[22:23]
	s_cbranch_execz .LBB2_499
; %bb.490:                              ;   in Loop: Header=BB2_126 Depth=2
	v_mov_b32_e32 v45, 0
	v_cmp_ne_u32_e64 s[20:21], 0, v10
	s_and_saveexec_b64 s[92:93], s[20:21]
	s_cbranch_execz .LBB2_498
; %bb.491:                              ;   in Loop: Header=BB2_126 Depth=2
	v_bfe_u32 v53, v10, 23, 8
	v_and_b32_e32 v11, 0x7fffff, v10
	v_cmp_gt_u32_e64 s[22:23], s54, v53
	v_sub_u32_e32 v10, 0x79, v53
	v_cmp_eq_u32_e64 s[20:21], 0, v53
	v_cndmask_b32_e64 v10, 0, v10, s[22:23]
	v_cndmask_b32_e64 v45, v10, v2, s[20:21]
	v_or_b32_e32 v14, 0x800000, v11
	v_add_u32_e32 v10, 20, v45
	v_cndmask_b32_e64 v36, v14, v11, s[20:21]
	v_lshlrev_b64 v[10:11], v10, -1
	v_add_u32_e32 v14, 19, v45
	v_lshlrev_b64 v[14:15], v14, 1
	v_bfi_b32 v11, v11, 0, 0
	v_bfi_b32 v10, v10, 0, v36
	v_cmp_eq_u64_e64 s[22:23], v[10:11], v[14:15]
	v_lshrrev_b64 v[10:11], v45, v[36:37]
	v_mov_b32_e32 v15, v11
	v_mov_b32_e32 v14, v10
	s_and_saveexec_b64 s[94:95], s[22:23]
; %bb.492:                              ;   in Loop: Header=BB2_126 Depth=2
	v_bfe_u32 v11, v10, 20, 1
	v_add_co_u32_e64 v11, s[22:23], v10, v11
	v_add_co_u32_e64 v14, s[22:23], -1, v11
; %bb.493:                              ;   in Loop: Header=BB2_126 Depth=2
	s_or_b64 exec, exec, s[94:95]
	v_add_u32_e32 v11, 0xffffff81, v53
	v_cndmask_b32_e64 v11, v11, v20, s[20:21]
	v_lshrrev_b32_e32 v15, 23, v10
	v_add3_u32 v53, v45, v11, v15
	v_add_u32_e32 v15, 6, v53
	v_and_b32_e32 v11, 0xfffff, v14
	v_add_u32_e32 v36, v11, v10
	v_cmp_ne_u32_e64 s[20:21], 0, v15
                                        ; implicit-def: $vgpr10_vgpr11
                                        ; implicit-def: $vgpr14
	s_and_saveexec_b64 s[22:23], s[20:21]
	s_xor_b64 s[22:23], exec, s[22:23]
; %bb.494:                              ;   in Loop: Header=BB2_126 Depth=2
	v_cmp_lt_u64_e64 s[20:21], s[60:61], v[36:37]
	v_add_u32_e32 v10, 7, v53
	v_cndmask_b32_e64 v14, v15, v10, s[20:21]
	v_cndmask_b32_e64 v10, 0, 1, s[20:21]
	v_lshrrev_b64 v[10:11], v10, v[36:37]
; %bb.495:                              ;   in Loop: Header=BB2_126 Depth=2
	s_andn2_saveexec_b64 s[20:21], s[22:23]
; %bb.496:                              ;   in Loop: Header=BB2_126 Depth=2
	v_mov_b32_e32 v10, v36
	v_bfe_u32 v14, v36, 23, 1
	v_mov_b32_e32 v11, v37
; %bb.497:                              ;   in Loop: Header=BB2_126 Depth=2
	s_or_b64 exec, exec, s[20:21]
	v_lshrrev_b64 v[10:11], 20, v[10:11]
	v_cmp_gt_i32_e64 s[20:21], 16, v14
	v_cndmask_b32_e64 v11, 0, v11, s[20:21]
	v_cndmask_b32_e64 v10, 7, v10, s[20:21]
	v_cmp_eq_u64_e64 s[22:23], 0, v[10:11]
	v_min_i32_e32 v11, 15, v14
	v_lshlrev_b32_e32 v11, 3, v11
	v_cmp_eq_u32_e64 s[20:21], 0, v14
	v_and_b32_e32 v11, 0xf8, v11
	v_and_or_b32 v10, v10, 7, v11
	s_and_b64 s[20:21], s[20:21], s[22:23]
	v_cndmask_b32_e64 v10, v10, 0, s[20:21]
	v_or_b32_e32 v45, v10, v52
.LBB2_498:                              ;   in Loop: Header=BB2_126 Depth=2
	s_or_b64 exec, exec, s[92:93]
                                        ; implicit-def: $vgpr52
.LBB2_499:                              ;   in Loop: Header=BB2_126 Depth=2
	s_andn2_saveexec_b64 s[20:21], s[90:91]
; %bb.500:                              ;   in Loop: Header=BB2_126 Depth=2
	v_or_b32_e32 v45, 0x7e, v52
; %bb.501:                              ;   in Loop: Header=BB2_126 Depth=2
	s_or_b64 exec, exec, s[20:21]
                                        ; implicit-def: $vgpr10
.LBB2_502:                              ;   in Loop: Header=BB2_126 Depth=2
	s_andn2_saveexec_b64 s[20:21], s[88:89]
; %bb.503:                              ;   in Loop: Header=BB2_126 Depth=2
	v_or_b32_sdwa v45, v10, s53 dst_sel:DWORD dst_unused:UNUSED_PAD src0_sel:BYTE_3 src1_sel:DWORD
; %bb.504:                              ;   in Loop: Header=BB2_126 Depth=2
	s_or_b64 exec, exec, s[20:21]
	v_lshrrev_b32_e32 v10, 16, v17
	v_cmp_ne_u16_sdwa s[20:21], v10, v37 src0_sel:BYTE_0 src1_sel:DWORD
	v_mov_b32_e32 v11, 0
	s_and_saveexec_b64 s[22:23], s[20:21]
	s_cbranch_execz .LBB2_510
; %bb.505:                              ;   in Loop: Header=BB2_126 Depth=2
	v_cmp_ne_u16_sdwa s[20:21], v10, s52 src0_sel:BYTE_0 src1_sel:DWORD
	v_bfrev_b32_e32 v11, 1
	s_and_saveexec_b64 s[88:89], s[20:21]
	s_cbranch_execz .LBB2_509
; %bb.506:                              ;   in Loop: Header=BB2_126 Depth=2
	v_bfe_u32 v14, v17, 16, 7
	v_cmp_ne_u32_e64 s[20:21], s53, v14
	v_mov_b32_e32 v11, 0x7f800001
	s_and_saveexec_b64 s[90:91], s[20:21]
	s_cbranch_execz .LBB2_508
; %bb.507:                              ;   in Loop: Header=BB2_126 Depth=2
	v_and_b32_e32 v11, 7, v10
	v_lshrrev_b32_e32 v24, 3, v14
	v_cmp_gt_u32_e64 s[20:21], 8, v14
	v_ffbh_u32_e32 v14, v11
	v_min_u32_e32 v25, 32, v14
	v_subrev_u32_e32 v14, 28, v25
	v_lshlrev_b64 v[14:15], v14, v[10:11]
	v_sub_u32_e32 v15, 29, v25
	v_and_b32_e32 v14, 7, v14
	v_cndmask_b32_e64 v15, v24, v15, s[20:21]
	v_cndmask_b32_e64 v11, v11, v14, s[20:21]
	v_lshlrev_b32_e32 v10, 24, v10
	v_lshlrev_b32_e32 v11, 20, v11
	v_and_b32_e32 v10, 0x80000000, v10
	v_lshl_add_u32 v14, v15, 23, v3
	v_or3_b32 v11, v10, v14, v11
.LBB2_508:                              ;   in Loop: Header=BB2_126 Depth=2
	s_or_b64 exec, exec, s[90:91]
.LBB2_509:                              ;   in Loop: Header=BB2_126 Depth=2
	s_or_b64 exec, exec, s[88:89]
.LBB2_510:                              ;   in Loop: Header=BB2_126 Depth=2
	s_or_b64 exec, exec, s[22:23]
	v_lshrrev_b32_e32 v10, 16, v13
	v_cmp_gt_i16_sdwa s[22:23], v10, s53 src0_sel:BYTE_0 src1_sel:DWORD
	s_mov_b64 s[20:21], 0
	s_and_saveexec_b64 s[88:89], s[22:23]
	s_xor_b64 s[22:23], exec, s[88:89]
	s_cbranch_execz .LBB2_572
; %bb.511:                              ;   in Loop: Header=BB2_126 Depth=2
	v_cmp_eq_u16_sdwa s[90:91], v10, s52 src0_sel:BYTE_0 src1_sel:DWORD
	s_mov_b64 s[20:21], -1
	s_and_saveexec_b64 s[88:89], s[90:91]
; %bb.512:                              ;   in Loop: Header=BB2_126 Depth=2
	s_xor_b64 s[20:21], exec, -1
; %bb.513:                              ;   in Loop: Header=BB2_126 Depth=2
	s_or_b64 exec, exec, s[88:89]
	s_and_b64 s[20:21], s[20:21], exec
	s_or_saveexec_b64 s[22:23], s[22:23]
	v_bfrev_b32_e32 v14, 1
	s_xor_b64 exec, exec, s[22:23]
	s_cbranch_execnz .LBB2_573
.LBB2_514:                              ;   in Loop: Header=BB2_126 Depth=2
	s_or_b64 exec, exec, s[22:23]
	s_and_saveexec_b64 s[22:23], s[20:21]
	s_cbranch_execz .LBB2_516
.LBB2_515:                              ;   in Loop: Header=BB2_126 Depth=2
	v_and_b32_e32 v24, 7, v10
	v_ffbh_u32_e32 v14, v24
	v_min_u32_e32 v52, 32, v14
	v_subrev_u32_e32 v14, 28, v52
	v_lshlrev_b64 v[14:15], v14, v[10:11]
	v_and_b32_e32 v25, 0x7f, v10
	v_bfe_u32 v36, v10, 3, 4
	v_sub_u32_e32 v15, 29, v52
	v_and_b32_e32 v14, 7, v14
	v_cmp_gt_u32_e64 s[20:21], 8, v25
	v_cndmask_b32_e64 v15, v36, v15, s[20:21]
	v_cndmask_b32_e64 v14, v24, v14, s[20:21]
	v_lshlrev_b32_e32 v10, 24, v10
	v_lshlrev_b32_e32 v14, 20, v14
	v_and_b32_e32 v10, 0x80000000, v10
	v_lshl_add_u32 v15, v15, 23, v3
	v_or3_b32 v10, v10, v15, v14
	v_cmp_ne_u32_e64 s[20:21], s53, v25
	v_cndmask_b32_e64 v14, v56, v10, s[20:21]
.LBB2_516:                              ;   in Loop: Header=BB2_126 Depth=2
	s_or_b64 exec, exec, s[22:23]
	v_add_f32_e32 v10, v11, v14
	v_and_b32_e32 v36, 0x7f800000, v10
	v_cmp_ne_u64_e64 s[20:21], s[56:57], v[36:37]
                                        ; implicit-def: $vgpr14
	s_and_saveexec_b64 s[22:23], s[20:21]
	s_xor_b64 s[88:89], exec, s[22:23]
	s_cbranch_execz .LBB2_530
; %bb.517:                              ;   in Loop: Header=BB2_126 Depth=2
	v_and_b32_e32 v36, 0x7fffffff, v10
	v_cmp_gt_u64_e64 s[20:21], s[58:59], v[36:37]
	v_and_b32_sdwa v52, v10, s52 dst_sel:DWORD dst_unused:UNUSED_PAD src0_sel:BYTE_3 src1_sel:DWORD
                                        ; implicit-def: $vgpr14
	s_and_saveexec_b64 s[22:23], s[20:21]
	s_xor_b64 s[90:91], exec, s[22:23]
	s_cbranch_execz .LBB2_527
; %bb.518:                              ;   in Loop: Header=BB2_126 Depth=2
	v_mov_b32_e32 v14, 0
	v_cmp_ne_u32_e64 s[20:21], 0, v10
	s_and_saveexec_b64 s[92:93], s[20:21]
	s_cbranch_execz .LBB2_526
; %bb.519:                              ;   in Loop: Header=BB2_126 Depth=2
	v_bfe_u32 v53, v10, 23, 8
	v_and_b32_e32 v11, 0x7fffff, v10
	v_cmp_gt_u32_e64 s[22:23], s54, v53
	v_sub_u32_e32 v10, 0x79, v53
	v_cmp_eq_u32_e64 s[20:21], 0, v53
	v_cndmask_b32_e64 v10, 0, v10, s[22:23]
	v_cndmask_b32_e64 v60, v10, v2, s[20:21]
	v_or_b32_e32 v14, 0x800000, v11
	v_add_u32_e32 v10, 20, v60
	v_cndmask_b32_e64 v36, v14, v11, s[20:21]
	v_lshlrev_b64 v[10:11], v10, -1
	v_add_u32_e32 v14, 19, v60
	v_lshlrev_b64 v[14:15], v14, 1
	v_bfi_b32 v11, v11, 0, 0
	v_bfi_b32 v10, v10, 0, v36
	v_cmp_eq_u64_e64 s[22:23], v[10:11], v[14:15]
	v_lshrrev_b64 v[10:11], v60, v[36:37]
	v_mov_b32_e32 v15, v11
	v_mov_b32_e32 v14, v10
	s_and_saveexec_b64 s[94:95], s[22:23]
; %bb.520:                              ;   in Loop: Header=BB2_126 Depth=2
	v_bfe_u32 v11, v10, 20, 1
	v_add_co_u32_e64 v11, s[22:23], v10, v11
	v_add_co_u32_e64 v14, s[22:23], -1, v11
; %bb.521:                              ;   in Loop: Header=BB2_126 Depth=2
	s_or_b64 exec, exec, s[94:95]
	v_add_u32_e32 v11, 0xffffff81, v53
	v_cndmask_b32_e64 v11, v11, v20, s[20:21]
	v_lshrrev_b32_e32 v15, 23, v10
	v_add3_u32 v53, v60, v11, v15
	v_add_u32_e32 v15, 6, v53
	v_and_b32_e32 v11, 0xfffff, v14
	v_add_u32_e32 v36, v11, v10
	v_cmp_ne_u32_e64 s[20:21], 0, v15
                                        ; implicit-def: $vgpr10_vgpr11
                                        ; implicit-def: $vgpr14
	s_and_saveexec_b64 s[22:23], s[20:21]
	s_xor_b64 s[22:23], exec, s[22:23]
; %bb.522:                              ;   in Loop: Header=BB2_126 Depth=2
	v_cmp_lt_u64_e64 s[20:21], s[60:61], v[36:37]
	v_add_u32_e32 v10, 7, v53
	v_cndmask_b32_e64 v14, v15, v10, s[20:21]
	v_cndmask_b32_e64 v10, 0, 1, s[20:21]
	v_lshrrev_b64 v[10:11], v10, v[36:37]
; %bb.523:                              ;   in Loop: Header=BB2_126 Depth=2
	s_andn2_saveexec_b64 s[20:21], s[22:23]
; %bb.524:                              ;   in Loop: Header=BB2_126 Depth=2
	v_mov_b32_e32 v10, v36
	v_bfe_u32 v14, v36, 23, 1
	v_mov_b32_e32 v11, v37
; %bb.525:                              ;   in Loop: Header=BB2_126 Depth=2
	s_or_b64 exec, exec, s[20:21]
	v_lshrrev_b64 v[10:11], 20, v[10:11]
	v_cmp_gt_i32_e64 s[20:21], 16, v14
	v_cndmask_b32_e64 v11, 0, v11, s[20:21]
	v_cndmask_b32_e64 v10, 7, v10, s[20:21]
	v_cmp_eq_u64_e64 s[22:23], 0, v[10:11]
	v_min_i32_e32 v11, 15, v14
	v_lshlrev_b32_e32 v11, 3, v11
	v_cmp_eq_u32_e64 s[20:21], 0, v14
	v_and_b32_e32 v11, 0xf8, v11
	v_and_or_b32 v10, v10, 7, v11
	s_and_b64 s[20:21], s[20:21], s[22:23]
	v_cndmask_b32_e64 v10, v10, 0, s[20:21]
	v_or_b32_e32 v14, v10, v52
.LBB2_526:                              ;   in Loop: Header=BB2_126 Depth=2
	s_or_b64 exec, exec, s[92:93]
                                        ; implicit-def: $vgpr52
.LBB2_527:                              ;   in Loop: Header=BB2_126 Depth=2
	s_andn2_saveexec_b64 s[20:21], s[90:91]
; %bb.528:                              ;   in Loop: Header=BB2_126 Depth=2
	v_or_b32_e32 v14, 0x7e, v52
; %bb.529:                              ;   in Loop: Header=BB2_126 Depth=2
	s_or_b64 exec, exec, s[20:21]
                                        ; implicit-def: $vgpr10
.LBB2_530:                              ;   in Loop: Header=BB2_126 Depth=2
	s_andn2_saveexec_b64 s[20:21], s[88:89]
; %bb.531:                              ;   in Loop: Header=BB2_126 Depth=2
	v_or_b32_sdwa v14, v10, s53 dst_sel:DWORD dst_unused:UNUSED_PAD src0_sel:BYTE_3 src1_sel:DWORD
; %bb.532:                              ;   in Loop: Header=BB2_126 Depth=2
	s_or_b64 exec, exec, s[20:21]
	v_cmp_lt_u64_e64 s[20:21], s[62:63], v[16:17]
	v_mov_b32_e32 v11, 0
	s_and_saveexec_b64 s[22:23], s[20:21]
	s_cbranch_execz .LBB2_538
; %bb.533:                              ;   in Loop: Header=BB2_126 Depth=2
	v_lshrrev_b32_e32 v10, 24, v17
	v_cmp_ne_u32_e64 s[20:21], s52, v10
	v_bfrev_b32_e32 v11, 1
	s_and_saveexec_b64 s[88:89], s[20:21]
	s_cbranch_execz .LBB2_537
; %bb.534:                              ;   in Loop: Header=BB2_126 Depth=2
	v_bfe_u32 v15, v17, 24, 7
	v_cmp_ne_u32_e64 s[20:21], s53, v15
	v_mov_b32_e32 v11, 0x7f800001
	s_and_saveexec_b64 s[90:91], s[20:21]
	s_cbranch_execz .LBB2_536
; %bb.535:                              ;   in Loop: Header=BB2_126 Depth=2
	v_and_b32_e32 v11, 7, v10
	v_lshrrev_b32_e32 v17, 3, v15
	v_cmp_gt_u32_e64 s[20:21], 8, v15
	v_ffbh_u32_e32 v15, v11
	v_min_u32_e32 v24, 32, v15
	v_subrev_u32_e32 v15, 28, v24
	v_lshlrev_b64 v[15:16], v15, v[10:11]
	v_sub_u32_e32 v16, 29, v24
	v_and_b32_e32 v15, 7, v15
	v_cndmask_b32_e64 v16, v17, v16, s[20:21]
	v_cndmask_b32_e64 v11, v11, v15, s[20:21]
	v_lshlrev_b32_e32 v10, 24, v10
	v_lshlrev_b32_e32 v11, 20, v11
	v_and_b32_e32 v10, 0x80000000, v10
	v_lshl_add_u32 v15, v16, 23, v3
	v_or3_b32 v11, v10, v15, v11
.LBB2_536:                              ;   in Loop: Header=BB2_126 Depth=2
	s_or_b64 exec, exec, s[90:91]
.LBB2_537:                              ;   in Loop: Header=BB2_126 Depth=2
	s_or_b64 exec, exec, s[88:89]
.LBB2_538:                              ;   in Loop: Header=BB2_126 Depth=2
	s_or_b64 exec, exec, s[22:23]
	v_bfe_u32 v17, v13, 24, 3
	v_ffbh_u32_e32 v15, v17
	v_min_u32_e32 v36, 32, v15
	v_lshrrev_b32_e32 v10, 24, v13
	v_subrev_u32_e32 v15, 28, v36
	v_lshlrev_b64 v[15:16], v15, v[10:11]
	v_bfe_u32 v24, v13, 24, 7
	v_bfe_u32 v25, v10, 3, 4
	v_sub_u32_e32 v16, 29, v36
	v_and_b32_e32 v15, 7, v15
	v_cmp_gt_u32_e64 s[20:21], 8, v24
	v_cndmask_b32_e64 v16, v25, v16, s[20:21]
	v_cndmask_b32_e64 v15, v17, v15, s[20:21]
	v_lshlrev_b32_e32 v15, 20, v15
	v_and_b32_e32 v17, 0x80000000, v13
	v_lshl_add_u32 v16, v16, 23, v3
	v_or3_b32 v15, v17, v16, v15
	v_cmp_ne_u32_e64 s[20:21], s53, v24
	v_cndmask_b32_e64 v15, v56, v15, s[20:21]
	v_cmp_ne_u32_e64 s[20:21], s52, v10
	v_cndmask_b32_e64 v10, v21, v15, s[20:21]
	v_cmp_lt_u64_e64 s[20:21], s[62:63], v[12:13]
	v_cndmask_b32_e64 v10, 0, v10, s[20:21]
	v_add_f32_e32 v11, v10, v11
	v_and_b32_e32 v36, 0x7f800000, v11
	v_cmp_ne_u64_e64 s[20:21], s[56:57], v[36:37]
                                        ; implicit-def: $vgpr10
	s_and_saveexec_b64 s[22:23], s[20:21]
	s_xor_b64 s[88:89], exec, s[22:23]
	s_cbranch_execz .LBB2_552
; %bb.539:                              ;   in Loop: Header=BB2_126 Depth=2
	v_and_b32_e32 v36, 0x7fffffff, v11
	v_cmp_gt_u64_e64 s[20:21], s[58:59], v[36:37]
	v_and_b32_sdwa v13, v11, s52 dst_sel:DWORD dst_unused:UNUSED_PAD src0_sel:BYTE_3 src1_sel:DWORD
                                        ; implicit-def: $vgpr10
	s_and_saveexec_b64 s[22:23], s[20:21]
	s_xor_b64 s[90:91], exec, s[22:23]
	s_cbranch_execz .LBB2_549
; %bb.540:                              ;   in Loop: Header=BB2_126 Depth=2
	v_mov_b32_e32 v10, 0
	v_cmp_ne_u32_e64 s[20:21], 0, v11
	s_and_saveexec_b64 s[92:93], s[20:21]
	s_cbranch_execz .LBB2_548
; %bb.541:                              ;   in Loop: Header=BB2_126 Depth=2
	v_bfe_u32 v15, v11, 23, 8
	v_and_b32_e32 v10, 0x7fffff, v11
	v_cmp_gt_u32_e64 s[22:23], s54, v15
	v_sub_u32_e32 v11, 0x79, v15
	v_cmp_eq_u32_e64 s[20:21], 0, v15
	v_cndmask_b32_e64 v11, 0, v11, s[22:23]
	v_or_b32_e32 v12, 0x800000, v10
	v_cndmask_b32_e64 v16, v11, v2, s[20:21]
	v_cndmask_b32_e64 v36, v12, v10, s[20:21]
	v_add_u32_e32 v10, 20, v16
	v_lshlrev_b64 v[10:11], v10, -1
	v_add_u32_e32 v12, 19, v16
	v_lshlrev_b64 v[24:25], v12, 1
	v_bfi_b32 v11, v11, 0, 0
	v_bfi_b32 v10, v10, 0, v36
	v_cmp_eq_u64_e64 s[22:23], v[10:11], v[24:25]
	v_lshrrev_b64 v[10:11], v16, v[36:37]
	v_mov_b32_e32 v12, v11
	v_mov_b32_e32 v11, v10
	s_and_saveexec_b64 s[94:95], s[22:23]
; %bb.542:                              ;   in Loop: Header=BB2_126 Depth=2
	v_bfe_u32 v11, v10, 20, 1
	v_add_co_u32_e64 v11, s[22:23], v10, v11
	v_add_co_u32_e64 v11, s[22:23], -1, v11
; %bb.543:                              ;   in Loop: Header=BB2_126 Depth=2
	s_or_b64 exec, exec, s[94:95]
	v_add_u32_e32 v12, 0xffffff81, v15
	v_cndmask_b32_e64 v12, v12, v20, s[20:21]
	v_lshrrev_b32_e32 v15, 23, v10
	v_add3_u32 v16, v16, v12, v15
	v_add_u32_e32 v15, 6, v16
	v_and_b32_e32 v11, 0xfffff, v11
	v_add_u32_e32 v36, v11, v10
	v_cmp_ne_u32_e64 s[20:21], 0, v15
                                        ; implicit-def: $vgpr10_vgpr11
                                        ; implicit-def: $vgpr12
	s_and_saveexec_b64 s[22:23], s[20:21]
	s_xor_b64 s[22:23], exec, s[22:23]
; %bb.544:                              ;   in Loop: Header=BB2_126 Depth=2
	v_cmp_lt_u64_e64 s[20:21], s[60:61], v[36:37]
	v_add_u32_e32 v10, 7, v16
	v_cndmask_b32_e64 v12, v15, v10, s[20:21]
	v_cndmask_b32_e64 v10, 0, 1, s[20:21]
	v_lshrrev_b64 v[10:11], v10, v[36:37]
; %bb.545:                              ;   in Loop: Header=BB2_126 Depth=2
	s_andn2_saveexec_b64 s[20:21], s[22:23]
; %bb.546:                              ;   in Loop: Header=BB2_126 Depth=2
	v_mov_b32_e32 v10, v36
	v_bfe_u32 v12, v36, 23, 1
	v_mov_b32_e32 v11, v37
; %bb.547:                              ;   in Loop: Header=BB2_126 Depth=2
	s_or_b64 exec, exec, s[20:21]
	v_lshrrev_b64 v[10:11], 20, v[10:11]
	v_cmp_gt_i32_e64 s[20:21], 16, v12
	v_cndmask_b32_e64 v11, 0, v11, s[20:21]
	v_cndmask_b32_e64 v10, 7, v10, s[20:21]
	v_cmp_eq_u64_e64 s[22:23], 0, v[10:11]
	v_min_i32_e32 v11, 15, v12
	v_lshlrev_b32_e32 v11, 3, v11
	v_cmp_eq_u32_e64 s[20:21], 0, v12
	v_and_b32_e32 v11, 0xf8, v11
	v_and_or_b32 v10, v10, 7, v11
	s_and_b64 s[20:21], s[20:21], s[22:23]
	v_cndmask_b32_e64 v10, v10, 0, s[20:21]
	v_or_b32_e32 v10, v10, v13
.LBB2_548:                              ;   in Loop: Header=BB2_126 Depth=2
	s_or_b64 exec, exec, s[92:93]
                                        ; implicit-def: $vgpr13
.LBB2_549:                              ;   in Loop: Header=BB2_126 Depth=2
	s_andn2_saveexec_b64 s[20:21], s[90:91]
; %bb.550:                              ;   in Loop: Header=BB2_126 Depth=2
	v_or_b32_e32 v10, 0x7e, v13
; %bb.551:                              ;   in Loop: Header=BB2_126 Depth=2
	s_or_b64 exec, exec, s[20:21]
                                        ; implicit-def: $vgpr11
.LBB2_552:                              ;   in Loop: Header=BB2_126 Depth=2
	s_andn2_saveexec_b64 s[20:21], s[88:89]
	s_cbranch_execz .LBB2_125
; %bb.553:                              ;   in Loop: Header=BB2_126 Depth=2
	v_or_b32_sdwa v10, v11, s53 dst_sel:DWORD dst_unused:UNUSED_PAD src0_sel:BYTE_3 src1_sel:DWORD
	s_branch .LBB2_125
.LBB2_554:                              ;   in Loop: Header=BB2_126 Depth=2
	s_or_saveexec_b64 s[22:23], s[22:23]
	v_bfrev_b32_e32 v1, 1
	s_xor_b64 exec, exec, s[22:23]
	s_cbranch_execz .LBB2_136
.LBB2_555:                              ;   in Loop: Header=BB2_126 Depth=2
	v_cmp_ne_u16_sdwa s[88:89], v10, v37 src0_sel:BYTE_0 src1_sel:DWORD
	s_andn2_b64 s[20:21], s[20:21], exec
	s_and_b64 s[88:89], s[88:89], exec
	v_mov_b32_e32 v1, 0
	s_or_b64 s[20:21], s[20:21], s[88:89]
	s_or_b64 exec, exec, s[22:23]
	s_and_saveexec_b64 s[22:23], s[20:21]
	s_cbranch_execnz .LBB2_137
	s_branch .LBB2_138
.LBB2_556:                              ;   in Loop: Header=BB2_126 Depth=2
	s_or_saveexec_b64 s[88:89], s[88:89]
	v_bfrev_b32_e32 v18, 1
	s_xor_b64 exec, exec, s[88:89]
	s_cbranch_execz .LBB2_164
.LBB2_557:                              ;   in Loop: Header=BB2_126 Depth=2
	v_cmp_ne_u16_e64 s[20:21], 0, v36
	s_andn2_b64 s[22:23], s[22:23], exec
	s_and_b64 s[20:21], s[20:21], exec
	v_mov_b32_e32 v18, 0
	s_or_b64 s[22:23], s[22:23], s[20:21]
	s_or_b64 exec, exec, s[88:89]
	s_and_saveexec_b64 s[88:89], s[22:23]
	s_cbranch_execnz .LBB2_165
	s_branch .LBB2_166
.LBB2_558:                              ;   in Loop: Header=BB2_126 Depth=2
	s_or_saveexec_b64 s[22:23], s[22:23]
	v_bfrev_b32_e32 v18, 1
	s_xor_b64 exec, exec, s[22:23]
	s_cbranch_execz .LBB2_192
.LBB2_559:                              ;   in Loop: Header=BB2_126 Depth=2
	v_cmp_ne_u16_sdwa s[88:89], v30, v37 src0_sel:BYTE_0 src1_sel:DWORD
	s_andn2_b64 s[20:21], s[20:21], exec
	s_and_b64 s[88:89], s[88:89], exec
	v_mov_b32_e32 v18, 0
	s_or_b64 s[20:21], s[20:21], s[88:89]
	s_or_b64 exec, exec, s[22:23]
	s_and_saveexec_b64 s[22:23], s[20:21]
	s_cbranch_execnz .LBB2_193
	s_branch .LBB2_194
.LBB2_560:                              ;   in Loop: Header=BB2_126 Depth=2
	s_or_saveexec_b64 s[88:89], s[88:89]
	v_bfrev_b32_e32 v18, 1
	s_xor_b64 exec, exec, s[88:89]
	s_cbranch_execz .LBB2_272
.LBB2_561:                              ;   in Loop: Header=BB2_126 Depth=2
	v_cmp_ne_u16_e64 s[20:21], 0, v36
	s_andn2_b64 s[22:23], s[22:23], exec
	s_and_b64 s[20:21], s[20:21], exec
	v_mov_b32_e32 v18, 0
	s_or_b64 s[22:23], s[22:23], s[20:21]
	s_or_b64 exec, exec, s[88:89]
	s_and_saveexec_b64 s[88:89], s[22:23]
	s_cbranch_execnz .LBB2_273
	s_branch .LBB2_274
.LBB2_562:                              ;   in Loop: Header=BB2_126 Depth=2
	s_or_saveexec_b64 s[22:23], s[22:23]
	v_bfrev_b32_e32 v19, 1
	s_xor_b64 exec, exec, s[22:23]
	s_cbranch_execz .LBB2_300
.LBB2_563:                              ;   in Loop: Header=BB2_126 Depth=2
	v_cmp_ne_u16_sdwa s[88:89], v30, v37 src0_sel:BYTE_0 src1_sel:DWORD
	s_andn2_b64 s[20:21], s[20:21], exec
	s_and_b64 s[88:89], s[88:89], exec
	v_mov_b32_e32 v19, 0
	s_or_b64 s[20:21], s[20:21], s[88:89]
	s_or_b64 exec, exec, s[22:23]
	s_and_saveexec_b64 s[22:23], s[20:21]
	s_cbranch_execnz .LBB2_301
	s_branch .LBB2_302
.LBB2_564:                              ;   in Loop: Header=BB2_126 Depth=2
	s_or_saveexec_b64 s[22:23], s[22:23]
	v_bfrev_b32_e32 v11, 1
	s_xor_b64 exec, exec, s[22:23]
	s_cbranch_execz .LBB2_350
.LBB2_565:                              ;   in Loop: Header=BB2_126 Depth=2
	v_cmp_ne_u16_sdwa s[88:89], v12, v37 src0_sel:BYTE_0 src1_sel:DWORD
	s_andn2_b64 s[20:21], s[20:21], exec
	s_and_b64 s[88:89], s[88:89], exec
	v_mov_b32_e32 v11, 0
	s_or_b64 s[20:21], s[20:21], s[88:89]
	s_or_b64 exec, exec, s[22:23]
	s_and_saveexec_b64 s[22:23], s[20:21]
	s_cbranch_execnz .LBB2_351
	s_branch .LBB2_352
.LBB2_566:                              ;   in Loop: Header=BB2_126 Depth=2
	s_or_saveexec_b64 s[88:89], s[88:89]
	v_bfrev_b32_e32 v10, 1
	s_xor_b64 exec, exec, s[88:89]
	s_cbranch_execz .LBB2_378
.LBB2_567:                              ;   in Loop: Header=BB2_126 Depth=2
	v_cmp_ne_u16_e64 s[20:21], 0, v36
	s_andn2_b64 s[22:23], s[22:23], exec
	s_and_b64 s[20:21], s[20:21], exec
	v_mov_b32_e32 v10, 0
	s_or_b64 s[22:23], s[22:23], s[20:21]
	s_or_b64 exec, exec, s[88:89]
	s_and_saveexec_b64 s[88:89], s[22:23]
	s_cbranch_execnz .LBB2_379
	s_branch .LBB2_380
.LBB2_568:                              ;   in Loop: Header=BB2_126 Depth=2
	s_or_saveexec_b64 s[22:23], s[22:23]
	v_bfrev_b32_e32 v14, 1
	s_xor_b64 exec, exec, s[22:23]
	s_cbranch_execz .LBB2_406
.LBB2_569:                              ;   in Loop: Header=BB2_126 Depth=2
	v_cmp_ne_u16_sdwa s[88:89], v10, v37 src0_sel:BYTE_0 src1_sel:DWORD
	s_andn2_b64 s[20:21], s[20:21], exec
	s_and_b64 s[88:89], s[88:89], exec
	v_mov_b32_e32 v14, 0
	s_or_b64 s[20:21], s[20:21], s[88:89]
	s_or_b64 exec, exec, s[22:23]
	s_and_saveexec_b64 s[22:23], s[20:21]
	s_cbranch_execnz .LBB2_407
	s_branch .LBB2_408
.LBB2_570:                              ;   in Loop: Header=BB2_126 Depth=2
	s_or_saveexec_b64 s[88:89], s[88:89]
	v_bfrev_b32_e32 v10, 1
	s_xor_b64 exec, exec, s[88:89]
	s_cbranch_execz .LBB2_486
.LBB2_571:                              ;   in Loop: Header=BB2_126 Depth=2
	v_cmp_ne_u16_e64 s[20:21], 0, v36
	s_andn2_b64 s[22:23], s[22:23], exec
	s_and_b64 s[20:21], s[20:21], exec
	v_mov_b32_e32 v10, 0
	s_or_b64 s[22:23], s[22:23], s[20:21]
	s_or_b64 exec, exec, s[88:89]
	s_and_saveexec_b64 s[88:89], s[22:23]
	s_cbranch_execnz .LBB2_487
	s_branch .LBB2_488
.LBB2_572:                              ;   in Loop: Header=BB2_126 Depth=2
	s_or_saveexec_b64 s[22:23], s[22:23]
	v_bfrev_b32_e32 v14, 1
	s_xor_b64 exec, exec, s[22:23]
	s_cbranch_execz .LBB2_514
.LBB2_573:                              ;   in Loop: Header=BB2_126 Depth=2
	v_cmp_ne_u16_sdwa s[88:89], v10, v37 src0_sel:BYTE_0 src1_sel:DWORD
	s_andn2_b64 s[20:21], s[20:21], exec
	s_and_b64 s[88:89], s[88:89], exec
	v_mov_b32_e32 v14, 0
	s_or_b64 s[20:21], s[20:21], s[88:89]
	s_or_b64 exec, exec, s[22:23]
	s_and_saveexec_b64 s[22:23], s[20:21]
	s_cbranch_execnz .LBB2_515
	s_branch .LBB2_516
.LBB2_574:                              ;   in Loop: Header=BB2_49 Depth=1
	s_or_b64 exec, exec, s[78:79]
	buffer_load_dword v55, off, s[0:3], s33 offset:92 ; 4-byte Folded Reload
	buffer_load_dword v52, off, s[0:3], s33 offset:100 ; 4-byte Folded Reload
	;; [unrolled: 1-line block ×9, first 2 shown]
	v_mov_b32_e32 v54, 1
	v_mov_b32_e32 v40, 0xc8
	;; [unrolled: 1-line block ×3, first 2 shown]
.LBB2_575:                              ;   in Loop: Header=BB2_49 Depth=1
	s_or_b64 exec, exec, s[76:77]
	s_waitcnt vmcnt(5)
	v_and_b32_e32 v0, 15, v42
	s_waitcnt vmcnt(0)
	v_cndmask_b32_e32 v11, v10, v0, vcc
	v_mov_b32_e32 v59, 0
	v_cmp_ne_u32_e64 s[20:21], 0, v11
	s_mov_b64 s[76:77], 0
                                        ; implicit-def: $vgpr0
	s_and_saveexec_b64 s[22:23], s[20:21]
	s_cbranch_execz .LBB2_1029
; %bb.576:                              ;   in Loop: Header=BB2_49 Depth=1
	buffer_load_dword v1, off, s[0:3], s33 offset:168 ; 4-byte Folded Reload
	v_and_b32_e32 v0, 0x3f0, v42
	v_cndmask_b32_e32 v0, 0, v0, vcc
	v_cmp_lt_i32_e32 vcc, 0, v34
	v_and_or_b32 v59, v42, s55, v0
	v_cndmask_b32_e32 v0, 0, v61, vcc
	v_sub_u32_e32 v0, v0, v34
	s_waitcnt vmcnt(0)
	v_lshl_add_u32 v0, v0, 6, v1
	v_ashrrev_i32_e32 v1, 31, v0
	v_lshrrev_b32_e32 v1, 26, v1
	v_add_u32_e32 v1, v0, v1
	v_ashrrev_i32_e32 v10, 6, v1
	v_and_b32_e32 v1, 0xffffffc0, v1
	v_sub_u32_e32 v1, v0, v1
	v_lshlrev_b32_e32 v0, 4, v1
	v_lshl_add_u32 v0, v10, 10, v0
	v_sub_u32_e32 v35, v11, v0
	v_sub_u32_e32 v34, 0, v10
	v_cmp_lt_i32_e32 vcc, 15, v35
	s_and_saveexec_b64 s[76:77], vcc
	s_cbranch_execz .LBB2_1028
; %bb.577:                              ;   in Loop: Header=BB2_49 Depth=1
	v_add_u32_e32 v10, v0, v59
	buffer_store_dword v1, off, s[0:3], s33 offset:180 ; 4-byte Folded Spill
	buffer_store_dword v11, off, s[0:3], s33 offset:176 ; 4-byte Folded Spill
	;; [unrolled: 1-line block ×4, first 2 shown]
	s_trap 2
	ds_read_b64 v[0:1], v0
	v_add_co_u32_e32 v54, vcc, v10, v18
	buffer_store_dword v18, off, s[0:3], s33 offset:152 ; 4-byte Folded Spill
	s_nop 0
	buffer_store_dword v19, off, s[0:3], s33 offset:156 ; 4-byte Folded Spill
	v_ashrrev_i32_e32 v11, 31, v10
	s_mov_b64 s[78:79], 0
	v_addc_co_u32_e32 v55, vcc, v11, v19, vcc
	s_waitcnt lgkmcnt(0)
	v_add_co_u32_e32 v40, vcc, v0, v10
	v_addc_co_u32_e32 v41, vcc, v1, v11, vcc
	v_add_co_u32_e32 v42, vcc, v10, v16
	buffer_store_dword v16, off, s[0:3], s33 offset:144 ; 4-byte Folded Spill
	s_nop 0
	buffer_store_dword v17, off, s[0:3], s33 offset:148 ; 4-byte Folded Spill
	v_addc_co_u32_e32 v43, vcc, v11, v17, vcc
	s_branch .LBB2_579
.LBB2_578:                              ;   in Loop: Header=BB2_579 Depth=2
	s_or_b64 exec, exec, s[20:21]
	v_lshl_or_b32 v0, v0, 8, v47
	v_lshlrev_b32_e32 v11, 16, v30
	v_lshlrev_b32_e32 v12, 24, v46
	v_or3_b32 v12, v0, v11, v12
	v_lshl_or_b32 v0, v31, 8, v1
	v_lshlrev_b32_e32 v1, 16, v50
	v_lshlrev_b32_e32 v11, 24, v51
	v_add_co_u32_e32 v54, vcc, v54, v62
	v_or3_b32 v11, v0, v1, v11
	v_lshl_or_b32 v0, v18, 8, v58
	v_lshlrev_b32_e32 v1, 16, v19
	v_lshlrev_b32_e32 v13, 24, v59
	v_addc_co_u32_e32 v55, vcc, 0, v55, vcc
	v_or3_b32 v13, v0, v1, v13
	v_lshlrev_b32_e32 v0, 24, v10
	v_lshlrev_b32_e32 v1, 16, v14
	v_lshl_or_b32 v10, v45, 8, v44
	v_add_co_u32_e32 v40, vcc, v40, v62
	v_or3_b32 v14, v10, v1, v0
	v_addc_co_u32_e32 v41, vcc, 0, v41, vcc
	global_store_dwordx4 v[42:43], v[11:14], off glc slc
	v_add_co_u32_e32 v42, vcc, v42, v62
	v_addc_co_u32_e32 v43, vcc, 0, v43, vcc
	v_sub_u32_e32 v35, v35, v62
	v_cmp_gt_i32_e32 vcc, 16, v35
	s_or_b64 s[78:79], vcc, s[78:79]
	v_sub_u32_e32 v34, v34, v61
	s_andn2_b64 exec, exec, s[78:79]
	s_cbranch_execz .LBB2_1027
.LBB2_579:                              ;   Parent Loop BB2_49 Depth=1
                                        ; =>  This Inner Loop Header: Depth=2
	global_load_dwordx4 v[14:17], v[54:55], off glc slc
	global_load_dwordx4 v[10:13], v[40:41], off glc slc
	v_mov_b32_e32 v0, 0
	s_waitcnt vmcnt(1)
	v_cmp_ne_u16_sdwa s[88:89], v14, v37 src0_sel:BYTE_0 src1_sel:DWORD
	s_and_saveexec_b64 s[20:21], s[88:89]
	s_cbranch_execz .LBB2_585
; %bb.580:                              ;   in Loop: Header=BB2_579 Depth=2
	v_cmp_ne_u16_sdwa s[90:91], v14, s52 src0_sel:BYTE_0 src1_sel:DWORD
	v_bfrev_b32_e32 v0, 1
	s_and_saveexec_b64 s[88:89], s[90:91]
	s_cbranch_execz .LBB2_584
; %bb.581:                              ;   in Loop: Header=BB2_579 Depth=2
	v_and_b32_e32 v1, 0x7f, v14
	v_cmp_ne_u32_e32 vcc, s53, v1
	v_mov_b32_e32 v0, 0x7f800001
	s_and_saveexec_b64 s[90:91], vcc
	s_cbranch_execz .LBB2_583
; %bb.582:                              ;   in Loop: Header=BB2_579 Depth=2
	v_and_b32_e32 v0, 7, v14
	v_ffbh_u32_e32 v0, v0
	v_min_u32_e32 v0, 32, v0
	v_lshrrev_b32_e32 v18, 3, v1
	v_cmp_gt_u32_e32 vcc, 8, v1
	v_subrev_u32_e32 v1, 28, v0
	v_sub_u32_e32 v0, 29, v0
	v_cndmask_b32_e32 v18, v18, v0, vcc
	v_cndmask_b32_e32 v0, 0, v1, vcc
	v_lshlrev_b64 v[0:1], v0, v[14:15]
	v_lshlrev_b32_e32 v1, 24, v14
	v_lshlrev_b32_e32 v0, 20, v0
	v_and_b32_e32 v0, 0x700000, v0
	v_and_b32_e32 v1, 0x80000000, v1
	v_lshl_add_u32 v18, v18, 23, v3
	v_or3_b32 v0, v1, v18, v0
.LBB2_583:                              ;   in Loop: Header=BB2_579 Depth=2
	s_or_b64 exec, exec, s[90:91]
.LBB2_584:                              ;   in Loop: Header=BB2_579 Depth=2
	s_or_b64 exec, exec, s[88:89]
.LBB2_585:                              ;   in Loop: Header=BB2_579 Depth=2
	s_or_b64 exec, exec, s[20:21]
	s_waitcnt vmcnt(0)
	v_cmp_gt_i16_sdwa s[88:89], v10, s53 src0_sel:BYTE_0 src1_sel:DWORD
	s_mov_b64 s[20:21], 0
	s_and_saveexec_b64 s[90:91], s[88:89]
	s_xor_b64 s[88:89], exec, s[90:91]
	s_cbranch_execz .LBB2_1007
; %bb.586:                              ;   in Loop: Header=BB2_579 Depth=2
	v_cmp_eq_u16_sdwa s[92:93], v10, s52 src0_sel:BYTE_0 src1_sel:DWORD
	s_mov_b64 s[20:21], -1
	s_and_saveexec_b64 s[90:91], s[92:93]
; %bb.587:                              ;   in Loop: Header=BB2_579 Depth=2
	s_xor_b64 s[20:21], exec, -1
; %bb.588:                              ;   in Loop: Header=BB2_579 Depth=2
	s_or_b64 exec, exec, s[90:91]
	s_and_b64 s[20:21], s[20:21], exec
	s_or_saveexec_b64 s[88:89], s[88:89]
	v_bfrev_b32_e32 v1, 1
	s_xor_b64 exec, exec, s[88:89]
	s_cbranch_execnz .LBB2_1008
.LBB2_589:                              ;   in Loop: Header=BB2_579 Depth=2
	s_or_b64 exec, exec, s[88:89]
	s_and_saveexec_b64 s[88:89], s[20:21]
	s_cbranch_execz .LBB2_591
.LBB2_590:                              ;   in Loop: Header=BB2_579 Depth=2
	v_and_b32_e32 v1, 7, v10
	v_ffbh_u32_e32 v1, v1
	v_and_b32_e32 v24, 0x7f, v10
	v_min_u32_e32 v1, 32, v1
	v_bfe_u32 v18, v10, 3, 4
	v_subrev_u32_e32 v19, 28, v1
	v_sub_u32_e32 v1, 29, v1
	v_cmp_gt_u32_e32 vcc, 8, v24
	v_cndmask_b32_e32 v1, v18, v1, vcc
	v_cndmask_b32_e32 v18, 0, v19, vcc
	v_lshlrev_b64 v[18:19], v18, v[10:11]
	v_lshlrev_b32_e32 v19, 24, v10
	v_lshlrev_b32_e32 v18, 20, v18
	v_and_b32_e32 v18, 0x700000, v18
	v_and_b32_e32 v19, 0x80000000, v19
	v_lshl_add_u32 v1, v1, 23, v3
	v_or3_b32 v1, v19, v1, v18
	v_cmp_ne_u32_e32 vcc, s53, v24
	v_cndmask_b32_e32 v1, v56, v1, vcc
.LBB2_591:                              ;   in Loop: Header=BB2_579 Depth=2
	s_or_b64 exec, exec, s[88:89]
	v_add_f32_e32 v18, v0, v1
	v_and_b32_e32 v36, 0x7f800000, v18
	v_cmp_ne_u64_e32 vcc, s[56:57], v[36:37]
                                        ; implicit-def: $vgpr1
	s_and_saveexec_b64 s[20:21], vcc
	s_xor_b64 s[88:89], exec, s[20:21]
	s_cbranch_execz .LBB2_605
; %bb.592:                              ;   in Loop: Header=BB2_579 Depth=2
	v_and_b32_e32 v36, 0x7fffffff, v18
	v_cmp_gt_u64_e32 vcc, s[58:59], v[36:37]
	v_and_b32_sdwa v0, v18, s52 dst_sel:DWORD dst_unused:UNUSED_PAD src0_sel:BYTE_3 src1_sel:DWORD
                                        ; implicit-def: $vgpr1
	s_and_saveexec_b64 s[20:21], vcc
	s_xor_b64 s[90:91], exec, s[20:21]
	s_cbranch_execz .LBB2_602
; %bb.593:                              ;   in Loop: Header=BB2_579 Depth=2
	v_mov_b32_e32 v1, 0
	v_cmp_ne_u32_e32 vcc, 0, v18
	s_and_saveexec_b64 s[92:93], vcc
	s_cbranch_execz .LBB2_601
; %bb.594:                              ;   in Loop: Header=BB2_579 Depth=2
	v_bfe_u32 v1, v18, 23, 8
	v_and_b32_e32 v19, 0x7fffff, v18
	v_cmp_gt_u32_e64 s[20:21], s54, v1
	v_sub_u32_e32 v18, 0x79, v1
	v_cmp_eq_u32_e32 vcc, 0, v1
	v_cndmask_b32_e64 v18, 0, v18, s[20:21]
	v_or_b32_e32 v24, 0x800000, v19
	v_cndmask_b32_e32 v18, v18, v2, vcc
	v_cndmask_b32_e32 v36, v24, v19, vcc
	v_add_u32_e32 v19, 20, v18
	v_lshlrev_b64 v[24:25], v19, -1
	v_add_u32_e32 v19, 19, v18
	v_lshlrev_b64 v[30:31], v19, 1
	v_lshrrev_b64 v[44:45], v18, v[36:37]
	v_bfi_b32 v25, v25, 0, 0
	v_bfi_b32 v24, v24, 0, v36
	v_cmp_eq_u64_e64 s[20:21], v[24:25], v[30:31]
	v_mov_b32_e32 v46, v45
	v_mov_b32_e32 v45, v44
	s_and_saveexec_b64 s[94:95], s[20:21]
; %bb.595:                              ;   in Loop: Header=BB2_579 Depth=2
	v_bfe_u32 v19, v44, 20, 1
	v_add_co_u32_e64 v19, s[20:21], v44, v19
	v_add_co_u32_e64 v45, s[20:21], -1, v19
; %bb.596:                              ;   in Loop: Header=BB2_579 Depth=2
	s_or_b64 exec, exec, s[94:95]
	v_add_u32_e32 v1, 0xffffff81, v1
	v_cndmask_b32_e32 v1, v1, v20, vcc
	v_lshrrev_b32_e32 v19, 23, v44
	v_add3_u32 v19, v18, v1, v19
	v_add_u32_e32 v18, 6, v19
	v_and_b32_e32 v1, 0xfffff, v45
	v_add_u32_e32 v36, v1, v44
	v_cmp_ne_u32_e32 vcc, 0, v18
                                        ; implicit-def: $vgpr44_vgpr45
                                        ; implicit-def: $vgpr1
	s_and_saveexec_b64 s[20:21], vcc
	s_xor_b64 s[20:21], exec, s[20:21]
; %bb.597:                              ;   in Loop: Header=BB2_579 Depth=2
	v_cmp_lt_u64_e32 vcc, s[60:61], v[36:37]
	v_add_u32_e32 v1, 7, v19
	v_cndmask_b32_e32 v1, v18, v1, vcc
	v_cndmask_b32_e64 v18, 0, 1, vcc
	v_lshrrev_b64 v[44:45], v18, v[36:37]
; %bb.598:                              ;   in Loop: Header=BB2_579 Depth=2
	s_andn2_saveexec_b64 s[20:21], s[20:21]
; %bb.599:                              ;   in Loop: Header=BB2_579 Depth=2
	v_mov_b32_e32 v45, v37
	v_bfe_u32 v1, v36, 23, 1
	v_mov_b32_e32 v44, v36
; %bb.600:                              ;   in Loop: Header=BB2_579 Depth=2
	s_or_b64 exec, exec, s[20:21]
	v_lshrrev_b64 v[18:19], 20, v[44:45]
	v_cmp_gt_i32_e32 vcc, 16, v1
	v_cndmask_b32_e32 v19, 0, v19, vcc
	v_cndmask_b32_e32 v18, 7, v18, vcc
	v_cmp_eq_u32_e32 vcc, 0, v1
	v_min_i32_e32 v1, 15, v1
	v_cmp_eq_u64_e64 s[20:21], 0, v[18:19]
	v_lshlrev_b32_e32 v1, 3, v1
	v_and_b32_e32 v1, 0xf8, v1
	v_and_or_b32 v1, v18, 7, v1
	s_and_b64 s[20:21], vcc, s[20:21]
	v_cndmask_b32_e64 v1, v1, 0, s[20:21]
	v_or_b32_e32 v1, v1, v0
.LBB2_601:                              ;   in Loop: Header=BB2_579 Depth=2
	s_or_b64 exec, exec, s[92:93]
                                        ; implicit-def: $vgpr0
.LBB2_602:                              ;   in Loop: Header=BB2_579 Depth=2
	s_andn2_saveexec_b64 s[20:21], s[90:91]
; %bb.603:                              ;   in Loop: Header=BB2_579 Depth=2
	v_or_b32_e32 v1, 0x7e, v0
; %bb.604:                              ;   in Loop: Header=BB2_579 Depth=2
	s_or_b64 exec, exec, s[20:21]
                                        ; implicit-def: $vgpr18
.LBB2_605:                              ;   in Loop: Header=BB2_579 Depth=2
	s_andn2_saveexec_b64 s[20:21], s[88:89]
; %bb.606:                              ;   in Loop: Header=BB2_579 Depth=2
	v_or_b32_sdwa v1, v18, s53 dst_sel:DWORD dst_unused:UNUSED_PAD src0_sel:BYTE_3 src1_sel:DWORD
; %bb.607:                              ;   in Loop: Header=BB2_579 Depth=2
	s_or_b64 exec, exec, s[20:21]
	v_lshrrev_b16_e32 v30, 8, v14
	v_cmp_ne_u16_e32 vcc, 0, v30
	v_mov_b32_e32 v0, 0
	s_and_saveexec_b64 s[20:21], vcc
	s_cbranch_execz .LBB2_613
; %bb.608:                              ;   in Loop: Header=BB2_579 Depth=2
	v_cmp_ne_u16_e32 vcc, s52, v30
	v_bfrev_b32_e32 v0, 1
	s_and_saveexec_b64 s[88:89], vcc
	s_cbranch_execz .LBB2_612
; %bb.609:                              ;   in Loop: Header=BB2_579 Depth=2
	v_and_b32_e32 v18, 0x7f, v30
	v_cmp_ne_u32_e32 vcc, s53, v18
	v_mov_b32_e32 v0, 0x7f800001
	s_and_saveexec_b64 s[90:91], vcc
	s_cbranch_execz .LBB2_611
; %bb.610:                              ;   in Loop: Header=BB2_579 Depth=2
	v_and_b32_e32 v0, 7, v30
	v_lshrrev_b32_e32 v24, 3, v18
	v_cmp_gt_u32_e32 vcc, 8, v18
	v_ffbh_u32_e32 v18, v0
	v_min_u32_e32 v25, 32, v18
	v_subrev_u32_e32 v18, 28, v25
	v_lshlrev_b64 v[18:19], v18, v[30:31]
	v_sub_u32_e32 v19, 29, v25
	v_and_b32_e32 v18, 7, v18
	v_cndmask_b32_e32 v19, v24, v19, vcc
	v_cndmask_b32_e32 v0, v0, v18, vcc
	v_lshlrev_b32_e32 v18, 16, v14
	v_lshlrev_b32_e32 v0, 20, v0
	v_and_b32_e32 v18, 0x80000000, v18
	v_lshl_add_u32 v19, v19, 23, v3
	v_or3_b32 v0, v18, v19, v0
.LBB2_611:                              ;   in Loop: Header=BB2_579 Depth=2
	s_or_b64 exec, exec, s[90:91]
.LBB2_612:                              ;   in Loop: Header=BB2_579 Depth=2
	s_or_b64 exec, exec, s[88:89]
.LBB2_613:                              ;   in Loop: Header=BB2_579 Depth=2
	s_or_b64 exec, exec, s[20:21]
	v_lshrrev_b16_e32 v36, 8, v10
	v_cmp_lt_i16_e32 vcc, s53, v36
	s_mov_b64 s[20:21], 0
	s_and_saveexec_b64 s[88:89], vcc
	s_xor_b64 s[88:89], exec, s[88:89]
	s_cbranch_execz .LBB2_1009
; %bb.614:                              ;   in Loop: Header=BB2_579 Depth=2
	v_cmp_eq_u16_e32 vcc, s52, v36
	s_mov_b64 s[20:21], -1
	s_and_saveexec_b64 s[90:91], vcc
; %bb.615:                              ;   in Loop: Header=BB2_579 Depth=2
	s_xor_b64 s[20:21], exec, -1
; %bb.616:                              ;   in Loop: Header=BB2_579 Depth=2
	s_or_b64 exec, exec, s[90:91]
	s_and_b64 s[20:21], s[20:21], exec
	s_or_saveexec_b64 s[88:89], s[88:89]
	v_bfrev_b32_e32 v18, 1
	s_xor_b64 exec, exec, s[88:89]
	s_cbranch_execnz .LBB2_1010
.LBB2_617:                              ;   in Loop: Header=BB2_579 Depth=2
	s_or_b64 exec, exec, s[88:89]
	s_and_saveexec_b64 s[88:89], s[20:21]
	s_cbranch_execz .LBB2_619
.LBB2_618:                              ;   in Loop: Header=BB2_579 Depth=2
	v_and_b32_e32 v24, 7, v36
	v_ffbh_u32_e32 v18, v24
	v_min_u32_e32 v31, 32, v18
	v_subrev_u32_e32 v18, 28, v31
	v_lshlrev_b64 v[18:19], v18, v[36:37]
	v_and_b32_e32 v25, 0x7f, v36
	v_bfe_u32 v30, v36, 3, 4
	v_sub_u32_e32 v19, 29, v31
	v_and_b32_e32 v18, 7, v18
	v_cmp_gt_u32_e32 vcc, 8, v25
	v_cndmask_b32_e32 v19, v30, v19, vcc
	v_cndmask_b32_e32 v18, v24, v18, vcc
	v_lshlrev_b32_e32 v24, 24, v36
	v_lshlrev_b32_e32 v18, 20, v18
	v_and_b32_e32 v24, 0x80000000, v24
	v_lshl_add_u32 v19, v19, 23, v3
	v_or3_b32 v18, v24, v19, v18
	v_cmp_ne_u32_e32 vcc, s53, v25
	v_cndmask_b32_e32 v18, v56, v18, vcc
.LBB2_619:                              ;   in Loop: Header=BB2_579 Depth=2
	s_or_b64 exec, exec, s[88:89]
	v_add_f32_e32 v18, v0, v18
	v_and_b32_e32 v36, 0x7f800000, v18
	v_cmp_ne_u64_e32 vcc, s[56:57], v[36:37]
                                        ; implicit-def: $vgpr31
	s_and_saveexec_b64 s[20:21], vcc
	s_xor_b64 s[88:89], exec, s[20:21]
	s_cbranch_execz .LBB2_633
; %bb.620:                              ;   in Loop: Header=BB2_579 Depth=2
	v_and_b32_e32 v36, 0x7fffffff, v18
	v_cmp_gt_u64_e32 vcc, s[58:59], v[36:37]
	v_and_b32_sdwa v0, v18, s52 dst_sel:DWORD dst_unused:UNUSED_PAD src0_sel:BYTE_3 src1_sel:DWORD
                                        ; implicit-def: $vgpr31
	s_and_saveexec_b64 s[20:21], vcc
	s_xor_b64 s[90:91], exec, s[20:21]
	s_cbranch_execz .LBB2_630
; %bb.621:                              ;   in Loop: Header=BB2_579 Depth=2
	v_mov_b32_e32 v31, 0
	v_cmp_ne_u32_e32 vcc, 0, v18
	s_and_saveexec_b64 s[92:93], vcc
	s_cbranch_execz .LBB2_629
; %bb.622:                              ;   in Loop: Header=BB2_579 Depth=2
	v_and_b32_e32 v24, 0x7fffff, v18
	v_bfe_u32 v18, v18, 23, 8
	v_cmp_gt_u32_e64 s[20:21], s54, v18
	v_sub_u32_e32 v19, 0x79, v18
	v_cmp_eq_u32_e32 vcc, 0, v18
	v_cndmask_b32_e64 v19, 0, v19, s[20:21]
	v_or_b32_e32 v25, 0x800000, v24
	v_cndmask_b32_e32 v19, v19, v2, vcc
	v_cndmask_b32_e32 v36, v25, v24, vcc
	v_add_u32_e32 v24, 20, v19
	v_lshlrev_b64 v[24:25], v24, -1
	v_add_u32_e32 v30, 19, v19
	v_lshlrev_b64 v[30:31], v30, 1
	v_lshrrev_b64 v[44:45], v19, v[36:37]
	v_bfi_b32 v25, v25, 0, 0
	v_bfi_b32 v24, v24, 0, v36
	v_cmp_eq_u64_e64 s[20:21], v[24:25], v[30:31]
	v_mov_b32_e32 v46, v45
	v_mov_b32_e32 v45, v44
	s_and_saveexec_b64 s[94:95], s[20:21]
; %bb.623:                              ;   in Loop: Header=BB2_579 Depth=2
	v_bfe_u32 v24, v44, 20, 1
	v_add_co_u32_e64 v24, s[20:21], v44, v24
	v_add_co_u32_e64 v45, s[20:21], -1, v24
; %bb.624:                              ;   in Loop: Header=BB2_579 Depth=2
	s_or_b64 exec, exec, s[94:95]
	v_add_u32_e32 v18, 0xffffff81, v18
	v_cndmask_b32_e32 v18, v18, v20, vcc
	v_lshrrev_b32_e32 v24, 23, v44
	v_add3_u32 v30, v19, v18, v24
	v_add_u32_e32 v19, 6, v30
	v_and_b32_e32 v18, 0xfffff, v45
	v_add_u32_e32 v36, v18, v44
	v_cmp_ne_u32_e32 vcc, 0, v19
                                        ; implicit-def: $vgpr44_vgpr45
                                        ; implicit-def: $vgpr18
	s_and_saveexec_b64 s[20:21], vcc
	s_xor_b64 s[20:21], exec, s[20:21]
; %bb.625:                              ;   in Loop: Header=BB2_579 Depth=2
	v_cmp_lt_u64_e32 vcc, s[60:61], v[36:37]
	v_add_u32_e32 v18, 7, v30
	v_cndmask_b32_e32 v18, v19, v18, vcc
	v_cndmask_b32_e64 v19, 0, 1, vcc
	v_lshrrev_b64 v[44:45], v19, v[36:37]
; %bb.626:                              ;   in Loop: Header=BB2_579 Depth=2
	s_andn2_saveexec_b64 s[20:21], s[20:21]
; %bb.627:                              ;   in Loop: Header=BB2_579 Depth=2
	v_mov_b32_e32 v45, v37
	v_bfe_u32 v18, v36, 23, 1
	v_mov_b32_e32 v44, v36
; %bb.628:                              ;   in Loop: Header=BB2_579 Depth=2
	s_or_b64 exec, exec, s[20:21]
	v_lshrrev_b64 v[24:25], 20, v[44:45]
	v_cmp_gt_i32_e32 vcc, 16, v18
	v_cndmask_b32_e32 v25, 0, v25, vcc
	v_cndmask_b32_e32 v24, 7, v24, vcc
	v_cmp_eq_u32_e32 vcc, 0, v18
	v_min_i32_e32 v18, 15, v18
	v_cmp_eq_u64_e64 s[20:21], 0, v[24:25]
	v_lshlrev_b32_e32 v18, 3, v18
	v_and_b32_e32 v18, 0xf8, v18
	v_and_or_b32 v18, v24, 7, v18
	s_and_b64 s[20:21], vcc, s[20:21]
	v_cndmask_b32_e64 v18, v18, 0, s[20:21]
	v_or_b32_e32 v31, v18, v0
.LBB2_629:                              ;   in Loop: Header=BB2_579 Depth=2
	s_or_b64 exec, exec, s[92:93]
                                        ; implicit-def: $vgpr0
.LBB2_630:                              ;   in Loop: Header=BB2_579 Depth=2
	s_andn2_saveexec_b64 s[20:21], s[90:91]
; %bb.631:                              ;   in Loop: Header=BB2_579 Depth=2
	v_or_b32_e32 v31, 0x7e, v0
; %bb.632:                              ;   in Loop: Header=BB2_579 Depth=2
	s_or_b64 exec, exec, s[20:21]
                                        ; implicit-def: $vgpr18
.LBB2_633:                              ;   in Loop: Header=BB2_579 Depth=2
	s_andn2_saveexec_b64 s[20:21], s[88:89]
; %bb.634:                              ;   in Loop: Header=BB2_579 Depth=2
	v_or_b32_sdwa v31, v18, s53 dst_sel:DWORD dst_unused:UNUSED_PAD src0_sel:BYTE_3 src1_sel:DWORD
; %bb.635:                              ;   in Loop: Header=BB2_579 Depth=2
	s_or_b64 exec, exec, s[20:21]
	v_lshrrev_b32_e32 v30, 16, v14
	v_cmp_ne_u16_sdwa s[88:89], v30, v37 src0_sel:BYTE_0 src1_sel:DWORD
	v_mov_b32_e32 v0, 0
	s_and_saveexec_b64 s[20:21], s[88:89]
	s_cbranch_execz .LBB2_641
; %bb.636:                              ;   in Loop: Header=BB2_579 Depth=2
	v_cmp_ne_u16_sdwa s[90:91], v30, s52 src0_sel:BYTE_0 src1_sel:DWORD
	v_bfrev_b32_e32 v0, 1
	s_and_saveexec_b64 s[88:89], s[90:91]
	s_cbranch_execz .LBB2_640
; %bb.637:                              ;   in Loop: Header=BB2_579 Depth=2
	v_bfe_u32 v18, v14, 16, 7
	v_cmp_ne_u32_e32 vcc, s53, v18
	v_mov_b32_e32 v0, 0x7f800001
	s_and_saveexec_b64 s[90:91], vcc
	s_cbranch_execz .LBB2_639
; %bb.638:                              ;   in Loop: Header=BB2_579 Depth=2
	v_and_b32_e32 v0, 7, v30
	v_lshrrev_b32_e32 v24, 3, v18
	v_cmp_gt_u32_e32 vcc, 8, v18
	v_ffbh_u32_e32 v18, v0
	v_min_u32_e32 v25, 32, v18
	v_subrev_u32_e32 v18, 28, v25
	v_lshlrev_b64 v[18:19], v18, v[30:31]
	v_sub_u32_e32 v19, 29, v25
	v_and_b32_e32 v18, 7, v18
	v_cndmask_b32_e32 v19, v24, v19, vcc
	v_cndmask_b32_e32 v0, v0, v18, vcc
	v_lshlrev_b32_e32 v18, 24, v30
	v_lshlrev_b32_e32 v0, 20, v0
	v_and_b32_e32 v18, 0x80000000, v18
	v_lshl_add_u32 v19, v19, 23, v3
	v_or3_b32 v0, v18, v19, v0
.LBB2_639:                              ;   in Loop: Header=BB2_579 Depth=2
	s_or_b64 exec, exec, s[90:91]
.LBB2_640:                              ;   in Loop: Header=BB2_579 Depth=2
	s_or_b64 exec, exec, s[88:89]
.LBB2_641:                              ;   in Loop: Header=BB2_579 Depth=2
	s_or_b64 exec, exec, s[20:21]
	v_lshrrev_b32_e32 v30, 16, v10
	v_cmp_gt_i16_sdwa s[88:89], v30, s53 src0_sel:BYTE_0 src1_sel:DWORD
	s_mov_b64 s[20:21], 0
	s_and_saveexec_b64 s[90:91], s[88:89]
	s_xor_b64 s[88:89], exec, s[90:91]
	s_cbranch_execz .LBB2_1011
; %bb.642:                              ;   in Loop: Header=BB2_579 Depth=2
	v_cmp_eq_u16_sdwa s[92:93], v30, s52 src0_sel:BYTE_0 src1_sel:DWORD
	s_mov_b64 s[20:21], -1
	s_and_saveexec_b64 s[90:91], s[92:93]
; %bb.643:                              ;   in Loop: Header=BB2_579 Depth=2
	s_xor_b64 s[20:21], exec, -1
; %bb.644:                              ;   in Loop: Header=BB2_579 Depth=2
	s_or_b64 exec, exec, s[90:91]
	s_and_b64 s[20:21], s[20:21], exec
	s_or_saveexec_b64 s[88:89], s[88:89]
	v_bfrev_b32_e32 v18, 1
	s_xor_b64 exec, exec, s[88:89]
	s_cbranch_execnz .LBB2_1012
.LBB2_645:                              ;   in Loop: Header=BB2_579 Depth=2
	s_or_b64 exec, exec, s[88:89]
	s_and_saveexec_b64 s[88:89], s[20:21]
	s_cbranch_execz .LBB2_647
.LBB2_646:                              ;   in Loop: Header=BB2_579 Depth=2
	v_and_b32_e32 v24, 7, v30
	v_ffbh_u32_e32 v18, v24
	v_min_u32_e32 v50, 32, v18
	v_subrev_u32_e32 v18, 28, v50
	v_lshlrev_b64 v[18:19], v18, v[30:31]
	v_and_b32_e32 v25, 0x7f, v30
	v_bfe_u32 v36, v30, 3, 4
	v_sub_u32_e32 v19, 29, v50
	v_and_b32_e32 v18, 7, v18
	v_cmp_gt_u32_e32 vcc, 8, v25
	v_cndmask_b32_e32 v19, v36, v19, vcc
	v_cndmask_b32_e32 v18, v24, v18, vcc
	v_lshlrev_b32_e32 v24, 24, v30
	v_lshlrev_b32_e32 v18, 20, v18
	v_and_b32_e32 v24, 0x80000000, v24
	v_lshl_add_u32 v19, v19, 23, v3
	v_or3_b32 v18, v24, v19, v18
	v_cmp_ne_u32_e32 vcc, s53, v25
	v_cndmask_b32_e32 v18, v56, v18, vcc
.LBB2_647:                              ;   in Loop: Header=BB2_579 Depth=2
	s_or_b64 exec, exec, s[88:89]
	v_add_f32_e32 v18, v0, v18
	v_and_b32_e32 v36, 0x7f800000, v18
	v_cmp_ne_u64_e32 vcc, s[56:57], v[36:37]
                                        ; implicit-def: $vgpr50
	s_and_saveexec_b64 s[20:21], vcc
	s_xor_b64 s[88:89], exec, s[20:21]
	s_cbranch_execz .LBB2_661
; %bb.648:                              ;   in Loop: Header=BB2_579 Depth=2
	v_and_b32_e32 v36, 0x7fffffff, v18
	v_cmp_gt_u64_e32 vcc, s[58:59], v[36:37]
	v_and_b32_sdwa v0, v18, s52 dst_sel:DWORD dst_unused:UNUSED_PAD src0_sel:BYTE_3 src1_sel:DWORD
                                        ; implicit-def: $vgpr50
	s_and_saveexec_b64 s[20:21], vcc
	s_xor_b64 s[90:91], exec, s[20:21]
	s_cbranch_execz .LBB2_658
; %bb.649:                              ;   in Loop: Header=BB2_579 Depth=2
	v_mov_b32_e32 v50, 0
	v_cmp_ne_u32_e32 vcc, 0, v18
	s_and_saveexec_b64 s[92:93], vcc
	s_cbranch_execz .LBB2_657
; %bb.650:                              ;   in Loop: Header=BB2_579 Depth=2
	v_and_b32_e32 v24, 0x7fffff, v18
	v_bfe_u32 v18, v18, 23, 8
	v_cmp_gt_u32_e64 s[20:21], s54, v18
	v_sub_u32_e32 v19, 0x79, v18
	v_cmp_eq_u32_e32 vcc, 0, v18
	v_cndmask_b32_e64 v19, 0, v19, s[20:21]
	v_or_b32_e32 v25, 0x800000, v24
	v_cndmask_b32_e32 v19, v19, v2, vcc
	v_cndmask_b32_e32 v36, v25, v24, vcc
	v_add_u32_e32 v24, 20, v19
	v_lshlrev_b64 v[24:25], v24, -1
	v_add_u32_e32 v30, 19, v19
	v_lshlrev_b64 v[50:51], v30, 1
	v_lshrrev_b64 v[44:45], v19, v[36:37]
	v_bfi_b32 v25, v25, 0, 0
	v_bfi_b32 v24, v24, 0, v36
	v_cmp_eq_u64_e64 s[20:21], v[24:25], v[50:51]
	v_mov_b32_e32 v46, v45
	v_mov_b32_e32 v45, v44
	s_and_saveexec_b64 s[94:95], s[20:21]
; %bb.651:                              ;   in Loop: Header=BB2_579 Depth=2
	v_bfe_u32 v24, v44, 20, 1
	v_add_co_u32_e64 v24, s[20:21], v44, v24
	v_add_co_u32_e64 v45, s[20:21], -1, v24
; %bb.652:                              ;   in Loop: Header=BB2_579 Depth=2
	s_or_b64 exec, exec, s[94:95]
	v_add_u32_e32 v18, 0xffffff81, v18
	v_cndmask_b32_e32 v18, v18, v20, vcc
	v_lshrrev_b32_e32 v24, 23, v44
	v_add3_u32 v30, v19, v18, v24
	v_add_u32_e32 v19, 6, v30
	v_and_b32_e32 v18, 0xfffff, v45
	v_add_u32_e32 v36, v18, v44
	v_cmp_ne_u32_e32 vcc, 0, v19
                                        ; implicit-def: $vgpr44_vgpr45
                                        ; implicit-def: $vgpr18
	s_and_saveexec_b64 s[20:21], vcc
	s_xor_b64 s[20:21], exec, s[20:21]
; %bb.653:                              ;   in Loop: Header=BB2_579 Depth=2
	v_cmp_lt_u64_e32 vcc, s[60:61], v[36:37]
	v_add_u32_e32 v18, 7, v30
	v_cndmask_b32_e32 v18, v19, v18, vcc
	v_cndmask_b32_e64 v19, 0, 1, vcc
	v_lshrrev_b64 v[44:45], v19, v[36:37]
; %bb.654:                              ;   in Loop: Header=BB2_579 Depth=2
	s_andn2_saveexec_b64 s[20:21], s[20:21]
; %bb.655:                              ;   in Loop: Header=BB2_579 Depth=2
	v_mov_b32_e32 v45, v37
	v_bfe_u32 v18, v36, 23, 1
	v_mov_b32_e32 v44, v36
; %bb.656:                              ;   in Loop: Header=BB2_579 Depth=2
	s_or_b64 exec, exec, s[20:21]
	v_lshrrev_b64 v[24:25], 20, v[44:45]
	v_cmp_gt_i32_e32 vcc, 16, v18
	v_cndmask_b32_e32 v25, 0, v25, vcc
	v_cndmask_b32_e32 v24, 7, v24, vcc
	v_cmp_eq_u32_e32 vcc, 0, v18
	v_min_i32_e32 v18, 15, v18
	v_cmp_eq_u64_e64 s[20:21], 0, v[24:25]
	v_lshlrev_b32_e32 v18, 3, v18
	v_and_b32_e32 v18, 0xf8, v18
	v_and_or_b32 v18, v24, 7, v18
	s_and_b64 s[20:21], vcc, s[20:21]
	v_cndmask_b32_e64 v18, v18, 0, s[20:21]
	v_or_b32_e32 v50, v18, v0
.LBB2_657:                              ;   in Loop: Header=BB2_579 Depth=2
	s_or_b64 exec, exec, s[92:93]
                                        ; implicit-def: $vgpr0
.LBB2_658:                              ;   in Loop: Header=BB2_579 Depth=2
	s_andn2_saveexec_b64 s[20:21], s[90:91]
; %bb.659:                              ;   in Loop: Header=BB2_579 Depth=2
	v_or_b32_e32 v50, 0x7e, v0
; %bb.660:                              ;   in Loop: Header=BB2_579 Depth=2
	s_or_b64 exec, exec, s[20:21]
                                        ; implicit-def: $vgpr18
.LBB2_661:                              ;   in Loop: Header=BB2_579 Depth=2
	s_andn2_saveexec_b64 s[20:21], s[88:89]
; %bb.662:                              ;   in Loop: Header=BB2_579 Depth=2
	v_or_b32_sdwa v50, v18, s53 dst_sel:DWORD dst_unused:UNUSED_PAD src0_sel:BYTE_3 src1_sel:DWORD
; %bb.663:                              ;   in Loop: Header=BB2_579 Depth=2
	s_or_b64 exec, exec, s[20:21]
	v_cmp_lt_u32_e32 vcc, s63, v14
	v_mov_b32_e32 v0, 0
	s_and_saveexec_b64 s[20:21], vcc
	s_cbranch_execz .LBB2_669
; %bb.664:                              ;   in Loop: Header=BB2_579 Depth=2
	v_lshrrev_b32_e32 v30, 24, v14
	v_cmp_ne_u32_e32 vcc, s52, v30
	v_bfrev_b32_e32 v0, 1
	s_and_saveexec_b64 s[88:89], vcc
	s_cbranch_execz .LBB2_668
; %bb.665:                              ;   in Loop: Header=BB2_579 Depth=2
	v_bfe_u32 v18, v14, 24, 7
	v_cmp_ne_u32_e32 vcc, s53, v18
	v_mov_b32_e32 v0, 0x7f800001
	s_and_saveexec_b64 s[90:91], vcc
	s_cbranch_execz .LBB2_667
; %bb.666:                              ;   in Loop: Header=BB2_579 Depth=2
	v_and_b32_e32 v0, 7, v30
	v_lshrrev_b32_e32 v24, 3, v18
	v_cmp_gt_u32_e32 vcc, 8, v18
	v_ffbh_u32_e32 v18, v0
	v_min_u32_e32 v25, 32, v18
	v_subrev_u32_e32 v18, 28, v25
	v_lshlrev_b64 v[18:19], v18, v[30:31]
	v_sub_u32_e32 v19, 29, v25
	v_and_b32_e32 v18, 7, v18
	v_cndmask_b32_e32 v19, v24, v19, vcc
	v_cndmask_b32_e32 v0, v0, v18, vcc
	v_lshlrev_b32_e32 v18, 24, v30
	v_lshlrev_b32_e32 v0, 20, v0
	v_and_b32_e32 v18, 0x80000000, v18
	v_lshl_add_u32 v19, v19, 23, v3
	v_or3_b32 v0, v18, v19, v0
.LBB2_667:                              ;   in Loop: Header=BB2_579 Depth=2
	s_or_b64 exec, exec, s[90:91]
.LBB2_668:                              ;   in Loop: Header=BB2_579 Depth=2
	s_or_b64 exec, exec, s[88:89]
.LBB2_669:                              ;   in Loop: Header=BB2_579 Depth=2
	s_or_b64 exec, exec, s[20:21]
	v_bfe_u32 v19, v10, 24, 3
	v_ffbh_u32_e32 v24, v19
	v_min_u32_e32 v51, 32, v24
	v_lshrrev_b32_e32 v18, 24, v10
	v_subrev_u32_e32 v24, 28, v51
	v_lshlrev_b64 v[24:25], v24, v[18:19]
	v_bfe_u32 v30, v10, 24, 7
	v_bfe_u32 v36, v18, 3, 4
	v_sub_u32_e32 v25, 29, v51
	v_and_b32_e32 v24, 7, v24
	v_cmp_gt_u32_e32 vcc, 8, v30
	v_cndmask_b32_e32 v25, v36, v25, vcc
	v_cndmask_b32_e32 v19, v19, v24, vcc
	v_lshlrev_b32_e32 v19, 20, v19
	v_and_b32_e32 v24, 0x80000000, v10
	v_lshl_add_u32 v25, v25, 23, v3
	v_or3_b32 v19, v24, v25, v19
	v_cmp_ne_u32_e32 vcc, s53, v30
	v_cndmask_b32_e32 v19, v56, v19, vcc
	v_cmp_ne_u32_e32 vcc, s52, v18
	v_cndmask_b32_e32 v18, v21, v19, vcc
	v_cmp_lt_u32_e32 vcc, s63, v10
	v_cndmask_b32_e32 v18, 0, v18, vcc
	v_add_f32_e32 v18, v18, v0
	v_and_b32_e32 v36, 0x7f800000, v18
	v_cmp_ne_u64_e32 vcc, s[56:57], v[36:37]
                                        ; implicit-def: $vgpr51
	s_and_saveexec_b64 s[20:21], vcc
	s_xor_b64 s[88:89], exec, s[20:21]
	s_cbranch_execz .LBB2_683
; %bb.670:                              ;   in Loop: Header=BB2_579 Depth=2
	v_and_b32_e32 v36, 0x7fffffff, v18
	v_cmp_gt_u64_e32 vcc, s[58:59], v[36:37]
	v_and_b32_sdwa v0, v18, s52 dst_sel:DWORD dst_unused:UNUSED_PAD src0_sel:BYTE_3 src1_sel:DWORD
                                        ; implicit-def: $vgpr51
	s_and_saveexec_b64 s[20:21], vcc
	s_xor_b64 s[90:91], exec, s[20:21]
	s_cbranch_execz .LBB2_680
; %bb.671:                              ;   in Loop: Header=BB2_579 Depth=2
	v_mov_b32_e32 v51, 0
	v_cmp_ne_u32_e32 vcc, 0, v18
	s_and_saveexec_b64 s[92:93], vcc
	s_cbranch_execz .LBB2_679
; %bb.672:                              ;   in Loop: Header=BB2_579 Depth=2
	v_and_b32_e32 v24, 0x7fffff, v18
	v_bfe_u32 v18, v18, 23, 8
	v_cmp_gt_u32_e64 s[20:21], s54, v18
	v_sub_u32_e32 v19, 0x79, v18
	v_cmp_eq_u32_e32 vcc, 0, v18
	v_cndmask_b32_e64 v19, 0, v19, s[20:21]
	v_or_b32_e32 v25, 0x800000, v24
	v_cndmask_b32_e32 v19, v19, v2, vcc
	v_cndmask_b32_e32 v36, v25, v24, vcc
	v_add_u32_e32 v24, 20, v19
	v_lshlrev_b64 v[24:25], v24, -1
	v_add_u32_e32 v30, 19, v19
	v_lshlrev_b64 v[51:52], v30, 1
	v_lshrrev_b64 v[44:45], v19, v[36:37]
	v_bfi_b32 v25, v25, 0, 0
	v_bfi_b32 v24, v24, 0, v36
	v_cmp_eq_u64_e64 s[20:21], v[24:25], v[51:52]
	v_mov_b32_e32 v46, v45
	v_mov_b32_e32 v45, v44
	s_and_saveexec_b64 s[94:95], s[20:21]
; %bb.673:                              ;   in Loop: Header=BB2_579 Depth=2
	v_bfe_u32 v24, v44, 20, 1
	v_add_co_u32_e64 v24, s[20:21], v44, v24
	v_add_co_u32_e64 v45, s[20:21], -1, v24
; %bb.674:                              ;   in Loop: Header=BB2_579 Depth=2
	s_or_b64 exec, exec, s[94:95]
	v_add_u32_e32 v18, 0xffffff81, v18
	v_cndmask_b32_e32 v18, v18, v20, vcc
	v_lshrrev_b32_e32 v24, 23, v44
	v_add3_u32 v30, v19, v18, v24
	v_add_u32_e32 v19, 6, v30
	v_and_b32_e32 v18, 0xfffff, v45
	v_add_u32_e32 v36, v18, v44
	v_cmp_ne_u32_e32 vcc, 0, v19
                                        ; implicit-def: $vgpr44_vgpr45
                                        ; implicit-def: $vgpr18
	s_and_saveexec_b64 s[20:21], vcc
	s_xor_b64 s[20:21], exec, s[20:21]
; %bb.675:                              ;   in Loop: Header=BB2_579 Depth=2
	v_cmp_lt_u64_e32 vcc, s[60:61], v[36:37]
	v_add_u32_e32 v18, 7, v30
	v_cndmask_b32_e32 v18, v19, v18, vcc
	v_cndmask_b32_e64 v19, 0, 1, vcc
	v_lshrrev_b64 v[44:45], v19, v[36:37]
; %bb.676:                              ;   in Loop: Header=BB2_579 Depth=2
	s_andn2_saveexec_b64 s[20:21], s[20:21]
; %bb.677:                              ;   in Loop: Header=BB2_579 Depth=2
	v_mov_b32_e32 v45, v37
	v_bfe_u32 v18, v36, 23, 1
	v_mov_b32_e32 v44, v36
; %bb.678:                              ;   in Loop: Header=BB2_579 Depth=2
	s_or_b64 exec, exec, s[20:21]
	v_lshrrev_b64 v[24:25], 20, v[44:45]
	v_cmp_gt_i32_e32 vcc, 16, v18
	v_cndmask_b32_e32 v25, 0, v25, vcc
	v_cndmask_b32_e32 v24, 7, v24, vcc
	v_cmp_eq_u32_e32 vcc, 0, v18
	v_min_i32_e32 v18, 15, v18
	v_cmp_eq_u64_e64 s[20:21], 0, v[24:25]
	v_lshlrev_b32_e32 v18, 3, v18
	v_and_b32_e32 v18, 0xf8, v18
	v_and_or_b32 v18, v24, 7, v18
	s_and_b64 s[20:21], vcc, s[20:21]
	v_cndmask_b32_e64 v18, v18, 0, s[20:21]
	v_or_b32_e32 v51, v18, v0
.LBB2_679:                              ;   in Loop: Header=BB2_579 Depth=2
	s_or_b64 exec, exec, s[92:93]
                                        ; implicit-def: $vgpr0
.LBB2_680:                              ;   in Loop: Header=BB2_579 Depth=2
	s_andn2_saveexec_b64 s[20:21], s[90:91]
; %bb.681:                              ;   in Loop: Header=BB2_579 Depth=2
	v_or_b32_e32 v51, 0x7e, v0
; %bb.682:                              ;   in Loop: Header=BB2_579 Depth=2
	s_or_b64 exec, exec, s[20:21]
                                        ; implicit-def: $vgpr18
.LBB2_683:                              ;   in Loop: Header=BB2_579 Depth=2
	s_andn2_saveexec_b64 s[20:21], s[88:89]
; %bb.684:                              ;   in Loop: Header=BB2_579 Depth=2
	v_or_b32_sdwa v51, v18, s53 dst_sel:DWORD dst_unused:UNUSED_PAD src0_sel:BYTE_3 src1_sel:DWORD
; %bb.685:                              ;   in Loop: Header=BB2_579 Depth=2
	s_or_b64 exec, exec, s[20:21]
	v_mov_b32_e32 v36, v15
	v_cmp_ne_u16_sdwa s[88:89], v15, v37 src0_sel:BYTE_0 src1_sel:DWORD
	v_mov_b32_e32 v0, 0
	s_and_saveexec_b64 s[20:21], s[88:89]
	s_cbranch_execz .LBB2_691
; %bb.686:                              ;   in Loop: Header=BB2_579 Depth=2
	v_cmp_ne_u16_sdwa s[90:91], v15, s52 src0_sel:BYTE_0 src1_sel:DWORD
	v_bfrev_b32_e32 v0, 1
	s_and_saveexec_b64 s[88:89], s[90:91]
	s_cbranch_execz .LBB2_690
; %bb.687:                              ;   in Loop: Header=BB2_579 Depth=2
	v_and_b32_e32 v18, 0x7f, v15
	v_cmp_ne_u32_e32 vcc, s53, v18
	v_mov_b32_e32 v0, 0x7f800001
	s_and_saveexec_b64 s[90:91], vcc
	s_cbranch_execz .LBB2_689
; %bb.688:                              ;   in Loop: Header=BB2_579 Depth=2
	v_and_b32_e32 v0, 7, v15
	v_ffbh_u32_e32 v0, v0
	v_min_u32_e32 v0, 32, v0
	v_lshrrev_b32_e32 v19, 3, v18
	v_cmp_gt_u32_e32 vcc, 8, v18
	v_subrev_u32_e32 v18, 28, v0
	v_sub_u32_e32 v0, 29, v0
	v_cndmask_b32_e32 v18, 0, v18, vcc
	v_cndmask_b32_e32 v0, v19, v0, vcc
	v_lshlrev_b64 v[18:19], v18, v[36:37]
	v_lshlrev_b32_e32 v19, 24, v36
	v_lshlrev_b32_e32 v18, 20, v18
	v_and_b32_e32 v18, 0x700000, v18
	v_and_b32_e32 v19, 0x80000000, v19
	v_lshl_add_u32 v0, v0, 23, v3
	v_or3_b32 v0, v19, v0, v18
.LBB2_689:                              ;   in Loop: Header=BB2_579 Depth=2
	s_or_b64 exec, exec, s[90:91]
.LBB2_690:                              ;   in Loop: Header=BB2_579 Depth=2
	s_or_b64 exec, exec, s[88:89]
.LBB2_691:                              ;   in Loop: Header=BB2_579 Depth=2
	s_or_b64 exec, exec, s[20:21]
	v_cmp_gt_i16_sdwa s[88:89], v11, s53 src0_sel:BYTE_0 src1_sel:DWORD
	s_mov_b64 s[20:21], 0
	s_and_saveexec_b64 s[90:91], s[88:89]
	s_xor_b64 s[88:89], exec, s[90:91]
	s_cbranch_execz .LBB2_695
; %bb.692:                              ;   in Loop: Header=BB2_579 Depth=2
	v_cmp_eq_u16_sdwa s[92:93], v11, s52 src0_sel:BYTE_0 src1_sel:DWORD
	s_mov_b64 s[20:21], -1
	s_and_saveexec_b64 s[90:91], s[92:93]
; %bb.693:                              ;   in Loop: Header=BB2_579 Depth=2
	s_xor_b64 s[20:21], exec, -1
; %bb.694:                              ;   in Loop: Header=BB2_579 Depth=2
	s_or_b64 exec, exec, s[90:91]
	s_and_b64 s[20:21], s[20:21], exec
.LBB2_695:                              ;   in Loop: Header=BB2_579 Depth=2
	s_or_saveexec_b64 s[88:89], s[88:89]
	v_bfrev_b32_e32 v18, 1
	s_xor_b64 exec, exec, s[88:89]
; %bb.696:                              ;   in Loop: Header=BB2_579 Depth=2
	v_cmp_ne_u16_sdwa s[90:91], v11, v37 src0_sel:BYTE_0 src1_sel:DWORD
	s_andn2_b64 s[20:21], s[20:21], exec
	s_and_b64 s[90:91], s[90:91], exec
	v_mov_b32_e32 v18, 0
	s_or_b64 s[20:21], s[20:21], s[90:91]
; %bb.697:                              ;   in Loop: Header=BB2_579 Depth=2
	s_or_b64 exec, exec, s[88:89]
	v_mov_b32_e32 v44, v11
	v_mov_b32_e32 v45, v37
	s_and_saveexec_b64 s[88:89], s[20:21]
	s_cbranch_execz .LBB2_699
; %bb.698:                              ;   in Loop: Header=BB2_579 Depth=2
	v_and_b32_e32 v18, 7, v11
	v_ffbh_u32_e32 v18, v18
	v_and_b32_e32 v24, 0x7f, v11
	v_min_u32_e32 v18, 32, v18
	v_bfe_u32 v19, v11, 3, 4
	v_subrev_u32_e32 v25, 28, v18
	v_sub_u32_e32 v18, 29, v18
	v_cmp_gt_u32_e32 vcc, 8, v24
	v_cndmask_b32_e32 v30, v19, v18, vcc
	v_cndmask_b32_e32 v18, 0, v25, vcc
	v_lshlrev_b64 v[18:19], v18, v[44:45]
	v_lshlrev_b32_e32 v19, 24, v44
	v_lshlrev_b32_e32 v18, 20, v18
	v_and_b32_e32 v18, 0x700000, v18
	v_and_b32_e32 v19, 0x80000000, v19
	v_lshl_add_u32 v25, v30, 23, v3
	v_or3_b32 v18, v19, v25, v18
	v_cmp_ne_u32_e32 vcc, s53, v24
	v_cndmask_b32_e32 v18, v56, v18, vcc
.LBB2_699:                              ;   in Loop: Header=BB2_579 Depth=2
	s_or_b64 exec, exec, s[88:89]
	v_add_f32_e32 v18, v0, v18
	v_and_b32_e32 v24, 0x7f800000, v18
	v_mov_b32_e32 v25, v37
	v_cmp_ne_u64_e32 vcc, s[56:57], v[24:25]
                                        ; implicit-def: $vgpr47
	s_and_saveexec_b64 s[20:21], vcc
	s_xor_b64 s[88:89], exec, s[20:21]
	s_cbranch_execz .LBB2_713
; %bb.700:                              ;   in Loop: Header=BB2_579 Depth=2
	v_and_b32_e32 v24, 0x7fffffff, v18
	v_mov_b32_e32 v25, v37
	v_cmp_gt_u64_e32 vcc, s[58:59], v[24:25]
	v_and_b32_sdwa v0, v18, s52 dst_sel:DWORD dst_unused:UNUSED_PAD src0_sel:BYTE_3 src1_sel:DWORD
                                        ; implicit-def: $vgpr47
	s_and_saveexec_b64 s[20:21], vcc
	s_xor_b64 s[90:91], exec, s[20:21]
	s_cbranch_execz .LBB2_710
; %bb.701:                              ;   in Loop: Header=BB2_579 Depth=2
	v_mov_b32_e32 v47, 0
	v_cmp_ne_u32_e32 vcc, 0, v18
	s_and_saveexec_b64 s[92:93], vcc
	s_cbranch_execz .LBB2_709
; %bb.702:                              ;   in Loop: Header=BB2_579 Depth=2
	v_and_b32_e32 v24, 0x7fffff, v18
	v_bfe_u32 v18, v18, 23, 8
	v_cmp_gt_u32_e64 s[20:21], s54, v18
	v_sub_u32_e32 v19, 0x79, v18
	v_cmp_eq_u32_e32 vcc, 0, v18
	v_cndmask_b32_e64 v19, 0, v19, s[20:21]
	v_cndmask_b32_e32 v19, v19, v2, vcc
	v_add_u32_e32 v30, 20, v19
	v_or_b32_e32 v25, 0x800000, v24
	v_lshlrev_b64 v[52:53], v30, -1
	v_add_u32_e32 v30, 19, v19
	v_cndmask_b32_e32 v24, v25, v24, vcc
	v_lshlrev_b64 v[45:46], v30, 1
	v_mov_b32_e32 v25, v37
	v_bfi_b32 v53, v53, 0, 0
	v_bfi_b32 v52, v52, 0, v24
	v_cmp_eq_u64_e64 s[20:21], v[52:53], v[45:46]
	v_lshrrev_b64 v[45:46], v19, v[24:25]
	v_mov_b32_e32 v47, v46
	v_mov_b32_e32 v46, v45
	s_and_saveexec_b64 s[94:95], s[20:21]
; %bb.703:                              ;   in Loop: Header=BB2_579 Depth=2
	v_bfe_u32 v24, v45, 20, 1
	v_add_co_u32_e64 v24, s[20:21], v45, v24
	v_add_co_u32_e64 v46, s[20:21], -1, v24
; %bb.704:                              ;   in Loop: Header=BB2_579 Depth=2
	s_or_b64 exec, exec, s[94:95]
	v_add_u32_e32 v18, 0xffffff81, v18
	v_cndmask_b32_e32 v18, v18, v20, vcc
	v_lshrrev_b32_e32 v24, 23, v45
	v_add3_u32 v30, v19, v18, v24
	v_add_u32_e32 v19, 6, v30
	v_and_b32_e32 v18, 0xfffff, v46
	v_add_u32_e32 v45, v18, v45
	v_mov_b32_e32 v46, v37
	v_cmp_ne_u32_e32 vcc, 0, v19
                                        ; implicit-def: $vgpr18
	s_and_saveexec_b64 s[20:21], vcc
	s_xor_b64 s[20:21], exec, s[20:21]
; %bb.705:                              ;   in Loop: Header=BB2_579 Depth=2
	v_cmp_lt_u64_e32 vcc, s[60:61], v[45:46]
	v_add_u32_e32 v18, 7, v30
	v_cndmask_b32_e32 v18, v19, v18, vcc
	v_cndmask_b32_e64 v19, 0, 1, vcc
	v_lshrrev_b64 v[45:46], v19, v[45:46]
; %bb.706:                              ;   in Loop: Header=BB2_579 Depth=2
	s_andn2_saveexec_b64 s[20:21], s[20:21]
; %bb.707:                              ;   in Loop: Header=BB2_579 Depth=2
	v_bfe_u32 v18, v45, 23, 1
; %bb.708:                              ;   in Loop: Header=BB2_579 Depth=2
	s_or_b64 exec, exec, s[20:21]
	v_lshrrev_b64 v[24:25], 20, v[45:46]
	v_cmp_gt_i32_e32 vcc, 16, v18
	v_cndmask_b32_e32 v25, 0, v25, vcc
	v_cndmask_b32_e32 v24, 7, v24, vcc
	v_cmp_eq_u32_e32 vcc, 0, v18
	v_min_i32_e32 v18, 15, v18
	v_cmp_eq_u64_e64 s[20:21], 0, v[24:25]
	v_lshlrev_b32_e32 v18, 3, v18
	v_and_b32_e32 v18, 0xf8, v18
	v_and_or_b32 v18, v24, 7, v18
	s_and_b64 s[20:21], vcc, s[20:21]
	v_cndmask_b32_e64 v18, v18, 0, s[20:21]
	v_or_b32_e32 v47, v18, v0
.LBB2_709:                              ;   in Loop: Header=BB2_579 Depth=2
	s_or_b64 exec, exec, s[92:93]
                                        ; implicit-def: $vgpr0
.LBB2_710:                              ;   in Loop: Header=BB2_579 Depth=2
	s_andn2_saveexec_b64 s[20:21], s[90:91]
; %bb.711:                              ;   in Loop: Header=BB2_579 Depth=2
	v_or_b32_e32 v47, 0x7e, v0
; %bb.712:                              ;   in Loop: Header=BB2_579 Depth=2
	s_or_b64 exec, exec, s[20:21]
                                        ; implicit-def: $vgpr18
.LBB2_713:                              ;   in Loop: Header=BB2_579 Depth=2
	s_andn2_saveexec_b64 s[20:21], s[88:89]
; %bb.714:                              ;   in Loop: Header=BB2_579 Depth=2
	v_or_b32_sdwa v47, v18, s53 dst_sel:DWORD dst_unused:UNUSED_PAD src0_sel:BYTE_3 src1_sel:DWORD
; %bb.715:                              ;   in Loop: Header=BB2_579 Depth=2
	s_or_b64 exec, exec, s[20:21]
	v_lshrrev_b16_e32 v30, 8, v36
	v_cmp_ne_u16_e32 vcc, 0, v30
	v_mov_b32_e32 v0, 0
	s_and_saveexec_b64 s[20:21], vcc
	s_cbranch_execz .LBB2_721
; %bb.716:                              ;   in Loop: Header=BB2_579 Depth=2
	v_cmp_ne_u16_e32 vcc, s52, v30
	v_bfrev_b32_e32 v0, 1
	s_and_saveexec_b64 s[88:89], vcc
	s_cbranch_execz .LBB2_720
; %bb.717:                              ;   in Loop: Header=BB2_579 Depth=2
	v_and_b32_e32 v18, 0x7f, v30
	v_cmp_ne_u32_e32 vcc, s53, v18
	v_mov_b32_e32 v0, 0x7f800001
	s_and_saveexec_b64 s[90:91], vcc
	s_cbranch_execz .LBB2_719
; %bb.718:                              ;   in Loop: Header=BB2_579 Depth=2
	v_and_b32_e32 v0, 7, v30
	v_lshrrev_b32_e32 v24, 3, v18
	v_cmp_gt_u32_e32 vcc, 8, v18
	v_ffbh_u32_e32 v18, v0
	v_min_u32_e32 v25, 32, v18
	v_subrev_u32_e32 v18, 28, v25
	v_lshlrev_b64 v[18:19], v18, v[30:31]
	v_sub_u32_e32 v19, 29, v25
	v_and_b32_e32 v18, 7, v18
	v_cndmask_b32_e32 v19, v24, v19, vcc
	v_cndmask_b32_e32 v0, v0, v18, vcc
	v_lshlrev_b32_e32 v18, 16, v36
	v_lshlrev_b32_e32 v0, 20, v0
	v_and_b32_e32 v18, 0x80000000, v18
	v_lshl_add_u32 v19, v19, 23, v3
	v_or3_b32 v0, v18, v19, v0
.LBB2_719:                              ;   in Loop: Header=BB2_579 Depth=2
	s_or_b64 exec, exec, s[90:91]
.LBB2_720:                              ;   in Loop: Header=BB2_579 Depth=2
	s_or_b64 exec, exec, s[88:89]
.LBB2_721:                              ;   in Loop: Header=BB2_579 Depth=2
	s_or_b64 exec, exec, s[20:21]
	v_lshrrev_b16_e32 v36, 8, v44
	v_cmp_lt_i16_e32 vcc, s53, v36
	s_mov_b64 s[20:21], 0
	s_and_saveexec_b64 s[88:89], vcc
	s_xor_b64 s[88:89], exec, s[88:89]
	s_cbranch_execz .LBB2_1013
; %bb.722:                              ;   in Loop: Header=BB2_579 Depth=2
	v_cmp_eq_u16_e32 vcc, s52, v36
	s_mov_b64 s[20:21], -1
	s_and_saveexec_b64 s[90:91], vcc
; %bb.723:                              ;   in Loop: Header=BB2_579 Depth=2
	s_xor_b64 s[20:21], exec, -1
; %bb.724:                              ;   in Loop: Header=BB2_579 Depth=2
	s_or_b64 exec, exec, s[90:91]
	s_and_b64 s[20:21], s[20:21], exec
	s_or_saveexec_b64 s[88:89], s[88:89]
	v_bfrev_b32_e32 v18, 1
	s_xor_b64 exec, exec, s[88:89]
	s_cbranch_execnz .LBB2_1014
.LBB2_725:                              ;   in Loop: Header=BB2_579 Depth=2
	s_or_b64 exec, exec, s[88:89]
	s_and_saveexec_b64 s[88:89], s[20:21]
	s_cbranch_execz .LBB2_727
.LBB2_726:                              ;   in Loop: Header=BB2_579 Depth=2
	v_and_b32_e32 v24, 7, v36
	v_ffbh_u32_e32 v18, v24
	v_min_u32_e32 v52, 32, v18
	v_subrev_u32_e32 v18, 28, v52
	v_lshlrev_b64 v[18:19], v18, v[36:37]
	v_and_b32_e32 v25, 0x7f, v36
	v_bfe_u32 v30, v36, 3, 4
	v_sub_u32_e32 v19, 29, v52
	v_and_b32_e32 v18, 7, v18
	v_cmp_gt_u32_e32 vcc, 8, v25
	v_cndmask_b32_e32 v19, v30, v19, vcc
	v_cndmask_b32_e32 v18, v24, v18, vcc
	v_lshlrev_b32_e32 v24, 24, v36
	v_lshlrev_b32_e32 v18, 20, v18
	v_and_b32_e32 v24, 0x80000000, v24
	v_lshl_add_u32 v19, v19, 23, v3
	v_or3_b32 v18, v24, v19, v18
	v_cmp_ne_u32_e32 vcc, s53, v25
	v_cndmask_b32_e32 v18, v56, v18, vcc
.LBB2_727:                              ;   in Loop: Header=BB2_579 Depth=2
	s_or_b64 exec, exec, s[88:89]
	v_add_f32_e32 v19, v0, v18
	v_and_b32_e32 v36, 0x7f800000, v19
	v_cmp_ne_u64_e32 vcc, s[56:57], v[36:37]
                                        ; implicit-def: $vgpr0
	s_and_saveexec_b64 s[20:21], vcc
	s_xor_b64 s[88:89], exec, s[20:21]
	s_cbranch_execz .LBB2_741
; %bb.728:                              ;   in Loop: Header=BB2_579 Depth=2
	v_and_b32_e32 v36, 0x7fffffff, v19
	v_cmp_gt_u64_e32 vcc, s[58:59], v[36:37]
	v_and_b32_sdwa v18, v19, s52 dst_sel:DWORD dst_unused:UNUSED_PAD src0_sel:BYTE_3 src1_sel:DWORD
                                        ; implicit-def: $vgpr0
	s_and_saveexec_b64 s[20:21], vcc
	s_xor_b64 s[90:91], exec, s[20:21]
	s_cbranch_execz .LBB2_738
; %bb.729:                              ;   in Loop: Header=BB2_579 Depth=2
	v_mov_b32_e32 v0, 0
	v_cmp_ne_u32_e32 vcc, 0, v19
	s_and_saveexec_b64 s[92:93], vcc
	s_cbranch_execz .LBB2_737
; %bb.730:                              ;   in Loop: Header=BB2_579 Depth=2
	v_bfe_u32 v0, v19, 23, 8
	v_and_b32_e32 v24, 0x7fffff, v19
	v_cmp_gt_u32_e64 s[20:21], s54, v0
	v_sub_u32_e32 v19, 0x79, v0
	v_cmp_eq_u32_e32 vcc, 0, v0
	v_cndmask_b32_e64 v19, 0, v19, s[20:21]
	v_or_b32_e32 v25, 0x800000, v24
	v_cndmask_b32_e32 v19, v19, v2, vcc
	v_cndmask_b32_e32 v36, v25, v24, vcc
	v_add_u32_e32 v24, 20, v19
	v_lshlrev_b64 v[24:25], v24, -1
	v_add_u32_e32 v30, 19, v19
	v_lshlrev_b64 v[52:53], v30, 1
	v_lshrrev_b64 v[44:45], v19, v[36:37]
	v_bfi_b32 v25, v25, 0, 0
	v_bfi_b32 v24, v24, 0, v36
	v_cmp_eq_u64_e64 s[20:21], v[24:25], v[52:53]
	v_mov_b32_e32 v46, v45
	v_mov_b32_e32 v45, v44
	s_and_saveexec_b64 s[94:95], s[20:21]
; %bb.731:                              ;   in Loop: Header=BB2_579 Depth=2
	v_bfe_u32 v24, v44, 20, 1
	v_add_co_u32_e64 v24, s[20:21], v44, v24
	v_add_co_u32_e64 v45, s[20:21], -1, v24
; %bb.732:                              ;   in Loop: Header=BB2_579 Depth=2
	s_or_b64 exec, exec, s[94:95]
	v_add_u32_e32 v0, 0xffffff81, v0
	v_cndmask_b32_e32 v0, v0, v20, vcc
	v_lshrrev_b32_e32 v24, 23, v44
	v_add3_u32 v30, v19, v0, v24
	v_add_u32_e32 v19, 6, v30
	v_and_b32_e32 v0, 0xfffff, v45
	v_add_u32_e32 v36, v0, v44
	v_cmp_ne_u32_e32 vcc, 0, v19
                                        ; implicit-def: $vgpr44_vgpr45
                                        ; implicit-def: $vgpr0
	s_and_saveexec_b64 s[20:21], vcc
	s_xor_b64 s[20:21], exec, s[20:21]
; %bb.733:                              ;   in Loop: Header=BB2_579 Depth=2
	v_cmp_lt_u64_e32 vcc, s[60:61], v[36:37]
	v_add_u32_e32 v0, 7, v30
	v_cndmask_b32_e32 v0, v19, v0, vcc
	v_cndmask_b32_e64 v19, 0, 1, vcc
	v_lshrrev_b64 v[44:45], v19, v[36:37]
; %bb.734:                              ;   in Loop: Header=BB2_579 Depth=2
	s_andn2_saveexec_b64 s[20:21], s[20:21]
; %bb.735:                              ;   in Loop: Header=BB2_579 Depth=2
	v_mov_b32_e32 v45, v37
	v_bfe_u32 v0, v36, 23, 1
	v_mov_b32_e32 v44, v36
; %bb.736:                              ;   in Loop: Header=BB2_579 Depth=2
	s_or_b64 exec, exec, s[20:21]
	v_lshrrev_b64 v[24:25], 20, v[44:45]
	v_cmp_gt_i32_e32 vcc, 16, v0
	v_cndmask_b32_e32 v25, 0, v25, vcc
	v_cndmask_b32_e32 v24, 7, v24, vcc
	v_cmp_eq_u32_e32 vcc, 0, v0
	v_min_i32_e32 v0, 15, v0
	v_cmp_eq_u64_e64 s[20:21], 0, v[24:25]
	v_lshlrev_b32_e32 v0, 3, v0
	v_and_b32_e32 v0, 0xf8, v0
	v_and_or_b32 v0, v24, 7, v0
	s_and_b64 s[20:21], vcc, s[20:21]
	v_cndmask_b32_e64 v0, v0, 0, s[20:21]
	v_or_b32_e32 v0, v0, v18
.LBB2_737:                              ;   in Loop: Header=BB2_579 Depth=2
	s_or_b64 exec, exec, s[92:93]
                                        ; implicit-def: $vgpr18
.LBB2_738:                              ;   in Loop: Header=BB2_579 Depth=2
	s_andn2_saveexec_b64 s[20:21], s[90:91]
; %bb.739:                              ;   in Loop: Header=BB2_579 Depth=2
	v_or_b32_e32 v0, 0x7e, v18
; %bb.740:                              ;   in Loop: Header=BB2_579 Depth=2
	s_or_b64 exec, exec, s[20:21]
                                        ; implicit-def: $vgpr19
.LBB2_741:                              ;   in Loop: Header=BB2_579 Depth=2
	s_andn2_saveexec_b64 s[20:21], s[88:89]
; %bb.742:                              ;   in Loop: Header=BB2_579 Depth=2
	v_or_b32_sdwa v0, v19, s53 dst_sel:DWORD dst_unused:UNUSED_PAD src0_sel:BYTE_3 src1_sel:DWORD
; %bb.743:                              ;   in Loop: Header=BB2_579 Depth=2
	s_or_b64 exec, exec, s[20:21]
	v_lshrrev_b32_e32 v30, 16, v15
	v_cmp_ne_u16_sdwa s[88:89], v30, v37 src0_sel:BYTE_0 src1_sel:DWORD
	v_mov_b32_e32 v18, 0
	s_and_saveexec_b64 s[20:21], s[88:89]
	s_cbranch_execz .LBB2_749
; %bb.744:                              ;   in Loop: Header=BB2_579 Depth=2
	v_cmp_ne_u16_sdwa s[90:91], v30, s52 src0_sel:BYTE_0 src1_sel:DWORD
	v_bfrev_b32_e32 v18, 1
	s_and_saveexec_b64 s[88:89], s[90:91]
	s_cbranch_execz .LBB2_748
; %bb.745:                              ;   in Loop: Header=BB2_579 Depth=2
	v_bfe_u32 v19, v15, 16, 7
	v_cmp_ne_u32_e32 vcc, s53, v19
	v_mov_b32_e32 v18, 0x7f800001
	s_and_saveexec_b64 s[90:91], vcc
	s_cbranch_execz .LBB2_747
; %bb.746:                              ;   in Loop: Header=BB2_579 Depth=2
	v_and_b32_e32 v24, 7, v30
	v_ffbh_u32_e32 v18, v24
	v_min_u32_e32 v36, 32, v18
	v_subrev_u32_e32 v18, 28, v36
	v_lshrrev_b32_e32 v25, 3, v19
	v_cmp_gt_u32_e32 vcc, 8, v19
	v_lshlrev_b64 v[18:19], v18, v[30:31]
	v_sub_u32_e32 v19, 29, v36
	v_and_b32_e32 v18, 7, v18
	v_cndmask_b32_e32 v19, v25, v19, vcc
	v_cndmask_b32_e32 v18, v24, v18, vcc
	v_lshlrev_b32_e32 v24, 24, v30
	v_lshlrev_b32_e32 v18, 20, v18
	v_and_b32_e32 v24, 0x80000000, v24
	v_lshl_add_u32 v19, v19, 23, v3
	v_or3_b32 v18, v24, v19, v18
.LBB2_747:                              ;   in Loop: Header=BB2_579 Depth=2
	s_or_b64 exec, exec, s[90:91]
.LBB2_748:                              ;   in Loop: Header=BB2_579 Depth=2
	s_or_b64 exec, exec, s[88:89]
.LBB2_749:                              ;   in Loop: Header=BB2_579 Depth=2
	s_or_b64 exec, exec, s[20:21]
	v_lshrrev_b32_e32 v30, 16, v11
	v_cmp_gt_i16_sdwa s[88:89], v30, s53 src0_sel:BYTE_0 src1_sel:DWORD
	s_mov_b64 s[20:21], 0
	s_and_saveexec_b64 s[90:91], s[88:89]
	s_xor_b64 s[88:89], exec, s[90:91]
	s_cbranch_execz .LBB2_1015
; %bb.750:                              ;   in Loop: Header=BB2_579 Depth=2
	v_cmp_eq_u16_sdwa s[92:93], v30, s52 src0_sel:BYTE_0 src1_sel:DWORD
	s_mov_b64 s[20:21], -1
	s_and_saveexec_b64 s[90:91], s[92:93]
; %bb.751:                              ;   in Loop: Header=BB2_579 Depth=2
	s_xor_b64 s[20:21], exec, -1
; %bb.752:                              ;   in Loop: Header=BB2_579 Depth=2
	s_or_b64 exec, exec, s[90:91]
	s_and_b64 s[20:21], s[20:21], exec
	s_or_saveexec_b64 s[88:89], s[88:89]
	v_bfrev_b32_e32 v19, 1
	s_xor_b64 exec, exec, s[88:89]
	s_cbranch_execnz .LBB2_1016
.LBB2_753:                              ;   in Loop: Header=BB2_579 Depth=2
	s_or_b64 exec, exec, s[88:89]
	s_and_saveexec_b64 s[88:89], s[20:21]
	s_cbranch_execz .LBB2_755
.LBB2_754:                              ;   in Loop: Header=BB2_579 Depth=2
	v_and_b32_e32 v19, 7, v30
	v_ffbh_u32_e32 v24, v19
	v_min_u32_e32 v53, 32, v24
	v_subrev_u32_e32 v24, 28, v53
	v_lshlrev_b64 v[24:25], v24, v[30:31]
	v_and_b32_e32 v36, 0x7f, v30
	v_bfe_u32 v52, v30, 3, 4
	v_sub_u32_e32 v25, 29, v53
	v_and_b32_e32 v24, 7, v24
	v_cmp_gt_u32_e32 vcc, 8, v36
	v_cndmask_b32_e32 v25, v52, v25, vcc
	v_cndmask_b32_e32 v19, v19, v24, vcc
	v_lshlrev_b32_e32 v24, 24, v30
	v_lshlrev_b32_e32 v19, 20, v19
	v_and_b32_e32 v24, 0x80000000, v24
	v_lshl_add_u32 v25, v25, 23, v3
	v_or3_b32 v19, v24, v25, v19
	v_cmp_ne_u32_e32 vcc, s53, v36
	v_cndmask_b32_e32 v19, v56, v19, vcc
.LBB2_755:                              ;   in Loop: Header=BB2_579 Depth=2
	s_or_b64 exec, exec, s[88:89]
	v_add_f32_e32 v19, v18, v19
	v_and_b32_e32 v36, 0x7f800000, v19
	v_cmp_ne_u64_e32 vcc, s[56:57], v[36:37]
                                        ; implicit-def: $vgpr30
	s_and_saveexec_b64 s[20:21], vcc
	s_xor_b64 s[88:89], exec, s[20:21]
	s_cbranch_execz .LBB2_769
; %bb.756:                              ;   in Loop: Header=BB2_579 Depth=2
	v_and_b32_e32 v36, 0x7fffffff, v19
	v_cmp_gt_u64_e32 vcc, s[58:59], v[36:37]
	v_and_b32_sdwa v18, v19, s52 dst_sel:DWORD dst_unused:UNUSED_PAD src0_sel:BYTE_3 src1_sel:DWORD
                                        ; implicit-def: $vgpr30
	s_and_saveexec_b64 s[20:21], vcc
	s_xor_b64 s[90:91], exec, s[20:21]
	s_cbranch_execz .LBB2_766
; %bb.757:                              ;   in Loop: Header=BB2_579 Depth=2
	v_mov_b32_e32 v30, 0
	v_cmp_ne_u32_e32 vcc, 0, v19
	s_and_saveexec_b64 s[92:93], vcc
	s_cbranch_execz .LBB2_765
; %bb.758:                              ;   in Loop: Header=BB2_579 Depth=2
	v_and_b32_e32 v24, 0x7fffff, v19
	v_bfe_u32 v19, v19, 23, 8
	v_cmp_gt_u32_e64 s[20:21], s54, v19
	v_sub_u32_e32 v25, 0x79, v19
	v_cmp_eq_u32_e32 vcc, 0, v19
	v_cndmask_b32_e64 v25, 0, v25, s[20:21]
	v_or_b32_e32 v36, 0x800000, v24
	v_cndmask_b32_e32 v30, v25, v2, vcc
	v_cndmask_b32_e32 v36, v36, v24, vcc
	v_add_u32_e32 v24, 20, v30
	v_lshlrev_b64 v[24:25], v24, -1
	v_add_u32_e32 v52, 19, v30
	v_lshlrev_b64 v[52:53], v52, 1
	v_lshrrev_b64 v[44:45], v30, v[36:37]
	v_bfi_b32 v25, v25, 0, 0
	v_bfi_b32 v24, v24, 0, v36
	v_cmp_eq_u64_e64 s[20:21], v[24:25], v[52:53]
	v_mov_b32_e32 v46, v45
	v_mov_b32_e32 v45, v44
	s_and_saveexec_b64 s[94:95], s[20:21]
; %bb.759:                              ;   in Loop: Header=BB2_579 Depth=2
	v_bfe_u32 v24, v44, 20, 1
	v_add_co_u32_e64 v24, s[20:21], v44, v24
	v_add_co_u32_e64 v45, s[20:21], -1, v24
; %bb.760:                              ;   in Loop: Header=BB2_579 Depth=2
	s_or_b64 exec, exec, s[94:95]
	v_add_u32_e32 v19, 0xffffff81, v19
	v_cndmask_b32_e32 v19, v19, v20, vcc
	v_lshrrev_b32_e32 v24, 23, v44
	v_add3_u32 v52, v30, v19, v24
	v_add_u32_e32 v30, 6, v52
	v_and_b32_e32 v19, 0xfffff, v45
	v_add_u32_e32 v36, v19, v44
	v_cmp_ne_u32_e32 vcc, 0, v30
                                        ; implicit-def: $vgpr44_vgpr45
                                        ; implicit-def: $vgpr19
	s_and_saveexec_b64 s[20:21], vcc
	s_xor_b64 s[20:21], exec, s[20:21]
; %bb.761:                              ;   in Loop: Header=BB2_579 Depth=2
	v_cmp_lt_u64_e32 vcc, s[60:61], v[36:37]
	v_add_u32_e32 v19, 7, v52
	v_cndmask_b32_e64 v24, 0, 1, vcc
	v_cndmask_b32_e32 v19, v30, v19, vcc
	v_lshrrev_b64 v[44:45], v24, v[36:37]
; %bb.762:                              ;   in Loop: Header=BB2_579 Depth=2
	s_andn2_saveexec_b64 s[20:21], s[20:21]
; %bb.763:                              ;   in Loop: Header=BB2_579 Depth=2
	v_mov_b32_e32 v45, v37
	v_bfe_u32 v19, v36, 23, 1
	v_mov_b32_e32 v44, v36
; %bb.764:                              ;   in Loop: Header=BB2_579 Depth=2
	s_or_b64 exec, exec, s[20:21]
	v_lshrrev_b64 v[24:25], 20, v[44:45]
	v_cmp_gt_i32_e32 vcc, 16, v19
	v_cndmask_b32_e32 v25, 0, v25, vcc
	v_cndmask_b32_e32 v24, 7, v24, vcc
	v_cmp_eq_u32_e32 vcc, 0, v19
	v_min_i32_e32 v19, 15, v19
	v_cmp_eq_u64_e64 s[20:21], 0, v[24:25]
	v_lshlrev_b32_e32 v19, 3, v19
	v_and_b32_e32 v19, 0xf8, v19
	v_and_or_b32 v19, v24, 7, v19
	s_and_b64 s[20:21], vcc, s[20:21]
	v_cndmask_b32_e64 v19, v19, 0, s[20:21]
	v_or_b32_e32 v30, v19, v18
.LBB2_765:                              ;   in Loop: Header=BB2_579 Depth=2
	s_or_b64 exec, exec, s[92:93]
                                        ; implicit-def: $vgpr18
.LBB2_766:                              ;   in Loop: Header=BB2_579 Depth=2
	s_andn2_saveexec_b64 s[20:21], s[90:91]
; %bb.767:                              ;   in Loop: Header=BB2_579 Depth=2
	v_or_b32_e32 v30, 0x7e, v18
; %bb.768:                              ;   in Loop: Header=BB2_579 Depth=2
	s_or_b64 exec, exec, s[20:21]
                                        ; implicit-def: $vgpr19
.LBB2_769:                              ;   in Loop: Header=BB2_579 Depth=2
	s_andn2_saveexec_b64 s[20:21], s[88:89]
; %bb.770:                              ;   in Loop: Header=BB2_579 Depth=2
	v_or_b32_sdwa v30, v19, s53 dst_sel:DWORD dst_unused:UNUSED_PAD src0_sel:BYTE_3 src1_sel:DWORD
; %bb.771:                              ;   in Loop: Header=BB2_579 Depth=2
	s_or_b64 exec, exec, s[20:21]
	v_cmp_lt_u64_e32 vcc, s[62:63], v[14:15]
	v_mov_b32_e32 v18, 0
	s_and_saveexec_b64 s[20:21], vcc
	s_cbranch_execz .LBB2_777
; %bb.772:                              ;   in Loop: Header=BB2_579 Depth=2
	v_lshrrev_b32_e32 v14, 24, v15
	v_cmp_ne_u32_e32 vcc, s52, v14
	v_bfrev_b32_e32 v18, 1
	s_and_saveexec_b64 s[88:89], vcc
	s_cbranch_execz .LBB2_776
; %bb.773:                              ;   in Loop: Header=BB2_579 Depth=2
	v_bfe_u32 v15, v15, 24, 7
	v_cmp_ne_u32_e32 vcc, s53, v15
	v_mov_b32_e32 v18, 0x7f800001
	s_and_saveexec_b64 s[90:91], vcc
	s_cbranch_execz .LBB2_775
; %bb.774:                              ;   in Loop: Header=BB2_579 Depth=2
	v_and_b32_e32 v24, 7, v14
	v_lshrrev_b32_e32 v25, 3, v15
	v_cmp_gt_u32_e32 vcc, 8, v15
	v_ffbh_u32_e32 v15, v24
	v_min_u32_e32 v15, 32, v15
	v_subrev_u32_e32 v18, 28, v15
	v_lshlrev_b64 v[18:19], v18, v[14:15]
	v_sub_u32_e32 v15, 29, v15
	v_and_b32_e32 v18, 7, v18
	v_cndmask_b32_e32 v15, v25, v15, vcc
	v_cndmask_b32_e32 v18, v24, v18, vcc
	v_lshlrev_b32_e32 v14, 24, v14
	v_lshlrev_b32_e32 v18, 20, v18
	v_and_b32_e32 v14, 0x80000000, v14
	v_lshl_add_u32 v15, v15, 23, v3
	v_or3_b32 v18, v14, v15, v18
.LBB2_775:                              ;   in Loop: Header=BB2_579 Depth=2
	s_or_b64 exec, exec, s[90:91]
.LBB2_776:                              ;   in Loop: Header=BB2_579 Depth=2
	s_or_b64 exec, exec, s[88:89]
.LBB2_777:                              ;   in Loop: Header=BB2_579 Depth=2
	s_or_b64 exec, exec, s[20:21]
	v_bfe_u32 v15, v11, 24, 3
	v_ffbh_u32_e32 v24, v15
	v_min_u32_e32 v52, 32, v24
	v_lshrrev_b32_e32 v14, 24, v11
	v_subrev_u32_e32 v24, 28, v52
	v_lshlrev_b64 v[24:25], v24, v[14:15]
	v_bfe_u32 v19, v11, 24, 7
	v_bfe_u32 v36, v14, 3, 4
	v_sub_u32_e32 v25, 29, v52
	v_and_b32_e32 v24, 7, v24
	v_cmp_gt_u32_e32 vcc, 8, v19
	v_cndmask_b32_e32 v25, v36, v25, vcc
	v_cndmask_b32_e32 v15, v15, v24, vcc
	v_lshlrev_b32_e32 v15, 20, v15
	v_and_b32_e32 v24, 0x80000000, v11
	v_lshl_add_u32 v25, v25, 23, v3
	v_or3_b32 v15, v24, v25, v15
	v_cmp_ne_u32_e32 vcc, s53, v19
	v_cndmask_b32_e32 v15, v56, v15, vcc
	v_cmp_ne_u32_e32 vcc, s52, v14
	v_cndmask_b32_e32 v14, v21, v15, vcc
	v_cmp_lt_u64_e32 vcc, s[62:63], v[10:11]
                                        ; implicit-def: $vgpr46
	v_cndmask_b32_e32 v10, 0, v14, vcc
	v_add_f32_e32 v10, v10, v18
	v_and_b32_e32 v36, 0x7f800000, v10
	v_cmp_ne_u64_e32 vcc, s[56:57], v[36:37]
	s_and_saveexec_b64 s[20:21], vcc
	s_xor_b64 s[88:89], exec, s[20:21]
	s_cbranch_execz .LBB2_791
; %bb.778:                              ;   in Loop: Header=BB2_579 Depth=2
	v_and_b32_e32 v36, 0x7fffffff, v10
	v_cmp_gt_u64_e32 vcc, s[58:59], v[36:37]
	v_and_b32_sdwa v18, v10, s52 dst_sel:DWORD dst_unused:UNUSED_PAD src0_sel:BYTE_3 src1_sel:DWORD
                                        ; implicit-def: $vgpr46
	s_and_saveexec_b64 s[20:21], vcc
	s_xor_b64 s[90:91], exec, s[20:21]
	s_cbranch_execz .LBB2_788
; %bb.779:                              ;   in Loop: Header=BB2_579 Depth=2
	v_mov_b32_e32 v46, 0
	v_cmp_ne_u32_e32 vcc, 0, v10
	s_and_saveexec_b64 s[92:93], vcc
	s_cbranch_execz .LBB2_787
; %bb.780:                              ;   in Loop: Header=BB2_579 Depth=2
	v_bfe_u32 v19, v10, 23, 8
	v_and_b32_e32 v11, 0x7fffff, v10
	v_cmp_gt_u32_e64 s[20:21], s54, v19
	v_sub_u32_e32 v10, 0x79, v19
	v_cmp_eq_u32_e32 vcc, 0, v19
	v_cndmask_b32_e64 v10, 0, v10, s[20:21]
	v_cndmask_b32_e32 v52, v10, v2, vcc
	v_or_b32_e32 v14, 0x800000, v11
	v_add_u32_e32 v10, 20, v52
	v_cndmask_b32_e32 v36, v14, v11, vcc
	v_lshlrev_b64 v[10:11], v10, -1
	v_add_u32_e32 v14, 19, v52
	v_lshlrev_b64 v[14:15], v14, 1
	v_bfi_b32 v11, v11, 0, 0
	v_bfi_b32 v10, v10, 0, v36
	v_cmp_eq_u64_e64 s[20:21], v[10:11], v[14:15]
	v_lshrrev_b64 v[10:11], v52, v[36:37]
	v_mov_b32_e32 v15, v11
	v_mov_b32_e32 v14, v10
	s_and_saveexec_b64 s[94:95], s[20:21]
; %bb.781:                              ;   in Loop: Header=BB2_579 Depth=2
	v_bfe_u32 v11, v10, 20, 1
	v_add_co_u32_e64 v11, s[20:21], v10, v11
	v_add_co_u32_e64 v14, s[20:21], -1, v11
; %bb.782:                              ;   in Loop: Header=BB2_579 Depth=2
	s_or_b64 exec, exec, s[94:95]
	v_add_u32_e32 v11, 0xffffff81, v19
	v_cndmask_b32_e32 v11, v11, v20, vcc
	v_lshrrev_b32_e32 v15, 23, v10
	v_add3_u32 v19, v52, v11, v15
	v_add_u32_e32 v15, 6, v19
	v_and_b32_e32 v11, 0xfffff, v14
	v_add_u32_e32 v36, v11, v10
	v_cmp_ne_u32_e32 vcc, 0, v15
                                        ; implicit-def: $vgpr10_vgpr11
                                        ; implicit-def: $vgpr14
	s_and_saveexec_b64 s[20:21], vcc
	s_xor_b64 s[20:21], exec, s[20:21]
; %bb.783:                              ;   in Loop: Header=BB2_579 Depth=2
	v_cmp_lt_u64_e32 vcc, s[60:61], v[36:37]
	v_add_u32_e32 v10, 7, v19
	v_cndmask_b32_e32 v14, v15, v10, vcc
	v_cndmask_b32_e64 v10, 0, 1, vcc
	v_lshrrev_b64 v[10:11], v10, v[36:37]
; %bb.784:                              ;   in Loop: Header=BB2_579 Depth=2
	s_andn2_saveexec_b64 s[20:21], s[20:21]
; %bb.785:                              ;   in Loop: Header=BB2_579 Depth=2
	v_mov_b32_e32 v10, v36
	v_bfe_u32 v14, v36, 23, 1
	v_mov_b32_e32 v11, v37
; %bb.786:                              ;   in Loop: Header=BB2_579 Depth=2
	s_or_b64 exec, exec, s[20:21]
	v_lshrrev_b64 v[10:11], 20, v[10:11]
	v_cmp_gt_i32_e32 vcc, 16, v14
	v_cndmask_b32_e32 v11, 0, v11, vcc
	v_cndmask_b32_e32 v10, 7, v10, vcc
	v_cmp_eq_u64_e64 s[20:21], 0, v[10:11]
	v_min_i32_e32 v11, 15, v14
	v_lshlrev_b32_e32 v11, 3, v11
	v_cmp_eq_u32_e32 vcc, 0, v14
	v_and_b32_e32 v11, 0xf8, v11
	v_and_or_b32 v10, v10, 7, v11
	s_and_b64 s[20:21], vcc, s[20:21]
	v_cndmask_b32_e64 v10, v10, 0, s[20:21]
	v_or_b32_e32 v46, v10, v18
.LBB2_787:                              ;   in Loop: Header=BB2_579 Depth=2
	s_or_b64 exec, exec, s[92:93]
                                        ; implicit-def: $vgpr18
.LBB2_788:                              ;   in Loop: Header=BB2_579 Depth=2
	s_andn2_saveexec_b64 s[20:21], s[90:91]
; %bb.789:                              ;   in Loop: Header=BB2_579 Depth=2
	v_or_b32_e32 v46, 0x7e, v18
; %bb.790:                              ;   in Loop: Header=BB2_579 Depth=2
	s_or_b64 exec, exec, s[20:21]
                                        ; implicit-def: $vgpr10
.LBB2_791:                              ;   in Loop: Header=BB2_579 Depth=2
	s_andn2_saveexec_b64 s[20:21], s[88:89]
; %bb.792:                              ;   in Loop: Header=BB2_579 Depth=2
	v_or_b32_sdwa v46, v10, s53 dst_sel:DWORD dst_unused:UNUSED_PAD src0_sel:BYTE_3 src1_sel:DWORD
; %bb.793:                              ;   in Loop: Header=BB2_579 Depth=2
	s_or_b64 exec, exec, s[20:21]
	v_cmp_ne_u16_sdwa s[88:89], v16, v37 src0_sel:BYTE_0 src1_sel:DWORD
	v_mov_b32_e32 v10, 0
	s_and_saveexec_b64 s[20:21], s[88:89]
	s_cbranch_execz .LBB2_799
; %bb.794:                              ;   in Loop: Header=BB2_579 Depth=2
	v_cmp_ne_u16_sdwa s[90:91], v16, s52 src0_sel:BYTE_0 src1_sel:DWORD
	v_bfrev_b32_e32 v10, 1
	s_and_saveexec_b64 s[88:89], s[90:91]
	s_cbranch_execz .LBB2_798
; %bb.795:                              ;   in Loop: Header=BB2_579 Depth=2
	v_and_b32_e32 v11, 0x7f, v16
	v_cmp_ne_u32_e32 vcc, s53, v11
	v_mov_b32_e32 v10, 0x7f800001
	s_and_saveexec_b64 s[90:91], vcc
	s_cbranch_execz .LBB2_797
; %bb.796:                              ;   in Loop: Header=BB2_579 Depth=2
	v_and_b32_e32 v10, 7, v16
	v_ffbh_u32_e32 v10, v10
	v_min_u32_e32 v10, 32, v10
	v_lshrrev_b32_e32 v14, 3, v11
	v_cmp_gt_u32_e32 vcc, 8, v11
	v_subrev_u32_e32 v11, 28, v10
	v_sub_u32_e32 v10, 29, v10
	v_cndmask_b32_e32 v14, v14, v10, vcc
	v_cndmask_b32_e32 v10, 0, v11, vcc
	v_lshlrev_b64 v[10:11], v10, v[16:17]
	v_lshlrev_b32_e32 v11, 24, v16
	v_lshlrev_b32_e32 v10, 20, v10
	v_and_b32_e32 v10, 0x700000, v10
	v_and_b32_e32 v11, 0x80000000, v11
	v_lshl_add_u32 v14, v14, 23, v3
	v_or3_b32 v10, v11, v14, v10
.LBB2_797:                              ;   in Loop: Header=BB2_579 Depth=2
	s_or_b64 exec, exec, s[90:91]
.LBB2_798:                              ;   in Loop: Header=BB2_579 Depth=2
	s_or_b64 exec, exec, s[88:89]
.LBB2_799:                              ;   in Loop: Header=BB2_579 Depth=2
	s_or_b64 exec, exec, s[20:21]
	v_cmp_gt_i16_sdwa s[88:89], v12, s53 src0_sel:BYTE_0 src1_sel:DWORD
	s_mov_b64 s[20:21], 0
	s_and_saveexec_b64 s[90:91], s[88:89]
	s_xor_b64 s[88:89], exec, s[90:91]
	s_cbranch_execz .LBB2_1017
; %bb.800:                              ;   in Loop: Header=BB2_579 Depth=2
	v_cmp_eq_u16_sdwa s[92:93], v12, s52 src0_sel:BYTE_0 src1_sel:DWORD
	s_mov_b64 s[20:21], -1
	s_and_saveexec_b64 s[90:91], s[92:93]
; %bb.801:                              ;   in Loop: Header=BB2_579 Depth=2
	s_xor_b64 s[20:21], exec, -1
; %bb.802:                              ;   in Loop: Header=BB2_579 Depth=2
	s_or_b64 exec, exec, s[90:91]
	s_and_b64 s[20:21], s[20:21], exec
	s_or_saveexec_b64 s[88:89], s[88:89]
	v_bfrev_b32_e32 v11, 1
	s_xor_b64 exec, exec, s[88:89]
	s_cbranch_execnz .LBB2_1018
.LBB2_803:                              ;   in Loop: Header=BB2_579 Depth=2
	s_or_b64 exec, exec, s[88:89]
	s_and_saveexec_b64 s[88:89], s[20:21]
	s_cbranch_execz .LBB2_805
.LBB2_804:                              ;   in Loop: Header=BB2_579 Depth=2
	v_and_b32_e32 v11, 7, v12
	v_ffbh_u32_e32 v11, v11
	v_and_b32_e32 v18, 0x7f, v12
	v_min_u32_e32 v11, 32, v11
	v_bfe_u32 v14, v12, 3, 4
	v_subrev_u32_e32 v15, 28, v11
	v_sub_u32_e32 v11, 29, v11
	v_cmp_gt_u32_e32 vcc, 8, v18
	v_cndmask_b32_e32 v11, v14, v11, vcc
	v_cndmask_b32_e32 v14, 0, v15, vcc
	v_lshlrev_b64 v[14:15], v14, v[12:13]
	v_lshlrev_b32_e32 v15, 24, v12
	v_lshlrev_b32_e32 v14, 20, v14
	v_and_b32_e32 v14, 0x700000, v14
	v_and_b32_e32 v15, 0x80000000, v15
	v_lshl_add_u32 v11, v11, 23, v3
	v_or3_b32 v11, v15, v11, v14
	v_cmp_ne_u32_e32 vcc, s53, v18
	v_cndmask_b32_e32 v11, v56, v11, vcc
.LBB2_805:                              ;   in Loop: Header=BB2_579 Depth=2
	s_or_b64 exec, exec, s[88:89]
	v_add_f32_e32 v10, v10, v11
	v_and_b32_e32 v36, 0x7f800000, v10
	v_cmp_ne_u64_e32 vcc, s[56:57], v[36:37]
                                        ; implicit-def: $vgpr58
	s_and_saveexec_b64 s[20:21], vcc
	s_xor_b64 s[88:89], exec, s[20:21]
	s_cbranch_execz .LBB2_819
; %bb.806:                              ;   in Loop: Header=BB2_579 Depth=2
	v_and_b32_e32 v36, 0x7fffffff, v10
	v_cmp_gt_u64_e32 vcc, s[58:59], v[36:37]
	v_and_b32_sdwa v18, v10, s52 dst_sel:DWORD dst_unused:UNUSED_PAD src0_sel:BYTE_3 src1_sel:DWORD
                                        ; implicit-def: $vgpr58
	s_and_saveexec_b64 s[20:21], vcc
	s_xor_b64 s[90:91], exec, s[20:21]
	s_cbranch_execz .LBB2_816
; %bb.807:                              ;   in Loop: Header=BB2_579 Depth=2
	v_mov_b32_e32 v58, 0
	v_cmp_ne_u32_e32 vcc, 0, v10
	s_and_saveexec_b64 s[92:93], vcc
	s_cbranch_execz .LBB2_815
; %bb.808:                              ;   in Loop: Header=BB2_579 Depth=2
	v_bfe_u32 v19, v10, 23, 8
	v_and_b32_e32 v11, 0x7fffff, v10
	v_cmp_gt_u32_e64 s[20:21], s54, v19
	v_sub_u32_e32 v10, 0x79, v19
	v_cmp_eq_u32_e32 vcc, 0, v19
	v_cndmask_b32_e64 v10, 0, v10, s[20:21]
	v_cndmask_b32_e32 v52, v10, v2, vcc
	v_or_b32_e32 v14, 0x800000, v11
	v_add_u32_e32 v10, 20, v52
	v_cndmask_b32_e32 v36, v14, v11, vcc
	v_lshlrev_b64 v[10:11], v10, -1
	v_add_u32_e32 v14, 19, v52
	v_lshlrev_b64 v[14:15], v14, 1
	v_bfi_b32 v11, v11, 0, 0
	v_bfi_b32 v10, v10, 0, v36
	v_cmp_eq_u64_e64 s[20:21], v[10:11], v[14:15]
	v_lshrrev_b64 v[10:11], v52, v[36:37]
	v_mov_b32_e32 v15, v11
	v_mov_b32_e32 v14, v10
	s_and_saveexec_b64 s[94:95], s[20:21]
; %bb.809:                              ;   in Loop: Header=BB2_579 Depth=2
	v_bfe_u32 v11, v10, 20, 1
	v_add_co_u32_e64 v11, s[20:21], v10, v11
	v_add_co_u32_e64 v14, s[20:21], -1, v11
; %bb.810:                              ;   in Loop: Header=BB2_579 Depth=2
	s_or_b64 exec, exec, s[94:95]
	v_add_u32_e32 v11, 0xffffff81, v19
	v_cndmask_b32_e32 v11, v11, v20, vcc
	v_lshrrev_b32_e32 v15, 23, v10
	v_add3_u32 v19, v52, v11, v15
	v_add_u32_e32 v15, 6, v19
	v_and_b32_e32 v11, 0xfffff, v14
	v_add_u32_e32 v36, v11, v10
	v_cmp_ne_u32_e32 vcc, 0, v15
                                        ; implicit-def: $vgpr10_vgpr11
                                        ; implicit-def: $vgpr14
	s_and_saveexec_b64 s[20:21], vcc
	s_xor_b64 s[20:21], exec, s[20:21]
; %bb.811:                              ;   in Loop: Header=BB2_579 Depth=2
	v_cmp_lt_u64_e32 vcc, s[60:61], v[36:37]
	v_add_u32_e32 v10, 7, v19
	v_cndmask_b32_e32 v14, v15, v10, vcc
	v_cndmask_b32_e64 v10, 0, 1, vcc
	v_lshrrev_b64 v[10:11], v10, v[36:37]
; %bb.812:                              ;   in Loop: Header=BB2_579 Depth=2
	s_andn2_saveexec_b64 s[20:21], s[20:21]
; %bb.813:                              ;   in Loop: Header=BB2_579 Depth=2
	v_mov_b32_e32 v10, v36
	v_bfe_u32 v14, v36, 23, 1
	v_mov_b32_e32 v11, v37
; %bb.814:                              ;   in Loop: Header=BB2_579 Depth=2
	s_or_b64 exec, exec, s[20:21]
	v_lshrrev_b64 v[10:11], 20, v[10:11]
	v_cmp_gt_i32_e32 vcc, 16, v14
	v_cndmask_b32_e32 v11, 0, v11, vcc
	v_cndmask_b32_e32 v10, 7, v10, vcc
	v_cmp_eq_u64_e64 s[20:21], 0, v[10:11]
	v_min_i32_e32 v11, 15, v14
	v_lshlrev_b32_e32 v11, 3, v11
	v_cmp_eq_u32_e32 vcc, 0, v14
	v_and_b32_e32 v11, 0xf8, v11
	v_and_or_b32 v10, v10, 7, v11
	s_and_b64 s[20:21], vcc, s[20:21]
	v_cndmask_b32_e64 v10, v10, 0, s[20:21]
	v_or_b32_e32 v58, v10, v18
.LBB2_815:                              ;   in Loop: Header=BB2_579 Depth=2
	s_or_b64 exec, exec, s[92:93]
                                        ; implicit-def: $vgpr18
.LBB2_816:                              ;   in Loop: Header=BB2_579 Depth=2
	s_andn2_saveexec_b64 s[20:21], s[90:91]
; %bb.817:                              ;   in Loop: Header=BB2_579 Depth=2
	v_or_b32_e32 v58, 0x7e, v18
; %bb.818:                              ;   in Loop: Header=BB2_579 Depth=2
	s_or_b64 exec, exec, s[20:21]
                                        ; implicit-def: $vgpr10
.LBB2_819:                              ;   in Loop: Header=BB2_579 Depth=2
	s_andn2_saveexec_b64 s[20:21], s[88:89]
; %bb.820:                              ;   in Loop: Header=BB2_579 Depth=2
	v_or_b32_sdwa v58, v10, s53 dst_sel:DWORD dst_unused:UNUSED_PAD src0_sel:BYTE_3 src1_sel:DWORD
; %bb.821:                              ;   in Loop: Header=BB2_579 Depth=2
	s_or_b64 exec, exec, s[20:21]
	v_lshrrev_b16_e32 v10, 8, v16
	v_cmp_ne_u16_e32 vcc, 0, v10
	v_mov_b32_e32 v11, 0
	s_and_saveexec_b64 s[20:21], vcc
	s_cbranch_execz .LBB2_827
; %bb.822:                              ;   in Loop: Header=BB2_579 Depth=2
	v_cmp_ne_u16_e32 vcc, s52, v10
	v_bfrev_b32_e32 v11, 1
	s_and_saveexec_b64 s[88:89], vcc
	s_cbranch_execz .LBB2_826
; %bb.823:                              ;   in Loop: Header=BB2_579 Depth=2
	v_and_b32_e32 v14, 0x7f, v10
	v_cmp_ne_u32_e32 vcc, s53, v14
	v_mov_b32_e32 v11, 0x7f800001
	s_and_saveexec_b64 s[90:91], vcc
	s_cbranch_execz .LBB2_825
; %bb.824:                              ;   in Loop: Header=BB2_579 Depth=2
	v_and_b32_e32 v15, 7, v10
	v_ffbh_u32_e32 v11, v15
	v_lshrrev_b32_e32 v18, 3, v14
	v_cmp_gt_u32_e32 vcc, 8, v14
	v_min_u32_e32 v14, 32, v11
	v_subrev_u32_e32 v11, 28, v14
	v_lshlrev_b64 v[10:11], v11, v[10:11]
	v_sub_u32_e32 v11, 29, v14
	v_and_b32_e32 v10, 7, v10
	v_cndmask_b32_e32 v11, v18, v11, vcc
	v_cndmask_b32_e32 v10, v15, v10, vcc
	v_lshlrev_b32_e32 v14, 16, v16
	v_lshlrev_b32_e32 v10, 20, v10
	v_and_b32_e32 v14, 0x80000000, v14
	v_lshl_add_u32 v11, v11, 23, v3
	v_or3_b32 v11, v14, v11, v10
.LBB2_825:                              ;   in Loop: Header=BB2_579 Depth=2
	s_or_b64 exec, exec, s[90:91]
.LBB2_826:                              ;   in Loop: Header=BB2_579 Depth=2
	s_or_b64 exec, exec, s[88:89]
.LBB2_827:                              ;   in Loop: Header=BB2_579 Depth=2
	s_or_b64 exec, exec, s[20:21]
	v_lshrrev_b16_e32 v36, 8, v12
	v_cmp_lt_i16_e32 vcc, s53, v36
	s_mov_b64 s[20:21], 0
	s_and_saveexec_b64 s[88:89], vcc
	s_xor_b64 s[88:89], exec, s[88:89]
	s_cbranch_execz .LBB2_1019
; %bb.828:                              ;   in Loop: Header=BB2_579 Depth=2
	v_cmp_eq_u16_e32 vcc, s52, v36
	s_mov_b64 s[20:21], -1
	s_and_saveexec_b64 s[90:91], vcc
; %bb.829:                              ;   in Loop: Header=BB2_579 Depth=2
	s_xor_b64 s[20:21], exec, -1
; %bb.830:                              ;   in Loop: Header=BB2_579 Depth=2
	s_or_b64 exec, exec, s[90:91]
	s_and_b64 s[20:21], s[20:21], exec
	s_or_saveexec_b64 s[88:89], s[88:89]
	v_bfrev_b32_e32 v10, 1
	s_xor_b64 exec, exec, s[88:89]
	s_cbranch_execnz .LBB2_1020
.LBB2_831:                              ;   in Loop: Header=BB2_579 Depth=2
	s_or_b64 exec, exec, s[88:89]
	s_and_saveexec_b64 s[88:89], s[20:21]
	s_cbranch_execz .LBB2_833
.LBB2_832:                              ;   in Loop: Header=BB2_579 Depth=2
	v_and_b32_e32 v10, 7, v36
	v_ffbh_u32_e32 v14, v10
	v_min_u32_e32 v24, 32, v14
	v_subrev_u32_e32 v14, 28, v24
	v_lshlrev_b64 v[14:15], v14, v[36:37]
	v_and_b32_e32 v18, 0x7f, v36
	v_bfe_u32 v19, v36, 3, 4
	v_sub_u32_e32 v15, 29, v24
	v_and_b32_e32 v14, 7, v14
	v_cmp_gt_u32_e32 vcc, 8, v18
	v_cndmask_b32_e32 v15, v19, v15, vcc
	v_cndmask_b32_e32 v10, v10, v14, vcc
	v_lshlrev_b32_e32 v14, 24, v36
	v_lshlrev_b32_e32 v10, 20, v10
	v_and_b32_e32 v14, 0x80000000, v14
	v_lshl_add_u32 v15, v15, 23, v3
	v_or3_b32 v10, v14, v15, v10
	v_cmp_ne_u32_e32 vcc, s53, v18
	v_cndmask_b32_e32 v10, v56, v10, vcc
.LBB2_833:                              ;   in Loop: Header=BB2_579 Depth=2
	s_or_b64 exec, exec, s[88:89]
	v_add_f32_e32 v10, v11, v10
	v_and_b32_e32 v36, 0x7f800000, v10
	v_cmp_ne_u64_e32 vcc, s[56:57], v[36:37]
                                        ; implicit-def: $vgpr18
	s_and_saveexec_b64 s[20:21], vcc
	s_xor_b64 s[88:89], exec, s[20:21]
	s_cbranch_execz .LBB2_847
; %bb.834:                              ;   in Loop: Header=BB2_579 Depth=2
	v_and_b32_e32 v36, 0x7fffffff, v10
	v_cmp_gt_u64_e32 vcc, s[58:59], v[36:37]
	v_and_b32_sdwa v19, v10, s52 dst_sel:DWORD dst_unused:UNUSED_PAD src0_sel:BYTE_3 src1_sel:DWORD
                                        ; implicit-def: $vgpr18
	s_and_saveexec_b64 s[20:21], vcc
	s_xor_b64 s[90:91], exec, s[20:21]
	s_cbranch_execz .LBB2_844
; %bb.835:                              ;   in Loop: Header=BB2_579 Depth=2
	v_mov_b32_e32 v18, 0
	v_cmp_ne_u32_e32 vcc, 0, v10
	s_and_saveexec_b64 s[92:93], vcc
	s_cbranch_execz .LBB2_843
; %bb.836:                              ;   in Loop: Header=BB2_579 Depth=2
	v_bfe_u32 v18, v10, 23, 8
	v_and_b32_e32 v11, 0x7fffff, v10
	v_cmp_gt_u32_e64 s[20:21], s54, v18
	v_sub_u32_e32 v10, 0x79, v18
	v_cmp_eq_u32_e32 vcc, 0, v18
	v_cndmask_b32_e64 v10, 0, v10, s[20:21]
	v_cndmask_b32_e32 v52, v10, v2, vcc
	v_or_b32_e32 v14, 0x800000, v11
	v_add_u32_e32 v10, 20, v52
	v_cndmask_b32_e32 v36, v14, v11, vcc
	v_lshlrev_b64 v[10:11], v10, -1
	v_add_u32_e32 v14, 19, v52
	v_lshlrev_b64 v[14:15], v14, 1
	v_bfi_b32 v11, v11, 0, 0
	v_bfi_b32 v10, v10, 0, v36
	v_cmp_eq_u64_e64 s[20:21], v[10:11], v[14:15]
	v_lshrrev_b64 v[10:11], v52, v[36:37]
	v_mov_b32_e32 v15, v11
	v_mov_b32_e32 v14, v10
	s_and_saveexec_b64 s[94:95], s[20:21]
; %bb.837:                              ;   in Loop: Header=BB2_579 Depth=2
	v_bfe_u32 v11, v10, 20, 1
	v_add_co_u32_e64 v11, s[20:21], v10, v11
	v_add_co_u32_e64 v14, s[20:21], -1, v11
; %bb.838:                              ;   in Loop: Header=BB2_579 Depth=2
	s_or_b64 exec, exec, s[94:95]
	v_add_u32_e32 v11, 0xffffff81, v18
	v_cndmask_b32_e32 v11, v11, v20, vcc
	v_lshrrev_b32_e32 v15, 23, v10
	v_add3_u32 v18, v52, v11, v15
	v_add_u32_e32 v15, 6, v18
	v_and_b32_e32 v11, 0xfffff, v14
	v_add_u32_e32 v36, v11, v10
	v_cmp_ne_u32_e32 vcc, 0, v15
                                        ; implicit-def: $vgpr10_vgpr11
                                        ; implicit-def: $vgpr14
	s_and_saveexec_b64 s[20:21], vcc
	s_xor_b64 s[20:21], exec, s[20:21]
; %bb.839:                              ;   in Loop: Header=BB2_579 Depth=2
	v_cmp_lt_u64_e32 vcc, s[60:61], v[36:37]
	v_add_u32_e32 v10, 7, v18
	v_cndmask_b32_e32 v14, v15, v10, vcc
	v_cndmask_b32_e64 v10, 0, 1, vcc
	v_lshrrev_b64 v[10:11], v10, v[36:37]
; %bb.840:                              ;   in Loop: Header=BB2_579 Depth=2
	s_andn2_saveexec_b64 s[20:21], s[20:21]
; %bb.841:                              ;   in Loop: Header=BB2_579 Depth=2
	v_mov_b32_e32 v10, v36
	v_bfe_u32 v14, v36, 23, 1
	v_mov_b32_e32 v11, v37
; %bb.842:                              ;   in Loop: Header=BB2_579 Depth=2
	s_or_b64 exec, exec, s[20:21]
	v_lshrrev_b64 v[10:11], 20, v[10:11]
	v_cmp_gt_i32_e32 vcc, 16, v14
	v_cndmask_b32_e32 v11, 0, v11, vcc
	v_cndmask_b32_e32 v10, 7, v10, vcc
	v_cmp_eq_u64_e64 s[20:21], 0, v[10:11]
	v_min_i32_e32 v11, 15, v14
	v_lshlrev_b32_e32 v11, 3, v11
	v_cmp_eq_u32_e32 vcc, 0, v14
	v_and_b32_e32 v11, 0xf8, v11
	v_and_or_b32 v10, v10, 7, v11
	s_and_b64 s[20:21], vcc, s[20:21]
	v_cndmask_b32_e64 v10, v10, 0, s[20:21]
	v_or_b32_e32 v18, v10, v19
.LBB2_843:                              ;   in Loop: Header=BB2_579 Depth=2
	s_or_b64 exec, exec, s[92:93]
                                        ; implicit-def: $vgpr19
.LBB2_844:                              ;   in Loop: Header=BB2_579 Depth=2
	s_andn2_saveexec_b64 s[20:21], s[90:91]
; %bb.845:                              ;   in Loop: Header=BB2_579 Depth=2
	v_or_b32_e32 v18, 0x7e, v19
; %bb.846:                              ;   in Loop: Header=BB2_579 Depth=2
	s_or_b64 exec, exec, s[20:21]
                                        ; implicit-def: $vgpr10
.LBB2_847:                              ;   in Loop: Header=BB2_579 Depth=2
	s_andn2_saveexec_b64 s[20:21], s[88:89]
; %bb.848:                              ;   in Loop: Header=BB2_579 Depth=2
	v_or_b32_sdwa v18, v10, s53 dst_sel:DWORD dst_unused:UNUSED_PAD src0_sel:BYTE_3 src1_sel:DWORD
; %bb.849:                              ;   in Loop: Header=BB2_579 Depth=2
	s_or_b64 exec, exec, s[20:21]
	v_lshrrev_b32_e32 v10, 16, v16
	v_cmp_ne_u16_sdwa s[88:89], v10, v37 src0_sel:BYTE_0 src1_sel:DWORD
	v_mov_b32_e32 v11, 0
	s_and_saveexec_b64 s[20:21], s[88:89]
	s_cbranch_execz .LBB2_855
; %bb.850:                              ;   in Loop: Header=BB2_579 Depth=2
	v_cmp_ne_u16_sdwa s[90:91], v10, s52 src0_sel:BYTE_0 src1_sel:DWORD
	v_bfrev_b32_e32 v11, 1
	s_and_saveexec_b64 s[88:89], s[90:91]
	s_cbranch_execz .LBB2_854
; %bb.851:                              ;   in Loop: Header=BB2_579 Depth=2
	v_bfe_u32 v14, v16, 16, 7
	v_cmp_ne_u32_e32 vcc, s53, v14
	v_mov_b32_e32 v11, 0x7f800001
	s_and_saveexec_b64 s[90:91], vcc
	s_cbranch_execz .LBB2_853
; %bb.852:                              ;   in Loop: Header=BB2_579 Depth=2
	v_and_b32_e32 v11, 7, v10
	v_lshrrev_b32_e32 v19, 3, v14
	v_cmp_gt_u32_e32 vcc, 8, v14
	v_ffbh_u32_e32 v14, v11
	v_min_u32_e32 v24, 32, v14
	v_subrev_u32_e32 v14, 28, v24
	v_lshlrev_b64 v[14:15], v14, v[10:11]
	v_sub_u32_e32 v15, 29, v24
	v_and_b32_e32 v14, 7, v14
	v_cndmask_b32_e32 v15, v19, v15, vcc
	v_cndmask_b32_e32 v11, v11, v14, vcc
	v_lshlrev_b32_e32 v10, 24, v10
	v_lshlrev_b32_e32 v11, 20, v11
	v_and_b32_e32 v10, 0x80000000, v10
	v_lshl_add_u32 v14, v15, 23, v3
	v_or3_b32 v11, v10, v14, v11
.LBB2_853:                              ;   in Loop: Header=BB2_579 Depth=2
	s_or_b64 exec, exec, s[90:91]
.LBB2_854:                              ;   in Loop: Header=BB2_579 Depth=2
	s_or_b64 exec, exec, s[88:89]
.LBB2_855:                              ;   in Loop: Header=BB2_579 Depth=2
	s_or_b64 exec, exec, s[20:21]
	v_lshrrev_b32_e32 v10, 16, v12
	v_cmp_gt_i16_sdwa s[88:89], v10, s53 src0_sel:BYTE_0 src1_sel:DWORD
	s_mov_b64 s[20:21], 0
	s_and_saveexec_b64 s[90:91], s[88:89]
	s_xor_b64 s[88:89], exec, s[90:91]
	s_cbranch_execz .LBB2_1021
; %bb.856:                              ;   in Loop: Header=BB2_579 Depth=2
	v_cmp_eq_u16_sdwa s[92:93], v10, s52 src0_sel:BYTE_0 src1_sel:DWORD
	s_mov_b64 s[20:21], -1
	s_and_saveexec_b64 s[90:91], s[92:93]
; %bb.857:                              ;   in Loop: Header=BB2_579 Depth=2
	s_xor_b64 s[20:21], exec, -1
; %bb.858:                              ;   in Loop: Header=BB2_579 Depth=2
	s_or_b64 exec, exec, s[90:91]
	s_and_b64 s[20:21], s[20:21], exec
	s_or_saveexec_b64 s[88:89], s[88:89]
	v_bfrev_b32_e32 v14, 1
	s_xor_b64 exec, exec, s[88:89]
	s_cbranch_execnz .LBB2_1022
.LBB2_859:                              ;   in Loop: Header=BB2_579 Depth=2
	s_or_b64 exec, exec, s[88:89]
	s_and_saveexec_b64 s[88:89], s[20:21]
	s_cbranch_execz .LBB2_861
.LBB2_860:                              ;   in Loop: Header=BB2_579 Depth=2
	v_and_b32_e32 v19, 7, v10
	v_ffbh_u32_e32 v14, v19
	v_min_u32_e32 v36, 32, v14
	v_subrev_u32_e32 v14, 28, v36
	v_lshlrev_b64 v[14:15], v14, v[10:11]
	v_and_b32_e32 v24, 0x7f, v10
	v_bfe_u32 v25, v10, 3, 4
	v_sub_u32_e32 v15, 29, v36
	v_and_b32_e32 v14, 7, v14
	v_cmp_gt_u32_e32 vcc, 8, v24
	v_cndmask_b32_e32 v15, v25, v15, vcc
	v_cndmask_b32_e32 v14, v19, v14, vcc
	v_lshlrev_b32_e32 v10, 24, v10
	v_lshlrev_b32_e32 v14, 20, v14
	v_and_b32_e32 v10, 0x80000000, v10
	v_lshl_add_u32 v15, v15, 23, v3
	v_or3_b32 v10, v10, v15, v14
	v_cmp_ne_u32_e32 vcc, s53, v24
	v_cndmask_b32_e32 v14, v56, v10, vcc
.LBB2_861:                              ;   in Loop: Header=BB2_579 Depth=2
	s_or_b64 exec, exec, s[88:89]
	v_add_f32_e32 v10, v11, v14
	v_and_b32_e32 v36, 0x7f800000, v10
	v_cmp_ne_u64_e32 vcc, s[56:57], v[36:37]
                                        ; implicit-def: $vgpr19
	s_and_saveexec_b64 s[20:21], vcc
	s_xor_b64 s[88:89], exec, s[20:21]
	s_cbranch_execz .LBB2_875
; %bb.862:                              ;   in Loop: Header=BB2_579 Depth=2
	v_and_b32_e32 v36, 0x7fffffff, v10
	v_cmp_gt_u64_e32 vcc, s[58:59], v[36:37]
	v_and_b32_sdwa v52, v10, s52 dst_sel:DWORD dst_unused:UNUSED_PAD src0_sel:BYTE_3 src1_sel:DWORD
                                        ; implicit-def: $vgpr19
	s_and_saveexec_b64 s[20:21], vcc
	s_xor_b64 s[90:91], exec, s[20:21]
	s_cbranch_execz .LBB2_872
; %bb.863:                              ;   in Loop: Header=BB2_579 Depth=2
	v_mov_b32_e32 v19, 0
	v_cmp_ne_u32_e32 vcc, 0, v10
	s_and_saveexec_b64 s[92:93], vcc
	s_cbranch_execz .LBB2_871
; %bb.864:                              ;   in Loop: Header=BB2_579 Depth=2
	v_bfe_u32 v19, v10, 23, 8
	v_and_b32_e32 v11, 0x7fffff, v10
	v_cmp_gt_u32_e64 s[20:21], s54, v19
	v_sub_u32_e32 v10, 0x79, v19
	v_cmp_eq_u32_e32 vcc, 0, v19
	v_cndmask_b32_e64 v10, 0, v10, s[20:21]
	v_cndmask_b32_e32 v53, v10, v2, vcc
	v_or_b32_e32 v14, 0x800000, v11
	v_add_u32_e32 v10, 20, v53
	v_cndmask_b32_e32 v36, v14, v11, vcc
	v_lshlrev_b64 v[10:11], v10, -1
	v_add_u32_e32 v14, 19, v53
	v_lshlrev_b64 v[14:15], v14, 1
	v_bfi_b32 v11, v11, 0, 0
	v_bfi_b32 v10, v10, 0, v36
	v_cmp_eq_u64_e64 s[20:21], v[10:11], v[14:15]
	v_lshrrev_b64 v[10:11], v53, v[36:37]
	v_mov_b32_e32 v15, v11
	v_mov_b32_e32 v14, v10
	s_and_saveexec_b64 s[94:95], s[20:21]
; %bb.865:                              ;   in Loop: Header=BB2_579 Depth=2
	v_bfe_u32 v11, v10, 20, 1
	v_add_co_u32_e64 v11, s[20:21], v10, v11
	v_add_co_u32_e64 v14, s[20:21], -1, v11
; %bb.866:                              ;   in Loop: Header=BB2_579 Depth=2
	s_or_b64 exec, exec, s[94:95]
	v_add_u32_e32 v11, 0xffffff81, v19
	v_cndmask_b32_e32 v11, v11, v20, vcc
	v_lshrrev_b32_e32 v15, 23, v10
	v_add3_u32 v19, v53, v11, v15
	v_add_u32_e32 v15, 6, v19
	v_and_b32_e32 v11, 0xfffff, v14
	v_add_u32_e32 v36, v11, v10
	v_cmp_ne_u32_e32 vcc, 0, v15
                                        ; implicit-def: $vgpr10_vgpr11
                                        ; implicit-def: $vgpr14
	s_and_saveexec_b64 s[20:21], vcc
	s_xor_b64 s[20:21], exec, s[20:21]
; %bb.867:                              ;   in Loop: Header=BB2_579 Depth=2
	v_cmp_lt_u64_e32 vcc, s[60:61], v[36:37]
	v_add_u32_e32 v10, 7, v19
	v_cndmask_b32_e32 v14, v15, v10, vcc
	v_cndmask_b32_e64 v10, 0, 1, vcc
	v_lshrrev_b64 v[10:11], v10, v[36:37]
; %bb.868:                              ;   in Loop: Header=BB2_579 Depth=2
	s_andn2_saveexec_b64 s[20:21], s[20:21]
; %bb.869:                              ;   in Loop: Header=BB2_579 Depth=2
	v_mov_b32_e32 v10, v36
	v_bfe_u32 v14, v36, 23, 1
	v_mov_b32_e32 v11, v37
; %bb.870:                              ;   in Loop: Header=BB2_579 Depth=2
	s_or_b64 exec, exec, s[20:21]
	v_lshrrev_b64 v[10:11], 20, v[10:11]
	v_cmp_gt_i32_e32 vcc, 16, v14
	v_cndmask_b32_e32 v11, 0, v11, vcc
	v_cndmask_b32_e32 v10, 7, v10, vcc
	v_cmp_eq_u64_e64 s[20:21], 0, v[10:11]
	v_min_i32_e32 v11, 15, v14
	v_lshlrev_b32_e32 v11, 3, v11
	v_cmp_eq_u32_e32 vcc, 0, v14
	v_and_b32_e32 v11, 0xf8, v11
	v_and_or_b32 v10, v10, 7, v11
	s_and_b64 s[20:21], vcc, s[20:21]
	v_cndmask_b32_e64 v10, v10, 0, s[20:21]
	v_or_b32_e32 v19, v10, v52
.LBB2_871:                              ;   in Loop: Header=BB2_579 Depth=2
	s_or_b64 exec, exec, s[92:93]
                                        ; implicit-def: $vgpr52
.LBB2_872:                              ;   in Loop: Header=BB2_579 Depth=2
	s_andn2_saveexec_b64 s[20:21], s[90:91]
; %bb.873:                              ;   in Loop: Header=BB2_579 Depth=2
	v_or_b32_e32 v19, 0x7e, v52
; %bb.874:                              ;   in Loop: Header=BB2_579 Depth=2
	s_or_b64 exec, exec, s[20:21]
                                        ; implicit-def: $vgpr10
.LBB2_875:                              ;   in Loop: Header=BB2_579 Depth=2
	s_andn2_saveexec_b64 s[20:21], s[88:89]
; %bb.876:                              ;   in Loop: Header=BB2_579 Depth=2
	v_or_b32_sdwa v19, v10, s53 dst_sel:DWORD dst_unused:UNUSED_PAD src0_sel:BYTE_3 src1_sel:DWORD
; %bb.877:                              ;   in Loop: Header=BB2_579 Depth=2
	s_or_b64 exec, exec, s[20:21]
	v_cmp_lt_u32_e32 vcc, s63, v16
	v_mov_b32_e32 v11, 0
	s_and_saveexec_b64 s[20:21], vcc
	s_cbranch_execz .LBB2_883
; %bb.878:                              ;   in Loop: Header=BB2_579 Depth=2
	v_lshrrev_b32_e32 v10, 24, v16
	v_cmp_ne_u32_e32 vcc, s52, v10
	v_bfrev_b32_e32 v11, 1
	s_and_saveexec_b64 s[88:89], vcc
	s_cbranch_execz .LBB2_882
; %bb.879:                              ;   in Loop: Header=BB2_579 Depth=2
	v_bfe_u32 v14, v16, 24, 7
	v_cmp_ne_u32_e32 vcc, s53, v14
	v_mov_b32_e32 v11, 0x7f800001
	s_and_saveexec_b64 s[90:91], vcc
	s_cbranch_execz .LBB2_881
; %bb.880:                              ;   in Loop: Header=BB2_579 Depth=2
	v_and_b32_e32 v11, 7, v10
	v_lshrrev_b32_e32 v24, 3, v14
	v_cmp_gt_u32_e32 vcc, 8, v14
	v_ffbh_u32_e32 v14, v11
	v_min_u32_e32 v25, 32, v14
	v_subrev_u32_e32 v14, 28, v25
	v_lshlrev_b64 v[14:15], v14, v[10:11]
	v_sub_u32_e32 v15, 29, v25
	v_and_b32_e32 v14, 7, v14
	v_cndmask_b32_e32 v15, v24, v15, vcc
	v_cndmask_b32_e32 v11, v11, v14, vcc
	v_lshlrev_b32_e32 v10, 24, v10
	v_lshlrev_b32_e32 v11, 20, v11
	v_and_b32_e32 v10, 0x80000000, v10
	v_lshl_add_u32 v14, v15, 23, v3
	v_or3_b32 v11, v10, v14, v11
.LBB2_881:                              ;   in Loop: Header=BB2_579 Depth=2
	s_or_b64 exec, exec, s[90:91]
.LBB2_882:                              ;   in Loop: Header=BB2_579 Depth=2
	s_or_b64 exec, exec, s[88:89]
.LBB2_883:                              ;   in Loop: Header=BB2_579 Depth=2
	s_or_b64 exec, exec, s[20:21]
	v_bfe_u32 v24, v12, 24, 3
	v_ffbh_u32_e32 v14, v24
	v_min_u32_e32 v52, 32, v14
	v_lshrrev_b32_e32 v10, 24, v12
	v_subrev_u32_e32 v14, 28, v52
	v_lshlrev_b64 v[14:15], v14, v[10:11]
	v_bfe_u32 v25, v12, 24, 7
	v_bfe_u32 v36, v10, 3, 4
	v_sub_u32_e32 v15, 29, v52
	v_and_b32_e32 v14, 7, v14
	v_cmp_gt_u32_e32 vcc, 8, v25
	v_cndmask_b32_e32 v15, v36, v15, vcc
	v_cndmask_b32_e32 v14, v24, v14, vcc
	v_lshlrev_b32_e32 v14, 20, v14
	v_and_b32_e32 v24, 0x80000000, v12
	v_lshl_add_u32 v15, v15, 23, v3
	v_or3_b32 v14, v24, v15, v14
	v_cmp_ne_u32_e32 vcc, s53, v25
	v_cndmask_b32_e32 v14, v56, v14, vcc
	v_cmp_ne_u32_e32 vcc, s52, v10
	v_cndmask_b32_e32 v10, v21, v14, vcc
	v_cmp_lt_u32_e32 vcc, s63, v12
	v_cndmask_b32_e32 v10, 0, v10, vcc
	v_add_f32_e32 v10, v10, v11
	v_and_b32_e32 v36, 0x7f800000, v10
	v_cmp_ne_u64_e32 vcc, s[56:57], v[36:37]
                                        ; implicit-def: $vgpr59
	s_and_saveexec_b64 s[20:21], vcc
	s_xor_b64 s[88:89], exec, s[20:21]
	s_cbranch_execz .LBB2_897
; %bb.884:                              ;   in Loop: Header=BB2_579 Depth=2
	v_and_b32_e32 v36, 0x7fffffff, v10
	v_cmp_gt_u64_e32 vcc, s[58:59], v[36:37]
	v_and_b32_sdwa v52, v10, s52 dst_sel:DWORD dst_unused:UNUSED_PAD src0_sel:BYTE_3 src1_sel:DWORD
                                        ; implicit-def: $vgpr59
	s_and_saveexec_b64 s[20:21], vcc
	s_xor_b64 s[90:91], exec, s[20:21]
	s_cbranch_execz .LBB2_894
; %bb.885:                              ;   in Loop: Header=BB2_579 Depth=2
	v_mov_b32_e32 v59, 0
	v_cmp_ne_u32_e32 vcc, 0, v10
	s_and_saveexec_b64 s[92:93], vcc
	s_cbranch_execz .LBB2_893
; %bb.886:                              ;   in Loop: Header=BB2_579 Depth=2
	v_bfe_u32 v53, v10, 23, 8
	v_and_b32_e32 v11, 0x7fffff, v10
	v_cmp_gt_u32_e64 s[20:21], s54, v53
	v_sub_u32_e32 v10, 0x79, v53
	v_cmp_eq_u32_e32 vcc, 0, v53
	v_cndmask_b32_e64 v10, 0, v10, s[20:21]
	v_cndmask_b32_e32 v44, v10, v2, vcc
	v_or_b32_e32 v14, 0x800000, v11
	v_add_u32_e32 v10, 20, v44
	v_cndmask_b32_e32 v36, v14, v11, vcc
	v_lshlrev_b64 v[10:11], v10, -1
	v_add_u32_e32 v14, 19, v44
	v_lshlrev_b64 v[14:15], v14, 1
	v_bfi_b32 v11, v11, 0, 0
	v_bfi_b32 v10, v10, 0, v36
	v_cmp_eq_u64_e64 s[20:21], v[10:11], v[14:15]
	v_lshrrev_b64 v[10:11], v44, v[36:37]
	v_mov_b32_e32 v15, v11
	v_mov_b32_e32 v14, v10
	s_and_saveexec_b64 s[94:95], s[20:21]
; %bb.887:                              ;   in Loop: Header=BB2_579 Depth=2
	v_bfe_u32 v11, v10, 20, 1
	v_add_co_u32_e64 v11, s[20:21], v10, v11
	v_add_co_u32_e64 v14, s[20:21], -1, v11
; %bb.888:                              ;   in Loop: Header=BB2_579 Depth=2
	s_or_b64 exec, exec, s[94:95]
	v_add_u32_e32 v11, 0xffffff81, v53
	v_cndmask_b32_e32 v11, v11, v20, vcc
	v_lshrrev_b32_e32 v15, 23, v10
	v_add3_u32 v53, v44, v11, v15
	v_add_u32_e32 v15, 6, v53
	v_and_b32_e32 v11, 0xfffff, v14
	v_add_u32_e32 v36, v11, v10
	v_cmp_ne_u32_e32 vcc, 0, v15
                                        ; implicit-def: $vgpr10_vgpr11
                                        ; implicit-def: $vgpr14
	s_and_saveexec_b64 s[20:21], vcc
	s_xor_b64 s[20:21], exec, s[20:21]
; %bb.889:                              ;   in Loop: Header=BB2_579 Depth=2
	v_cmp_lt_u64_e32 vcc, s[60:61], v[36:37]
	v_add_u32_e32 v10, 7, v53
	v_cndmask_b32_e32 v14, v15, v10, vcc
	v_cndmask_b32_e64 v10, 0, 1, vcc
	v_lshrrev_b64 v[10:11], v10, v[36:37]
; %bb.890:                              ;   in Loop: Header=BB2_579 Depth=2
	s_andn2_saveexec_b64 s[20:21], s[20:21]
; %bb.891:                              ;   in Loop: Header=BB2_579 Depth=2
	v_mov_b32_e32 v10, v36
	v_bfe_u32 v14, v36, 23, 1
	v_mov_b32_e32 v11, v37
; %bb.892:                              ;   in Loop: Header=BB2_579 Depth=2
	s_or_b64 exec, exec, s[20:21]
	v_lshrrev_b64 v[10:11], 20, v[10:11]
	v_cmp_gt_i32_e32 vcc, 16, v14
	v_cndmask_b32_e32 v11, 0, v11, vcc
	v_cndmask_b32_e32 v10, 7, v10, vcc
	v_cmp_eq_u64_e64 s[20:21], 0, v[10:11]
	v_min_i32_e32 v11, 15, v14
	v_lshlrev_b32_e32 v11, 3, v11
	v_cmp_eq_u32_e32 vcc, 0, v14
	v_and_b32_e32 v11, 0xf8, v11
	v_and_or_b32 v10, v10, 7, v11
	s_and_b64 s[20:21], vcc, s[20:21]
	v_cndmask_b32_e64 v10, v10, 0, s[20:21]
	v_or_b32_e32 v59, v10, v52
.LBB2_893:                              ;   in Loop: Header=BB2_579 Depth=2
	s_or_b64 exec, exec, s[92:93]
                                        ; implicit-def: $vgpr52
.LBB2_894:                              ;   in Loop: Header=BB2_579 Depth=2
	s_andn2_saveexec_b64 s[20:21], s[90:91]
; %bb.895:                              ;   in Loop: Header=BB2_579 Depth=2
	v_or_b32_e32 v59, 0x7e, v52
; %bb.896:                              ;   in Loop: Header=BB2_579 Depth=2
	s_or_b64 exec, exec, s[20:21]
                                        ; implicit-def: $vgpr10
.LBB2_897:                              ;   in Loop: Header=BB2_579 Depth=2
	s_andn2_saveexec_b64 s[20:21], s[88:89]
; %bb.898:                              ;   in Loop: Header=BB2_579 Depth=2
	v_or_b32_sdwa v59, v10, s53 dst_sel:DWORD dst_unused:UNUSED_PAD src0_sel:BYTE_3 src1_sel:DWORD
; %bb.899:                              ;   in Loop: Header=BB2_579 Depth=2
	s_or_b64 exec, exec, s[20:21]
	v_mov_b32_e32 v36, v17
	v_cmp_ne_u16_sdwa s[88:89], v17, v37 src0_sel:BYTE_0 src1_sel:DWORD
	v_mov_b32_e32 v14, 0
	s_and_saveexec_b64 s[20:21], s[88:89]
	s_cbranch_execz .LBB2_905
; %bb.900:                              ;   in Loop: Header=BB2_579 Depth=2
	v_cmp_ne_u16_sdwa s[90:91], v17, s52 src0_sel:BYTE_0 src1_sel:DWORD
	v_bfrev_b32_e32 v14, 1
	s_and_saveexec_b64 s[88:89], s[90:91]
	s_cbranch_execz .LBB2_904
; %bb.901:                              ;   in Loop: Header=BB2_579 Depth=2
	v_and_b32_e32 v10, 0x7f, v17
	v_cmp_ne_u32_e32 vcc, s53, v10
	v_mov_b32_e32 v14, 0x7f800001
	s_and_saveexec_b64 s[90:91], vcc
	s_cbranch_execz .LBB2_903
; %bb.902:                              ;   in Loop: Header=BB2_579 Depth=2
	v_and_b32_e32 v11, 7, v17
	v_lshrrev_b32_e32 v14, 3, v10
	v_cmp_gt_u32_e32 vcc, 8, v10
	v_ffbh_u32_e32 v10, v11
	v_min_u32_e32 v10, 32, v10
	v_subrev_u32_e32 v11, 28, v10
	v_sub_u32_e32 v10, 29, v10
	v_cndmask_b32_e32 v14, v14, v10, vcc
	v_cndmask_b32_e32 v10, 0, v11, vcc
	v_lshlrev_b64 v[10:11], v10, v[36:37]
	v_lshlrev_b32_e32 v11, 24, v36
	v_lshlrev_b32_e32 v10, 20, v10
	v_and_b32_e32 v10, 0x700000, v10
	v_and_b32_e32 v11, 0x80000000, v11
	v_lshl_add_u32 v14, v14, 23, v3
	v_or3_b32 v14, v11, v14, v10
.LBB2_903:                              ;   in Loop: Header=BB2_579 Depth=2
	s_or_b64 exec, exec, s[90:91]
.LBB2_904:                              ;   in Loop: Header=BB2_579 Depth=2
	s_or_b64 exec, exec, s[88:89]
.LBB2_905:                              ;   in Loop: Header=BB2_579 Depth=2
	s_or_b64 exec, exec, s[20:21]
	v_cmp_gt_i16_sdwa s[88:89], v13, s53 src0_sel:BYTE_0 src1_sel:DWORD
	s_mov_b64 s[20:21], 0
	s_and_saveexec_b64 s[90:91], s[88:89]
	s_xor_b64 s[88:89], exec, s[90:91]
	s_cbranch_execz .LBB2_909
; %bb.906:                              ;   in Loop: Header=BB2_579 Depth=2
	v_cmp_eq_u16_sdwa s[92:93], v13, s52 src0_sel:BYTE_0 src1_sel:DWORD
	s_mov_b64 s[20:21], -1
	s_and_saveexec_b64 s[90:91], s[92:93]
; %bb.907:                              ;   in Loop: Header=BB2_579 Depth=2
	s_xor_b64 s[20:21], exec, -1
; %bb.908:                              ;   in Loop: Header=BB2_579 Depth=2
	s_or_b64 exec, exec, s[90:91]
	s_and_b64 s[20:21], s[20:21], exec
.LBB2_909:                              ;   in Loop: Header=BB2_579 Depth=2
	s_or_saveexec_b64 s[88:89], s[88:89]
	v_bfrev_b32_e32 v15, 1
	s_xor_b64 exec, exec, s[88:89]
; %bb.910:                              ;   in Loop: Header=BB2_579 Depth=2
	v_cmp_ne_u16_sdwa s[90:91], v13, v37 src0_sel:BYTE_0 src1_sel:DWORD
	s_andn2_b64 s[20:21], s[20:21], exec
	s_and_b64 s[90:91], s[90:91], exec
	v_mov_b32_e32 v15, 0
	s_or_b64 s[20:21], s[20:21], s[90:91]
; %bb.911:                              ;   in Loop: Header=BB2_579 Depth=2
	s_or_b64 exec, exec, s[88:89]
	v_mov_b32_e32 v10, v13
	v_mov_b32_e32 v11, v37
	s_and_saveexec_b64 s[88:89], s[20:21]
	s_cbranch_execz .LBB2_913
; %bb.912:                              ;   in Loop: Header=BB2_579 Depth=2
	v_and_b32_e32 v15, 7, v13
	v_ffbh_u32_e32 v15, v15
	v_and_b32_e32 v52, 0x7f, v13
	v_min_u32_e32 v15, 32, v15
	v_bfe_u32 v24, v13, 3, 4
	v_subrev_u32_e32 v25, 28, v15
	v_sub_u32_e32 v15, 29, v15
	v_cmp_gt_u32_e32 vcc, 8, v52
	v_cndmask_b32_e32 v15, v24, v15, vcc
	v_cndmask_b32_e32 v24, 0, v25, vcc
	v_lshlrev_b64 v[24:25], v24, v[10:11]
	v_lshl_add_u32 v15, v15, 23, v3
	v_lshlrev_b32_e32 v11, 20, v24
	v_lshlrev_b32_e32 v24, 24, v10
	v_and_b32_e32 v11, 0x700000, v11
	v_and_b32_e32 v24, 0x80000000, v24
	v_or3_b32 v11, v24, v15, v11
	v_cmp_ne_u32_e32 vcc, s53, v52
	v_cndmask_b32_e32 v15, v56, v11, vcc
.LBB2_913:                              ;   in Loop: Header=BB2_579 Depth=2
	s_or_b64 exec, exec, s[88:89]
	v_add_f32_e32 v14, v14, v15
	v_and_b32_e32 v24, 0x7f800000, v14
	v_mov_b32_e32 v25, v37
	v_cmp_ne_u64_e32 vcc, s[56:57], v[24:25]
                                        ; implicit-def: $vgpr44
	s_and_saveexec_b64 s[20:21], vcc
	s_xor_b64 s[88:89], exec, s[20:21]
	s_cbranch_execz .LBB2_927
; %bb.914:                              ;   in Loop: Header=BB2_579 Depth=2
	v_and_b32_e32 v24, 0x7fffffff, v14
	v_mov_b32_e32 v25, v37
	v_cmp_gt_u64_e32 vcc, s[58:59], v[24:25]
	v_and_b32_sdwa v11, v14, s52 dst_sel:DWORD dst_unused:UNUSED_PAD src0_sel:BYTE_3 src1_sel:DWORD
                                        ; implicit-def: $vgpr44
	s_and_saveexec_b64 s[20:21], vcc
	s_xor_b64 s[90:91], exec, s[20:21]
	s_cbranch_execz .LBB2_924
; %bb.915:                              ;   in Loop: Header=BB2_579 Depth=2
	v_mov_b32_e32 v44, 0
	v_cmp_ne_u32_e32 vcc, 0, v14
	s_and_saveexec_b64 s[92:93], vcc
	s_cbranch_execz .LBB2_923
; %bb.916:                              ;   in Loop: Header=BB2_579 Depth=2
	v_bfe_u32 v52, v14, 23, 8
	v_and_b32_e32 v15, 0x7fffff, v14
	v_cmp_gt_u32_e64 s[20:21], s54, v52
	v_sub_u32_e32 v14, 0x79, v52
	v_cmp_eq_u32_e32 vcc, 0, v52
	v_cndmask_b32_e64 v14, 0, v14, s[20:21]
	v_or_b32_e32 v24, 0x800000, v15
	v_cndmask_b32_e32 v53, v14, v2, vcc
	v_cndmask_b32_e32 v14, v24, v15, vcc
	v_add_u32_e32 v24, 20, v53
	v_lshlrev_b64 v[24:25], v24, -1
	v_mov_b32_e32 v15, v37
	v_add_u32_e32 v44, 19, v53
	v_bfi_b32 v24, v24, 0, v14
	v_lshlrev_b64 v[44:45], v44, 1
	v_lshrrev_b64 v[14:15], v53, v[14:15]
	v_bfi_b32 v25, v25, 0, 0
	v_cmp_eq_u64_e64 s[20:21], v[24:25], v[44:45]
	v_mov_b32_e32 v45, v15
	v_mov_b32_e32 v44, v14
	s_and_saveexec_b64 s[94:95], s[20:21]
; %bb.917:                              ;   in Loop: Header=BB2_579 Depth=2
	v_bfe_u32 v15, v14, 20, 1
	v_add_co_u32_e64 v15, s[20:21], v14, v15
	v_add_co_u32_e64 v44, s[20:21], -1, v15
; %bb.918:                              ;   in Loop: Header=BB2_579 Depth=2
	s_or_b64 exec, exec, s[94:95]
	v_add_u32_e32 v15, 0xffffff81, v52
	v_cndmask_b32_e32 v15, v15, v20, vcc
	v_lshrrev_b32_e32 v24, 23, v14
	v_add3_u32 v45, v53, v15, v24
	v_add_u32_e32 v53, 6, v45
	v_and_b32_e32 v15, 0xfffff, v44
	v_add_u32_e32 v14, v15, v14
	v_mov_b32_e32 v15, v37
	v_cmp_ne_u32_e32 vcc, 0, v53
                                        ; implicit-def: $vgpr52
	s_and_saveexec_b64 s[20:21], vcc
	s_xor_b64 s[20:21], exec, s[20:21]
; %bb.919:                              ;   in Loop: Header=BB2_579 Depth=2
	v_cmp_lt_u64_e32 vcc, s[60:61], v[14:15]
	v_add_u32_e32 v24, 7, v45
	v_cndmask_b32_e32 v52, v53, v24, vcc
	v_cndmask_b32_e64 v24, 0, 1, vcc
	v_lshrrev_b64 v[14:15], v24, v[14:15]
; %bb.920:                              ;   in Loop: Header=BB2_579 Depth=2
	s_andn2_saveexec_b64 s[20:21], s[20:21]
; %bb.921:                              ;   in Loop: Header=BB2_579 Depth=2
	v_bfe_u32 v52, v14, 23, 1
; %bb.922:                              ;   in Loop: Header=BB2_579 Depth=2
	s_or_b64 exec, exec, s[20:21]
	v_lshrrev_b64 v[14:15], 20, v[14:15]
	v_cmp_gt_i32_e32 vcc, 16, v52
	v_cndmask_b32_e32 v15, 0, v15, vcc
	v_cndmask_b32_e32 v14, 7, v14, vcc
	v_cmp_eq_u64_e64 s[20:21], 0, v[14:15]
	v_min_i32_e32 v15, 15, v52
	v_lshlrev_b32_e32 v15, 3, v15
	v_cmp_eq_u32_e32 vcc, 0, v52
	v_and_b32_e32 v15, 0xf8, v15
	v_and_or_b32 v14, v14, 7, v15
	s_and_b64 s[20:21], vcc, s[20:21]
	v_cndmask_b32_e64 v14, v14, 0, s[20:21]
	v_or_b32_e32 v44, v14, v11
.LBB2_923:                              ;   in Loop: Header=BB2_579 Depth=2
	s_or_b64 exec, exec, s[92:93]
                                        ; implicit-def: $vgpr11
.LBB2_924:                              ;   in Loop: Header=BB2_579 Depth=2
	s_andn2_saveexec_b64 s[20:21], s[90:91]
; %bb.925:                              ;   in Loop: Header=BB2_579 Depth=2
	v_or_b32_e32 v44, 0x7e, v11
; %bb.926:                              ;   in Loop: Header=BB2_579 Depth=2
	s_or_b64 exec, exec, s[20:21]
                                        ; implicit-def: $vgpr14
.LBB2_927:                              ;   in Loop: Header=BB2_579 Depth=2
	s_andn2_saveexec_b64 s[20:21], s[88:89]
; %bb.928:                              ;   in Loop: Header=BB2_579 Depth=2
	v_or_b32_sdwa v44, v14, s53 dst_sel:DWORD dst_unused:UNUSED_PAD src0_sel:BYTE_3 src1_sel:DWORD
; %bb.929:                              ;   in Loop: Header=BB2_579 Depth=2
	s_or_b64 exec, exec, s[20:21]
	v_lshrrev_b16_e32 v11, 8, v36
	v_cmp_ne_u16_e32 vcc, 0, v11
	v_mov_b32_e32 v14, 0
	s_and_saveexec_b64 s[20:21], vcc
	s_cbranch_execz .LBB2_935
; %bb.930:                              ;   in Loop: Header=BB2_579 Depth=2
	v_cmp_ne_u16_e32 vcc, s52, v11
	v_bfrev_b32_e32 v14, 1
	s_and_saveexec_b64 s[88:89], vcc
	s_cbranch_execz .LBB2_934
; %bb.931:                              ;   in Loop: Header=BB2_579 Depth=2
	v_and_b32_e32 v15, 0x7f, v11
	v_cmp_ne_u32_e32 vcc, s53, v15
	v_mov_b32_e32 v14, 0x7f800001
	s_and_saveexec_b64 s[90:91], vcc
	s_cbranch_execz .LBB2_933
; %bb.932:                              ;   in Loop: Header=BB2_579 Depth=2
	v_and_b32_e32 v24, 7, v11
	v_ffbh_u32_e32 v14, v24
	v_min_u32_e32 v52, 32, v14
	v_subrev_u32_e32 v14, 28, v52
	v_lshrrev_b32_e32 v25, 3, v15
	v_cmp_gt_u32_e32 vcc, 8, v15
	v_lshlrev_b64 v[14:15], v14, v[11:12]
	v_sub_u32_e32 v11, 29, v52
	v_and_b32_e32 v14, 7, v14
	v_cndmask_b32_e32 v11, v25, v11, vcc
	v_cndmask_b32_e32 v14, v24, v14, vcc
	v_lshlrev_b32_e32 v15, 16, v36
	v_lshlrev_b32_e32 v14, 20, v14
	v_and_b32_e32 v15, 0x80000000, v15
	v_lshl_add_u32 v11, v11, 23, v3
	v_or3_b32 v14, v15, v11, v14
.LBB2_933:                              ;   in Loop: Header=BB2_579 Depth=2
	s_or_b64 exec, exec, s[90:91]
.LBB2_934:                              ;   in Loop: Header=BB2_579 Depth=2
	s_or_b64 exec, exec, s[88:89]
.LBB2_935:                              ;   in Loop: Header=BB2_579 Depth=2
	s_or_b64 exec, exec, s[20:21]
	v_lshrrev_b16_e32 v36, 8, v10
	v_cmp_lt_i16_e32 vcc, s53, v36
	s_mov_b64 s[20:21], 0
	s_and_saveexec_b64 s[88:89], vcc
	s_xor_b64 s[88:89], exec, s[88:89]
	s_cbranch_execz .LBB2_1023
; %bb.936:                              ;   in Loop: Header=BB2_579 Depth=2
	v_cmp_eq_u16_e32 vcc, s52, v36
	s_mov_b64 s[20:21], -1
	s_and_saveexec_b64 s[90:91], vcc
; %bb.937:                              ;   in Loop: Header=BB2_579 Depth=2
	s_xor_b64 s[20:21], exec, -1
; %bb.938:                              ;   in Loop: Header=BB2_579 Depth=2
	s_or_b64 exec, exec, s[90:91]
	s_and_b64 s[20:21], s[20:21], exec
	s_or_saveexec_b64 s[88:89], s[88:89]
	v_bfrev_b32_e32 v10, 1
	s_xor_b64 exec, exec, s[88:89]
	s_cbranch_execnz .LBB2_1024
.LBB2_939:                              ;   in Loop: Header=BB2_579 Depth=2
	s_or_b64 exec, exec, s[88:89]
	s_and_saveexec_b64 s[88:89], s[20:21]
	s_cbranch_execz .LBB2_941
.LBB2_940:                              ;   in Loop: Header=BB2_579 Depth=2
	v_and_b32_e32 v15, 7, v36
	v_ffbh_u32_e32 v10, v15
	v_min_u32_e32 v52, 32, v10
	v_subrev_u32_e32 v10, 28, v52
	v_lshlrev_b64 v[10:11], v10, v[36:37]
	v_and_b32_e32 v24, 0x7f, v36
	v_bfe_u32 v25, v36, 3, 4
	v_sub_u32_e32 v11, 29, v52
	v_and_b32_e32 v10, 7, v10
	v_cmp_gt_u32_e32 vcc, 8, v24
	v_cndmask_b32_e32 v11, v25, v11, vcc
	v_cndmask_b32_e32 v10, v15, v10, vcc
	v_lshlrev_b32_e32 v15, 24, v36
	v_lshlrev_b32_e32 v10, 20, v10
	v_and_b32_e32 v15, 0x80000000, v15
	v_lshl_add_u32 v11, v11, 23, v3
	v_or3_b32 v10, v15, v11, v10
	v_cmp_ne_u32_e32 vcc, s53, v24
	v_cndmask_b32_e32 v10, v56, v10, vcc
.LBB2_941:                              ;   in Loop: Header=BB2_579 Depth=2
	s_or_b64 exec, exec, s[88:89]
	v_add_f32_e32 v10, v14, v10
	v_and_b32_e32 v36, 0x7f800000, v10
	v_cmp_ne_u64_e32 vcc, s[56:57], v[36:37]
                                        ; implicit-def: $vgpr45
	s_and_saveexec_b64 s[20:21], vcc
	s_xor_b64 s[88:89], exec, s[20:21]
	s_cbranch_execz .LBB2_955
; %bb.942:                              ;   in Loop: Header=BB2_579 Depth=2
	v_and_b32_e32 v36, 0x7fffffff, v10
	v_cmp_gt_u64_e32 vcc, s[58:59], v[36:37]
	v_and_b32_sdwa v52, v10, s52 dst_sel:DWORD dst_unused:UNUSED_PAD src0_sel:BYTE_3 src1_sel:DWORD
                                        ; implicit-def: $vgpr45
	s_and_saveexec_b64 s[20:21], vcc
	s_xor_b64 s[90:91], exec, s[20:21]
	s_cbranch_execz .LBB2_952
; %bb.943:                              ;   in Loop: Header=BB2_579 Depth=2
	v_mov_b32_e32 v45, 0
	v_cmp_ne_u32_e32 vcc, 0, v10
	s_and_saveexec_b64 s[92:93], vcc
	s_cbranch_execz .LBB2_951
; %bb.944:                              ;   in Loop: Header=BB2_579 Depth=2
	v_bfe_u32 v53, v10, 23, 8
	v_and_b32_e32 v11, 0x7fffff, v10
	v_cmp_gt_u32_e64 s[20:21], s54, v53
	v_sub_u32_e32 v10, 0x79, v53
	v_cmp_eq_u32_e32 vcc, 0, v53
	v_cndmask_b32_e64 v10, 0, v10, s[20:21]
	v_cndmask_b32_e32 v45, v10, v2, vcc
	v_or_b32_e32 v14, 0x800000, v11
	v_add_u32_e32 v10, 20, v45
	v_cndmask_b32_e32 v36, v14, v11, vcc
	v_lshlrev_b64 v[10:11], v10, -1
	v_add_u32_e32 v14, 19, v45
	v_lshlrev_b64 v[14:15], v14, 1
	v_bfi_b32 v11, v11, 0, 0
	v_bfi_b32 v10, v10, 0, v36
	v_cmp_eq_u64_e64 s[20:21], v[10:11], v[14:15]
	v_lshrrev_b64 v[10:11], v45, v[36:37]
	v_mov_b32_e32 v15, v11
	v_mov_b32_e32 v14, v10
	s_and_saveexec_b64 s[94:95], s[20:21]
; %bb.945:                              ;   in Loop: Header=BB2_579 Depth=2
	v_bfe_u32 v11, v10, 20, 1
	v_add_co_u32_e64 v11, s[20:21], v10, v11
	v_add_co_u32_e64 v14, s[20:21], -1, v11
; %bb.946:                              ;   in Loop: Header=BB2_579 Depth=2
	s_or_b64 exec, exec, s[94:95]
	v_add_u32_e32 v11, 0xffffff81, v53
	v_cndmask_b32_e32 v11, v11, v20, vcc
	v_lshrrev_b32_e32 v15, 23, v10
	v_add3_u32 v53, v45, v11, v15
	v_add_u32_e32 v15, 6, v53
	v_and_b32_e32 v11, 0xfffff, v14
	v_add_u32_e32 v36, v11, v10
	v_cmp_ne_u32_e32 vcc, 0, v15
                                        ; implicit-def: $vgpr10_vgpr11
                                        ; implicit-def: $vgpr14
	s_and_saveexec_b64 s[20:21], vcc
	s_xor_b64 s[20:21], exec, s[20:21]
; %bb.947:                              ;   in Loop: Header=BB2_579 Depth=2
	v_cmp_lt_u64_e32 vcc, s[60:61], v[36:37]
	v_add_u32_e32 v10, 7, v53
	v_cndmask_b32_e32 v14, v15, v10, vcc
	v_cndmask_b32_e64 v10, 0, 1, vcc
	v_lshrrev_b64 v[10:11], v10, v[36:37]
; %bb.948:                              ;   in Loop: Header=BB2_579 Depth=2
	s_andn2_saveexec_b64 s[20:21], s[20:21]
; %bb.949:                              ;   in Loop: Header=BB2_579 Depth=2
	v_mov_b32_e32 v10, v36
	v_bfe_u32 v14, v36, 23, 1
	v_mov_b32_e32 v11, v37
; %bb.950:                              ;   in Loop: Header=BB2_579 Depth=2
	s_or_b64 exec, exec, s[20:21]
	v_lshrrev_b64 v[10:11], 20, v[10:11]
	v_cmp_gt_i32_e32 vcc, 16, v14
	v_cndmask_b32_e32 v11, 0, v11, vcc
	v_cndmask_b32_e32 v10, 7, v10, vcc
	v_cmp_eq_u64_e64 s[20:21], 0, v[10:11]
	v_min_i32_e32 v11, 15, v14
	v_lshlrev_b32_e32 v11, 3, v11
	v_cmp_eq_u32_e32 vcc, 0, v14
	v_and_b32_e32 v11, 0xf8, v11
	v_and_or_b32 v10, v10, 7, v11
	s_and_b64 s[20:21], vcc, s[20:21]
	v_cndmask_b32_e64 v10, v10, 0, s[20:21]
	v_or_b32_e32 v45, v10, v52
.LBB2_951:                              ;   in Loop: Header=BB2_579 Depth=2
	s_or_b64 exec, exec, s[92:93]
                                        ; implicit-def: $vgpr52
.LBB2_952:                              ;   in Loop: Header=BB2_579 Depth=2
	s_andn2_saveexec_b64 s[20:21], s[90:91]
; %bb.953:                              ;   in Loop: Header=BB2_579 Depth=2
	v_or_b32_e32 v45, 0x7e, v52
; %bb.954:                              ;   in Loop: Header=BB2_579 Depth=2
	s_or_b64 exec, exec, s[20:21]
                                        ; implicit-def: $vgpr10
.LBB2_955:                              ;   in Loop: Header=BB2_579 Depth=2
	s_andn2_saveexec_b64 s[20:21], s[88:89]
; %bb.956:                              ;   in Loop: Header=BB2_579 Depth=2
	v_or_b32_sdwa v45, v10, s53 dst_sel:DWORD dst_unused:UNUSED_PAD src0_sel:BYTE_3 src1_sel:DWORD
; %bb.957:                              ;   in Loop: Header=BB2_579 Depth=2
	s_or_b64 exec, exec, s[20:21]
	v_lshrrev_b32_e32 v10, 16, v17
	v_cmp_ne_u16_sdwa s[88:89], v10, v37 src0_sel:BYTE_0 src1_sel:DWORD
	v_mov_b32_e32 v11, 0
	s_and_saveexec_b64 s[20:21], s[88:89]
	s_cbranch_execz .LBB2_963
; %bb.958:                              ;   in Loop: Header=BB2_579 Depth=2
	v_cmp_ne_u16_sdwa s[90:91], v10, s52 src0_sel:BYTE_0 src1_sel:DWORD
	v_bfrev_b32_e32 v11, 1
	s_and_saveexec_b64 s[88:89], s[90:91]
	s_cbranch_execz .LBB2_962
; %bb.959:                              ;   in Loop: Header=BB2_579 Depth=2
	v_bfe_u32 v14, v17, 16, 7
	v_cmp_ne_u32_e32 vcc, s53, v14
	v_mov_b32_e32 v11, 0x7f800001
	s_and_saveexec_b64 s[90:91], vcc
	s_cbranch_execz .LBB2_961
; %bb.960:                              ;   in Loop: Header=BB2_579 Depth=2
	v_and_b32_e32 v11, 7, v10
	v_lshrrev_b32_e32 v24, 3, v14
	v_cmp_gt_u32_e32 vcc, 8, v14
	v_ffbh_u32_e32 v14, v11
	v_min_u32_e32 v25, 32, v14
	v_subrev_u32_e32 v14, 28, v25
	v_lshlrev_b64 v[14:15], v14, v[10:11]
	v_sub_u32_e32 v15, 29, v25
	v_and_b32_e32 v14, 7, v14
	v_cndmask_b32_e32 v15, v24, v15, vcc
	v_cndmask_b32_e32 v11, v11, v14, vcc
	v_lshlrev_b32_e32 v10, 24, v10
	v_lshlrev_b32_e32 v11, 20, v11
	v_and_b32_e32 v10, 0x80000000, v10
	v_lshl_add_u32 v14, v15, 23, v3
	v_or3_b32 v11, v10, v14, v11
.LBB2_961:                              ;   in Loop: Header=BB2_579 Depth=2
	s_or_b64 exec, exec, s[90:91]
.LBB2_962:                              ;   in Loop: Header=BB2_579 Depth=2
	s_or_b64 exec, exec, s[88:89]
.LBB2_963:                              ;   in Loop: Header=BB2_579 Depth=2
	s_or_b64 exec, exec, s[20:21]
	v_lshrrev_b32_e32 v10, 16, v13
	v_cmp_gt_i16_sdwa s[88:89], v10, s53 src0_sel:BYTE_0 src1_sel:DWORD
	s_mov_b64 s[20:21], 0
	s_and_saveexec_b64 s[90:91], s[88:89]
	s_xor_b64 s[88:89], exec, s[90:91]
	s_cbranch_execz .LBB2_1025
; %bb.964:                              ;   in Loop: Header=BB2_579 Depth=2
	v_cmp_eq_u16_sdwa s[92:93], v10, s52 src0_sel:BYTE_0 src1_sel:DWORD
	s_mov_b64 s[20:21], -1
	s_and_saveexec_b64 s[90:91], s[92:93]
; %bb.965:                              ;   in Loop: Header=BB2_579 Depth=2
	s_xor_b64 s[20:21], exec, -1
; %bb.966:                              ;   in Loop: Header=BB2_579 Depth=2
	s_or_b64 exec, exec, s[90:91]
	s_and_b64 s[20:21], s[20:21], exec
	s_or_saveexec_b64 s[88:89], s[88:89]
	v_bfrev_b32_e32 v14, 1
	s_xor_b64 exec, exec, s[88:89]
	s_cbranch_execnz .LBB2_1026
.LBB2_967:                              ;   in Loop: Header=BB2_579 Depth=2
	s_or_b64 exec, exec, s[88:89]
	s_and_saveexec_b64 s[88:89], s[20:21]
	s_cbranch_execz .LBB2_969
.LBB2_968:                              ;   in Loop: Header=BB2_579 Depth=2
	v_and_b32_e32 v24, 7, v10
	v_ffbh_u32_e32 v14, v24
	v_min_u32_e32 v52, 32, v14
	v_subrev_u32_e32 v14, 28, v52
	v_lshlrev_b64 v[14:15], v14, v[10:11]
	v_and_b32_e32 v25, 0x7f, v10
	v_bfe_u32 v36, v10, 3, 4
	v_sub_u32_e32 v15, 29, v52
	v_and_b32_e32 v14, 7, v14
	v_cmp_gt_u32_e32 vcc, 8, v25
	v_cndmask_b32_e32 v15, v36, v15, vcc
	v_cndmask_b32_e32 v14, v24, v14, vcc
	v_lshlrev_b32_e32 v10, 24, v10
	v_lshlrev_b32_e32 v14, 20, v14
	v_and_b32_e32 v10, 0x80000000, v10
	v_lshl_add_u32 v15, v15, 23, v3
	v_or3_b32 v10, v10, v15, v14
	v_cmp_ne_u32_e32 vcc, s53, v25
	v_cndmask_b32_e32 v14, v56, v10, vcc
.LBB2_969:                              ;   in Loop: Header=BB2_579 Depth=2
	s_or_b64 exec, exec, s[88:89]
	v_add_f32_e32 v10, v11, v14
	v_and_b32_e32 v36, 0x7f800000, v10
	v_cmp_ne_u64_e32 vcc, s[56:57], v[36:37]
                                        ; implicit-def: $vgpr14
	s_and_saveexec_b64 s[20:21], vcc
	s_xor_b64 s[88:89], exec, s[20:21]
	s_cbranch_execz .LBB2_983
; %bb.970:                              ;   in Loop: Header=BB2_579 Depth=2
	v_and_b32_e32 v36, 0x7fffffff, v10
	v_cmp_gt_u64_e32 vcc, s[58:59], v[36:37]
	v_and_b32_sdwa v52, v10, s52 dst_sel:DWORD dst_unused:UNUSED_PAD src0_sel:BYTE_3 src1_sel:DWORD
                                        ; implicit-def: $vgpr14
	s_and_saveexec_b64 s[20:21], vcc
	s_xor_b64 s[90:91], exec, s[20:21]
	s_cbranch_execz .LBB2_980
; %bb.971:                              ;   in Loop: Header=BB2_579 Depth=2
	v_mov_b32_e32 v14, 0
	v_cmp_ne_u32_e32 vcc, 0, v10
	s_and_saveexec_b64 s[92:93], vcc
	s_cbranch_execz .LBB2_979
; %bb.972:                              ;   in Loop: Header=BB2_579 Depth=2
	v_bfe_u32 v53, v10, 23, 8
	v_and_b32_e32 v11, 0x7fffff, v10
	v_cmp_gt_u32_e64 s[20:21], s54, v53
	v_sub_u32_e32 v10, 0x79, v53
	v_cmp_eq_u32_e32 vcc, 0, v53
	v_cndmask_b32_e64 v10, 0, v10, s[20:21]
	v_cndmask_b32_e32 v60, v10, v2, vcc
	v_or_b32_e32 v14, 0x800000, v11
	v_add_u32_e32 v10, 20, v60
	v_cndmask_b32_e32 v36, v14, v11, vcc
	v_lshlrev_b64 v[10:11], v10, -1
	v_add_u32_e32 v14, 19, v60
	v_lshlrev_b64 v[14:15], v14, 1
	v_bfi_b32 v11, v11, 0, 0
	v_bfi_b32 v10, v10, 0, v36
	v_cmp_eq_u64_e64 s[20:21], v[10:11], v[14:15]
	v_lshrrev_b64 v[10:11], v60, v[36:37]
	v_mov_b32_e32 v15, v11
	v_mov_b32_e32 v14, v10
	s_and_saveexec_b64 s[94:95], s[20:21]
; %bb.973:                              ;   in Loop: Header=BB2_579 Depth=2
	v_bfe_u32 v11, v10, 20, 1
	v_add_co_u32_e64 v11, s[20:21], v10, v11
	v_add_co_u32_e64 v14, s[20:21], -1, v11
; %bb.974:                              ;   in Loop: Header=BB2_579 Depth=2
	s_or_b64 exec, exec, s[94:95]
	v_add_u32_e32 v11, 0xffffff81, v53
	v_cndmask_b32_e32 v11, v11, v20, vcc
	v_lshrrev_b32_e32 v15, 23, v10
	v_add3_u32 v53, v60, v11, v15
	v_add_u32_e32 v15, 6, v53
	v_and_b32_e32 v11, 0xfffff, v14
	v_add_u32_e32 v36, v11, v10
	v_cmp_ne_u32_e32 vcc, 0, v15
                                        ; implicit-def: $vgpr10_vgpr11
                                        ; implicit-def: $vgpr14
	s_and_saveexec_b64 s[20:21], vcc
	s_xor_b64 s[20:21], exec, s[20:21]
; %bb.975:                              ;   in Loop: Header=BB2_579 Depth=2
	v_cmp_lt_u64_e32 vcc, s[60:61], v[36:37]
	v_add_u32_e32 v10, 7, v53
	v_cndmask_b32_e32 v14, v15, v10, vcc
	v_cndmask_b32_e64 v10, 0, 1, vcc
	v_lshrrev_b64 v[10:11], v10, v[36:37]
; %bb.976:                              ;   in Loop: Header=BB2_579 Depth=2
	s_andn2_saveexec_b64 s[20:21], s[20:21]
; %bb.977:                              ;   in Loop: Header=BB2_579 Depth=2
	v_mov_b32_e32 v10, v36
	v_bfe_u32 v14, v36, 23, 1
	v_mov_b32_e32 v11, v37
; %bb.978:                              ;   in Loop: Header=BB2_579 Depth=2
	s_or_b64 exec, exec, s[20:21]
	v_lshrrev_b64 v[10:11], 20, v[10:11]
	v_cmp_gt_i32_e32 vcc, 16, v14
	v_cndmask_b32_e32 v11, 0, v11, vcc
	v_cndmask_b32_e32 v10, 7, v10, vcc
	v_cmp_eq_u64_e64 s[20:21], 0, v[10:11]
	v_min_i32_e32 v11, 15, v14
	v_lshlrev_b32_e32 v11, 3, v11
	v_cmp_eq_u32_e32 vcc, 0, v14
	v_and_b32_e32 v11, 0xf8, v11
	v_and_or_b32 v10, v10, 7, v11
	s_and_b64 s[20:21], vcc, s[20:21]
	v_cndmask_b32_e64 v10, v10, 0, s[20:21]
	v_or_b32_e32 v14, v10, v52
.LBB2_979:                              ;   in Loop: Header=BB2_579 Depth=2
	s_or_b64 exec, exec, s[92:93]
                                        ; implicit-def: $vgpr52
.LBB2_980:                              ;   in Loop: Header=BB2_579 Depth=2
	s_andn2_saveexec_b64 s[20:21], s[90:91]
; %bb.981:                              ;   in Loop: Header=BB2_579 Depth=2
	v_or_b32_e32 v14, 0x7e, v52
; %bb.982:                              ;   in Loop: Header=BB2_579 Depth=2
	s_or_b64 exec, exec, s[20:21]
                                        ; implicit-def: $vgpr10
.LBB2_983:                              ;   in Loop: Header=BB2_579 Depth=2
	s_andn2_saveexec_b64 s[20:21], s[88:89]
; %bb.984:                              ;   in Loop: Header=BB2_579 Depth=2
	v_or_b32_sdwa v14, v10, s53 dst_sel:DWORD dst_unused:UNUSED_PAD src0_sel:BYTE_3 src1_sel:DWORD
; %bb.985:                              ;   in Loop: Header=BB2_579 Depth=2
	s_or_b64 exec, exec, s[20:21]
	v_cmp_lt_u64_e32 vcc, s[62:63], v[16:17]
	v_mov_b32_e32 v11, 0
	s_and_saveexec_b64 s[20:21], vcc
	s_cbranch_execz .LBB2_991
; %bb.986:                              ;   in Loop: Header=BB2_579 Depth=2
	v_lshrrev_b32_e32 v10, 24, v17
	v_cmp_ne_u32_e32 vcc, s52, v10
	v_bfrev_b32_e32 v11, 1
	s_and_saveexec_b64 s[88:89], vcc
	s_cbranch_execz .LBB2_990
; %bb.987:                              ;   in Loop: Header=BB2_579 Depth=2
	v_bfe_u32 v15, v17, 24, 7
	v_cmp_ne_u32_e32 vcc, s53, v15
	v_mov_b32_e32 v11, 0x7f800001
	s_and_saveexec_b64 s[90:91], vcc
	s_cbranch_execz .LBB2_989
; %bb.988:                              ;   in Loop: Header=BB2_579 Depth=2
	v_and_b32_e32 v11, 7, v10
	v_lshrrev_b32_e32 v17, 3, v15
	v_cmp_gt_u32_e32 vcc, 8, v15
	v_ffbh_u32_e32 v15, v11
	v_min_u32_e32 v24, 32, v15
	v_subrev_u32_e32 v15, 28, v24
	v_lshlrev_b64 v[15:16], v15, v[10:11]
	v_sub_u32_e32 v16, 29, v24
	v_and_b32_e32 v15, 7, v15
	v_cndmask_b32_e32 v16, v17, v16, vcc
	v_cndmask_b32_e32 v11, v11, v15, vcc
	v_lshlrev_b32_e32 v10, 24, v10
	v_lshlrev_b32_e32 v11, 20, v11
	v_and_b32_e32 v10, 0x80000000, v10
	v_lshl_add_u32 v15, v16, 23, v3
	v_or3_b32 v11, v10, v15, v11
.LBB2_989:                              ;   in Loop: Header=BB2_579 Depth=2
	s_or_b64 exec, exec, s[90:91]
.LBB2_990:                              ;   in Loop: Header=BB2_579 Depth=2
	s_or_b64 exec, exec, s[88:89]
.LBB2_991:                              ;   in Loop: Header=BB2_579 Depth=2
	s_or_b64 exec, exec, s[20:21]
	v_bfe_u32 v17, v13, 24, 3
	v_ffbh_u32_e32 v15, v17
	v_min_u32_e32 v36, 32, v15
	v_lshrrev_b32_e32 v10, 24, v13
	v_subrev_u32_e32 v15, 28, v36
	v_lshlrev_b64 v[15:16], v15, v[10:11]
	v_bfe_u32 v24, v13, 24, 7
	v_bfe_u32 v25, v10, 3, 4
	v_sub_u32_e32 v16, 29, v36
	v_and_b32_e32 v15, 7, v15
	v_cmp_gt_u32_e32 vcc, 8, v24
	v_cndmask_b32_e32 v16, v25, v16, vcc
	v_cndmask_b32_e32 v15, v17, v15, vcc
	v_lshlrev_b32_e32 v15, 20, v15
	v_and_b32_e32 v17, 0x80000000, v13
	v_lshl_add_u32 v16, v16, 23, v3
	v_or3_b32 v15, v17, v16, v15
	v_cmp_ne_u32_e32 vcc, s53, v24
	v_cndmask_b32_e32 v15, v56, v15, vcc
	v_cmp_ne_u32_e32 vcc, s52, v10
	v_cndmask_b32_e32 v10, v21, v15, vcc
	v_cmp_lt_u64_e32 vcc, s[62:63], v[12:13]
	v_cndmask_b32_e32 v10, 0, v10, vcc
	v_add_f32_e32 v11, v10, v11
	v_and_b32_e32 v36, 0x7f800000, v11
	v_cmp_ne_u64_e32 vcc, s[56:57], v[36:37]
                                        ; implicit-def: $vgpr10
	s_and_saveexec_b64 s[20:21], vcc
	s_xor_b64 s[88:89], exec, s[20:21]
	s_cbranch_execz .LBB2_1005
; %bb.992:                              ;   in Loop: Header=BB2_579 Depth=2
	v_and_b32_e32 v36, 0x7fffffff, v11
	v_cmp_gt_u64_e32 vcc, s[58:59], v[36:37]
	v_and_b32_sdwa v13, v11, s52 dst_sel:DWORD dst_unused:UNUSED_PAD src0_sel:BYTE_3 src1_sel:DWORD
                                        ; implicit-def: $vgpr10
	s_and_saveexec_b64 s[20:21], vcc
	s_xor_b64 s[90:91], exec, s[20:21]
	s_cbranch_execz .LBB2_1002
; %bb.993:                              ;   in Loop: Header=BB2_579 Depth=2
	v_mov_b32_e32 v10, 0
	v_cmp_ne_u32_e32 vcc, 0, v11
	s_and_saveexec_b64 s[92:93], vcc
	s_cbranch_execz .LBB2_1001
; %bb.994:                              ;   in Loop: Header=BB2_579 Depth=2
	v_bfe_u32 v15, v11, 23, 8
	v_and_b32_e32 v10, 0x7fffff, v11
	v_cmp_gt_u32_e64 s[20:21], s54, v15
	v_sub_u32_e32 v11, 0x79, v15
	v_cmp_eq_u32_e32 vcc, 0, v15
	v_cndmask_b32_e64 v11, 0, v11, s[20:21]
	v_or_b32_e32 v12, 0x800000, v10
	v_cndmask_b32_e32 v16, v11, v2, vcc
	v_cndmask_b32_e32 v36, v12, v10, vcc
	v_add_u32_e32 v10, 20, v16
	v_lshlrev_b64 v[10:11], v10, -1
	v_add_u32_e32 v12, 19, v16
	v_lshlrev_b64 v[24:25], v12, 1
	v_bfi_b32 v11, v11, 0, 0
	v_bfi_b32 v10, v10, 0, v36
	v_cmp_eq_u64_e64 s[20:21], v[10:11], v[24:25]
	v_lshrrev_b64 v[10:11], v16, v[36:37]
	v_mov_b32_e32 v12, v11
	v_mov_b32_e32 v11, v10
	s_and_saveexec_b64 s[94:95], s[20:21]
; %bb.995:                              ;   in Loop: Header=BB2_579 Depth=2
	v_bfe_u32 v11, v10, 20, 1
	v_add_co_u32_e64 v11, s[20:21], v10, v11
	v_add_co_u32_e64 v11, s[20:21], -1, v11
; %bb.996:                              ;   in Loop: Header=BB2_579 Depth=2
	s_or_b64 exec, exec, s[94:95]
	v_add_u32_e32 v12, 0xffffff81, v15
	v_cndmask_b32_e32 v12, v12, v20, vcc
	v_lshrrev_b32_e32 v15, 23, v10
	v_add3_u32 v16, v16, v12, v15
	v_add_u32_e32 v15, 6, v16
	v_and_b32_e32 v11, 0xfffff, v11
	v_add_u32_e32 v36, v11, v10
	v_cmp_ne_u32_e32 vcc, 0, v15
                                        ; implicit-def: $vgpr10_vgpr11
                                        ; implicit-def: $vgpr12
	s_and_saveexec_b64 s[20:21], vcc
	s_xor_b64 s[20:21], exec, s[20:21]
; %bb.997:                              ;   in Loop: Header=BB2_579 Depth=2
	v_cmp_lt_u64_e32 vcc, s[60:61], v[36:37]
	v_add_u32_e32 v10, 7, v16
	v_cndmask_b32_e32 v12, v15, v10, vcc
	v_cndmask_b32_e64 v10, 0, 1, vcc
	v_lshrrev_b64 v[10:11], v10, v[36:37]
; %bb.998:                              ;   in Loop: Header=BB2_579 Depth=2
	s_andn2_saveexec_b64 s[20:21], s[20:21]
; %bb.999:                              ;   in Loop: Header=BB2_579 Depth=2
	v_mov_b32_e32 v10, v36
	v_bfe_u32 v12, v36, 23, 1
	v_mov_b32_e32 v11, v37
; %bb.1000:                             ;   in Loop: Header=BB2_579 Depth=2
	s_or_b64 exec, exec, s[20:21]
	v_lshrrev_b64 v[10:11], 20, v[10:11]
	v_cmp_gt_i32_e32 vcc, 16, v12
	v_cndmask_b32_e32 v11, 0, v11, vcc
	v_cndmask_b32_e32 v10, 7, v10, vcc
	v_cmp_eq_u64_e64 s[20:21], 0, v[10:11]
	v_min_i32_e32 v11, 15, v12
	v_lshlrev_b32_e32 v11, 3, v11
	v_cmp_eq_u32_e32 vcc, 0, v12
	v_and_b32_e32 v11, 0xf8, v11
	v_and_or_b32 v10, v10, 7, v11
	s_and_b64 s[20:21], vcc, s[20:21]
	v_cndmask_b32_e64 v10, v10, 0, s[20:21]
	v_or_b32_e32 v10, v10, v13
.LBB2_1001:                             ;   in Loop: Header=BB2_579 Depth=2
	s_or_b64 exec, exec, s[92:93]
                                        ; implicit-def: $vgpr13
.LBB2_1002:                             ;   in Loop: Header=BB2_579 Depth=2
	s_andn2_saveexec_b64 s[20:21], s[90:91]
; %bb.1003:                             ;   in Loop: Header=BB2_579 Depth=2
	v_or_b32_e32 v10, 0x7e, v13
; %bb.1004:                             ;   in Loop: Header=BB2_579 Depth=2
	s_or_b64 exec, exec, s[20:21]
                                        ; implicit-def: $vgpr11
.LBB2_1005:                             ;   in Loop: Header=BB2_579 Depth=2
	s_andn2_saveexec_b64 s[20:21], s[88:89]
	s_cbranch_execz .LBB2_578
; %bb.1006:                             ;   in Loop: Header=BB2_579 Depth=2
	v_or_b32_sdwa v10, v11, s53 dst_sel:DWORD dst_unused:UNUSED_PAD src0_sel:BYTE_3 src1_sel:DWORD
	s_branch .LBB2_578
.LBB2_1007:                             ;   in Loop: Header=BB2_579 Depth=2
	s_or_saveexec_b64 s[88:89], s[88:89]
	v_bfrev_b32_e32 v1, 1
	s_xor_b64 exec, exec, s[88:89]
	s_cbranch_execz .LBB2_589
.LBB2_1008:                             ;   in Loop: Header=BB2_579 Depth=2
	v_cmp_ne_u16_sdwa s[90:91], v10, v37 src0_sel:BYTE_0 src1_sel:DWORD
	s_andn2_b64 s[20:21], s[20:21], exec
	s_and_b64 s[90:91], s[90:91], exec
	v_mov_b32_e32 v1, 0
	s_or_b64 s[20:21], s[20:21], s[90:91]
	s_or_b64 exec, exec, s[88:89]
	s_and_saveexec_b64 s[88:89], s[20:21]
	s_cbranch_execnz .LBB2_590
	s_branch .LBB2_591
.LBB2_1009:                             ;   in Loop: Header=BB2_579 Depth=2
	s_or_saveexec_b64 s[88:89], s[88:89]
	v_bfrev_b32_e32 v18, 1
	s_xor_b64 exec, exec, s[88:89]
	s_cbranch_execz .LBB2_617
.LBB2_1010:                             ;   in Loop: Header=BB2_579 Depth=2
	v_cmp_ne_u16_e32 vcc, 0, v36
	s_andn2_b64 s[20:21], s[20:21], exec
	s_and_b64 s[90:91], vcc, exec
	v_mov_b32_e32 v18, 0
	s_or_b64 s[20:21], s[20:21], s[90:91]
	s_or_b64 exec, exec, s[88:89]
	s_and_saveexec_b64 s[88:89], s[20:21]
	s_cbranch_execnz .LBB2_618
	s_branch .LBB2_619
.LBB2_1011:                             ;   in Loop: Header=BB2_579 Depth=2
	s_or_saveexec_b64 s[88:89], s[88:89]
	v_bfrev_b32_e32 v18, 1
	s_xor_b64 exec, exec, s[88:89]
	s_cbranch_execz .LBB2_645
.LBB2_1012:                             ;   in Loop: Header=BB2_579 Depth=2
	v_cmp_ne_u16_sdwa s[90:91], v30, v37 src0_sel:BYTE_0 src1_sel:DWORD
	s_andn2_b64 s[20:21], s[20:21], exec
	s_and_b64 s[90:91], s[90:91], exec
	v_mov_b32_e32 v18, 0
	s_or_b64 s[20:21], s[20:21], s[90:91]
	s_or_b64 exec, exec, s[88:89]
	s_and_saveexec_b64 s[88:89], s[20:21]
	s_cbranch_execnz .LBB2_646
	s_branch .LBB2_647
.LBB2_1013:                             ;   in Loop: Header=BB2_579 Depth=2
	s_or_saveexec_b64 s[88:89], s[88:89]
	v_bfrev_b32_e32 v18, 1
	s_xor_b64 exec, exec, s[88:89]
	s_cbranch_execz .LBB2_725
.LBB2_1014:                             ;   in Loop: Header=BB2_579 Depth=2
	v_cmp_ne_u16_e32 vcc, 0, v36
	s_andn2_b64 s[20:21], s[20:21], exec
	s_and_b64 s[90:91], vcc, exec
	v_mov_b32_e32 v18, 0
	s_or_b64 s[20:21], s[20:21], s[90:91]
	s_or_b64 exec, exec, s[88:89]
	s_and_saveexec_b64 s[88:89], s[20:21]
	s_cbranch_execnz .LBB2_726
	s_branch .LBB2_727
.LBB2_1015:                             ;   in Loop: Header=BB2_579 Depth=2
	s_or_saveexec_b64 s[88:89], s[88:89]
	v_bfrev_b32_e32 v19, 1
	s_xor_b64 exec, exec, s[88:89]
	s_cbranch_execz .LBB2_753
.LBB2_1016:                             ;   in Loop: Header=BB2_579 Depth=2
	v_cmp_ne_u16_sdwa s[90:91], v30, v37 src0_sel:BYTE_0 src1_sel:DWORD
	s_andn2_b64 s[20:21], s[20:21], exec
	s_and_b64 s[90:91], s[90:91], exec
	v_mov_b32_e32 v19, 0
	s_or_b64 s[20:21], s[20:21], s[90:91]
	s_or_b64 exec, exec, s[88:89]
	s_and_saveexec_b64 s[88:89], s[20:21]
	s_cbranch_execnz .LBB2_754
	s_branch .LBB2_755
.LBB2_1017:                             ;   in Loop: Header=BB2_579 Depth=2
	s_or_saveexec_b64 s[88:89], s[88:89]
	v_bfrev_b32_e32 v11, 1
	s_xor_b64 exec, exec, s[88:89]
	s_cbranch_execz .LBB2_803
.LBB2_1018:                             ;   in Loop: Header=BB2_579 Depth=2
	v_cmp_ne_u16_sdwa s[90:91], v12, v37 src0_sel:BYTE_0 src1_sel:DWORD
	s_andn2_b64 s[20:21], s[20:21], exec
	s_and_b64 s[90:91], s[90:91], exec
	v_mov_b32_e32 v11, 0
	s_or_b64 s[20:21], s[20:21], s[90:91]
	s_or_b64 exec, exec, s[88:89]
	s_and_saveexec_b64 s[88:89], s[20:21]
	s_cbranch_execnz .LBB2_804
	s_branch .LBB2_805
.LBB2_1019:                             ;   in Loop: Header=BB2_579 Depth=2
	s_or_saveexec_b64 s[88:89], s[88:89]
	v_bfrev_b32_e32 v10, 1
	s_xor_b64 exec, exec, s[88:89]
	s_cbranch_execz .LBB2_831
.LBB2_1020:                             ;   in Loop: Header=BB2_579 Depth=2
	v_cmp_ne_u16_e32 vcc, 0, v36
	s_andn2_b64 s[20:21], s[20:21], exec
	s_and_b64 s[90:91], vcc, exec
	v_mov_b32_e32 v10, 0
	s_or_b64 s[20:21], s[20:21], s[90:91]
	s_or_b64 exec, exec, s[88:89]
	s_and_saveexec_b64 s[88:89], s[20:21]
	s_cbranch_execnz .LBB2_832
	s_branch .LBB2_833
.LBB2_1021:                             ;   in Loop: Header=BB2_579 Depth=2
	s_or_saveexec_b64 s[88:89], s[88:89]
	v_bfrev_b32_e32 v14, 1
	s_xor_b64 exec, exec, s[88:89]
	s_cbranch_execz .LBB2_859
.LBB2_1022:                             ;   in Loop: Header=BB2_579 Depth=2
	v_cmp_ne_u16_sdwa s[90:91], v10, v37 src0_sel:BYTE_0 src1_sel:DWORD
	s_andn2_b64 s[20:21], s[20:21], exec
	s_and_b64 s[90:91], s[90:91], exec
	v_mov_b32_e32 v14, 0
	s_or_b64 s[20:21], s[20:21], s[90:91]
	s_or_b64 exec, exec, s[88:89]
	s_and_saveexec_b64 s[88:89], s[20:21]
	s_cbranch_execnz .LBB2_860
	s_branch .LBB2_861
.LBB2_1023:                             ;   in Loop: Header=BB2_579 Depth=2
	s_or_saveexec_b64 s[88:89], s[88:89]
	v_bfrev_b32_e32 v10, 1
	s_xor_b64 exec, exec, s[88:89]
	s_cbranch_execz .LBB2_939
.LBB2_1024:                             ;   in Loop: Header=BB2_579 Depth=2
	v_cmp_ne_u16_e32 vcc, 0, v36
	s_andn2_b64 s[20:21], s[20:21], exec
	s_and_b64 s[90:91], vcc, exec
	v_mov_b32_e32 v10, 0
	s_or_b64 s[20:21], s[20:21], s[90:91]
	s_or_b64 exec, exec, s[88:89]
	s_and_saveexec_b64 s[88:89], s[20:21]
	s_cbranch_execnz .LBB2_940
	s_branch .LBB2_941
.LBB2_1025:                             ;   in Loop: Header=BB2_579 Depth=2
	s_or_saveexec_b64 s[88:89], s[88:89]
	v_bfrev_b32_e32 v14, 1
	s_xor_b64 exec, exec, s[88:89]
	s_cbranch_execz .LBB2_967
.LBB2_1026:                             ;   in Loop: Header=BB2_579 Depth=2
	v_cmp_ne_u16_sdwa s[90:91], v10, v37 src0_sel:BYTE_0 src1_sel:DWORD
	s_andn2_b64 s[20:21], s[20:21], exec
	s_and_b64 s[90:91], s[90:91], exec
	v_mov_b32_e32 v14, 0
	s_or_b64 s[20:21], s[20:21], s[90:91]
	s_or_b64 exec, exec, s[88:89]
	s_and_saveexec_b64 s[88:89], s[20:21]
	s_cbranch_execnz .LBB2_968
	s_branch .LBB2_969
.LBB2_1027:                             ;   in Loop: Header=BB2_49 Depth=1
	s_or_b64 exec, exec, s[78:79]
	buffer_load_dword v55, off, s[0:3], s33 offset:92 ; 4-byte Folded Reload
	buffer_load_dword v52, off, s[0:3], s33 offset:100 ; 4-byte Folded Reload
	;; [unrolled: 1-line block ×11, first 2 shown]
	v_mov_b32_e32 v54, 1
	v_mov_b32_e32 v40, 0xc8
	;; [unrolled: 1-line block ×3, first 2 shown]
.LBB2_1028:                             ;   in Loop: Header=BB2_49 Depth=1
	s_or_b64 exec, exec, s[76:77]
	v_cmp_lt_i32_e32 vcc, 0, v34
	v_cndmask_b32_e32 v0, 0, v61, vcc
	v_sub_u32_e32 v0, v0, v34
	s_mov_b64 s[76:77], exec
	s_waitcnt vmcnt(0)
	v_lshl_add_u32 v0, v0, 6, v1
.LBB2_1029:                             ;   in Loop: Header=BB2_49 Depth=1
	s_or_b64 exec, exec, s[22:23]
	s_and_saveexec_b64 s[22:23], s[76:77]
	s_cbranch_execz .LBB2_1326
.LBB2_1030:                             ;   in Loop: Header=BB2_49 Depth=1
	v_ashrrev_i32_e32 v1, 31, v0
	v_lshrrev_b32_e32 v1, 26, v1
	v_add_u32_e32 v10, v0, v1
	v_ashrrev_i32_e32 v1, 6, v10
	v_mov_b32_e32 v60, v11
	v_lshrrev_b32_e32 v11, 9, v11
	v_sub_u32_e32 v30, v11, v1
	v_cmp_lt_i32_e32 vcc, 0, v30
	s_and_saveexec_b64 s[76:77], vcc
	s_cbranch_execz .LBB2_1290
; %bb.1031:                             ;   in Loop: Header=BB2_49 Depth=1
	v_and_b32_e32 v10, 0xffffffc0, v10
	s_trap 2
	ds_read_b64 v[12:13], v0
	v_sub_u32_e32 v10, v0, v10
	v_lshlrev_b32_e32 v11, 9, v1
	v_add3_u32 v14, v59, v10, v11
	v_ashrrev_i32_e32 v15, 31, v14
	v_add_co_u32_e32 v10, vcc, v14, v18
	v_addc_co_u32_e32 v11, vcc, v15, v19, vcc
	s_waitcnt lgkmcnt(0)
	v_add_co_u32_e32 v12, vcc, v12, v14
	v_addc_co_u32_e32 v13, vcc, v13, v15, vcc
	v_add_co_u32_e32 v16, vcc, 0x1c0, v16
	v_addc_co_u32_e32 v17, vcc, 0, v17, vcc
	v_add_co_u32_e32 v14, vcc, v16, v14
	v_mov_b32_e32 v58, v42
	v_addc_co_u32_e32 v15, vcc, v17, v15, vcc
	s_mov_b64 s[78:79], 0
	s_branch .LBB2_1033
.LBB2_1032:                             ;   in Loop: Header=BB2_1033 Depth=2
	s_or_b64 exec, exec, s[20:21]
	v_add_co_u32_e32 v24, vcc, 0xfffffe40, v14
	v_addc_co_u32_e32 v25, vcc, -1, v15, vcc
	flat_store_byte v[24:25], v34 glc slc
	v_add_co_u32_e32 v24, vcc, 0xfffffe80, v14
	v_addc_co_u32_e32 v25, vcc, -1, v15, vcc
	flat_store_byte v[24:25], v53 glc slc
	;; [unrolled: 3-line block ×7, first 2 shown]
	flat_store_byte v[14:15], v17 glc slc
	buffer_load_dword v16, off, s[0:3], s33 offset:68 ; 4-byte Folded Reload
	v_sub_u32_e32 v30, v30, v61
	s_waitcnt vmcnt(0)
	v_add_co_u32_e32 v10, vcc, v10, v16
	v_addc_co_u32_e32 v11, vcc, 0, v11, vcc
	v_add_co_u32_e32 v12, vcc, v12, v16
	v_addc_co_u32_e32 v13, vcc, 0, v13, vcc
	v_cmp_gt_i32_e32 vcc, 1, v30
	s_or_b64 s[78:79], vcc, s[78:79]
	v_add_co_u32_e32 v14, vcc, v14, v16
	v_addc_co_u32_e32 v15, vcc, 0, v15, vcc
	s_andn2_b64 exec, exec, s[78:79]
	s_cbranch_execz .LBB2_1289
.LBB2_1033:                             ;   Parent Loop BB2_49 Depth=1
                                        ; =>  This Inner Loop Header: Depth=2
	flat_load_ubyte v50, v[10:11] glc slc
	flat_load_ubyte v45, v[10:11] offset:64 glc slc
	flat_load_ubyte v44, v[10:11] offset:128 glc slc
	;; [unrolled: 1-line block ×7, first 2 shown]
	flat_load_ubyte v17, v[12:13] glc slc
	flat_load_ubyte v53, v[12:13] offset:64 glc slc
	flat_load_ubyte v19, v[12:13] offset:128 glc slc
	;; [unrolled: 1-line block ×7, first 2 shown]
	v_mov_b32_e32 v34, 0
	v_mov_b32_e32 v36, 0
	s_waitcnt vmcnt(0) lgkmcnt(0)
	v_cmp_ne_u16_e32 vcc, 0, v50
	s_and_saveexec_b64 s[20:21], vcc
	s_cbranch_execz .LBB2_1039
; %bb.1034:                             ;   in Loop: Header=BB2_1033 Depth=2
	v_cmp_ne_u16_e32 vcc, s52, v50
	v_bfrev_b32_e32 v36, 1
	s_and_saveexec_b64 s[88:89], vcc
	s_cbranch_execz .LBB2_1038
; %bb.1035:                             ;   in Loop: Header=BB2_1033 Depth=2
	v_and_b32_e32 v16, 0xffff, v50
	v_and_b32_e32 v51, 0x7f, v16
	v_cmp_ne_u32_e32 vcc, s53, v51
	v_mov_b32_e32 v36, 0x7f800001
	s_and_saveexec_b64 s[90:91], vcc
	s_cbranch_execz .LBB2_1037
; %bb.1036:                             ;   in Loop: Header=BB2_1033 Depth=2
	v_and_b32_e32 v36, 7, v16
	v_ffbh_u32_e32 v24, v36
	v_lshrrev_b32_e32 v46, 3, v51
	v_cmp_gt_u32_e32 vcc, 8, v51
	v_min_u32_e32 v51, 32, v24
	v_subrev_u32_e32 v24, 28, v51
	v_lshlrev_b64 v[24:25], v24, v[16:17]
	v_sub_u32_e32 v16, 29, v51
	v_and_b32_e32 v24, 7, v24
	v_cndmask_b32_e32 v16, v46, v16, vcc
	v_cndmask_b32_e32 v24, v36, v24, vcc
	v_lshlrev_b32_e32 v25, 24, v50
	v_lshlrev_b32_e32 v24, 20, v24
	v_and_b32_e32 v25, 0x80000000, v25
	v_lshl_add_u32 v16, v16, 23, v3
	v_or3_b32 v36, v25, v16, v24
.LBB2_1037:                             ;   in Loop: Header=BB2_1033 Depth=2
	s_or_b64 exec, exec, s[90:91]
.LBB2_1038:                             ;   in Loop: Header=BB2_1033 Depth=2
	s_or_b64 exec, exec, s[88:89]
.LBB2_1039:                             ;   in Loop: Header=BB2_1033 Depth=2
	s_or_b64 exec, exec, s[20:21]
	v_and_b32_e32 v16, 0xff, v17
	v_cmp_ne_u16_e32 vcc, 0, v16
	s_and_saveexec_b64 s[20:21], vcc
	s_cbranch_execz .LBB2_1045
; %bb.1040:                             ;   in Loop: Header=BB2_1033 Depth=2
	v_cmp_ne_u16_e32 vcc, s52, v16
	v_bfrev_b32_e32 v34, 1
	s_and_saveexec_b64 s[88:89], vcc
	s_cbranch_execz .LBB2_1044
; %bb.1041:                             ;   in Loop: Header=BB2_1033 Depth=2
	v_and_b32_e32 v50, 0x7f, v17
	v_cmp_ne_u32_e32 vcc, s53, v50
	v_mov_b32_e32 v34, 0x7f800001
	s_and_saveexec_b64 s[90:91], vcc
	s_cbranch_execz .LBB2_1043
; %bb.1042:                             ;   in Loop: Header=BB2_1033 Depth=2
	v_and_b32_e32 v34, 7, v16
	v_ffbh_u32_e32 v24, v34
	v_lshrrev_b32_e32 v51, 3, v50
	v_cmp_gt_u32_e32 vcc, 8, v50
	v_min_u32_e32 v50, 32, v24
	v_subrev_u32_e32 v24, 28, v50
	v_lshlrev_b64 v[24:25], v24, v[16:17]
	v_sub_u32_e32 v16, 29, v50
	v_and_b32_e32 v24, 7, v24
	v_cndmask_b32_e32 v16, v51, v16, vcc
	v_cndmask_b32_e32 v24, v34, v24, vcc
	v_lshlrev_b32_e32 v17, 24, v17
	v_lshlrev_b32_e32 v24, 20, v24
	v_and_b32_e32 v17, 0x80000000, v17
	v_lshl_add_u32 v16, v16, 23, v3
	v_or3_b32 v34, v17, v16, v24
.LBB2_1043:                             ;   in Loop: Header=BB2_1033 Depth=2
	s_or_b64 exec, exec, s[90:91]
.LBB2_1044:                             ;   in Loop: Header=BB2_1033 Depth=2
	s_or_b64 exec, exec, s[88:89]
.LBB2_1045:                             ;   in Loop: Header=BB2_1033 Depth=2
	s_or_b64 exec, exec, s[20:21]
	v_add_f32_e32 v16, v36, v34
	v_and_b32_e32 v36, 0x7f800000, v16
	v_cmp_ne_u64_e32 vcc, s[56:57], v[36:37]
                                        ; implicit-def: $vgpr34
	s_and_saveexec_b64 s[20:21], vcc
	s_xor_b64 s[88:89], exec, s[20:21]
	s_cbranch_execz .LBB2_1063
; %bb.1046:                             ;   in Loop: Header=BB2_1033 Depth=2
	v_and_b32_e32 v36, 0x7fffffff, v16
	v_cmp_gt_u64_e32 vcc, s[58:59], v[36:37]
	v_and_b32_sdwa v46, v16, s52 dst_sel:DWORD dst_unused:UNUSED_PAD src0_sel:BYTE_3 src1_sel:DWORD
                                        ; implicit-def: $vgpr34
	s_and_saveexec_b64 s[20:21], vcc
	s_xor_b64 s[90:91], exec, s[20:21]
	s_cbranch_execz .LBB2_1060
; %bb.1047:                             ;   in Loop: Header=BB2_1033 Depth=2
	v_cmp_ne_u32_e32 vcc, 0, v16
	v_mov_b32_e32 v34, 0
	s_and_saveexec_b64 s[92:93], vcc
	s_cbranch_execz .LBB2_1059
; %bb.1048:                             ;   in Loop: Header=BB2_1033 Depth=2
	v_bfe_u32 v34, v16, 23, 8
	v_and_b32_e32 v17, 0x7fffff, v16
	v_cmp_gt_u32_e64 s[20:21], s54, v34
	v_sub_u32_e32 v16, 0x79, v34
	v_cmp_eq_u32_e32 vcc, 0, v34
	v_cndmask_b32_e64 v16, 0, v16, s[20:21]
	v_cndmask_b32_e32 v47, v16, v2, vcc
	v_or_b32_e32 v24, 0x800000, v17
	v_add_u32_e32 v16, 20, v47
	v_cndmask_b32_e32 v36, v24, v17, vcc
	v_lshlrev_b64 v[16:17], v16, -1
	v_add_u32_e32 v24, 19, v47
	v_lshlrev_b64 v[24:25], v24, 1
	v_bfi_b32 v17, v17, 0, 0
	v_bfi_b32 v16, v16, 0, v36
	v_cmp_eq_u64_e64 s[20:21], v[16:17], v[24:25]
	v_lshrrev_b64 v[16:17], v47, v[36:37]
	v_mov_b32_e32 v51, v17
	v_mov_b32_e32 v50, v16
	s_and_saveexec_b64 s[94:95], s[20:21]
; %bb.1049:                             ;   in Loop: Header=BB2_1033 Depth=2
	v_bfe_u32 v17, v16, 20, 1
	v_add_co_u32_e64 v17, s[20:21], v16, v17
	v_add_co_u32_e64 v50, s[20:21], -1, v17
; %bb.1050:                             ;   in Loop: Header=BB2_1033 Depth=2
	s_or_b64 exec, exec, s[94:95]
	v_add_u32_e32 v17, 0xffffff81, v34
	v_cndmask_b32_e32 v17, v17, v20, vcc
	v_lshrrev_b32_e32 v24, 23, v16
	v_add3_u32 v51, v47, v17, v24
	v_add_u32_e32 v34, 6, v51
	v_and_b32_e32 v17, 0xfffff, v50
	v_add_u32_e32 v36, v17, v16
	v_cmp_ne_u32_e32 vcc, 0, v34
                                        ; implicit-def: $vgpr16_vgpr17
                                        ; implicit-def: $vgpr50
	s_and_saveexec_b64 s[20:21], vcc
	s_xor_b64 s[20:21], exec, s[20:21]
; %bb.1051:                             ;   in Loop: Header=BB2_1033 Depth=2
	v_cmp_lt_u64_e32 vcc, s[60:61], v[36:37]
	v_add_u32_e32 v16, 7, v51
	v_cndmask_b32_e32 v50, v34, v16, vcc
	v_cndmask_b32_e64 v16, 0, 1, vcc
	v_lshrrev_b64 v[16:17], v16, v[36:37]
; %bb.1052:                             ;   in Loop: Header=BB2_1033 Depth=2
	s_andn2_saveexec_b64 s[20:21], s[20:21]
; %bb.1053:                             ;   in Loop: Header=BB2_1033 Depth=2
	v_mov_b32_e32 v16, v36
	v_bfe_u32 v50, v36, 23, 1
	v_mov_b32_e32 v17, v37
; %bb.1054:                             ;   in Loop: Header=BB2_1033 Depth=2
	s_or_b64 exec, exec, s[20:21]
	v_lshrrev_b64 v[16:17], 20, v[16:17]
	v_cmp_gt_i32_e32 vcc, 16, v50
	v_cndmask_b32_e32 v17, 0, v17, vcc
	v_cndmask_b32_e32 v16, 7, v16, vcc
	v_cmp_ne_u64_e32 vcc, 0, v[16:17]
	v_cmp_ne_u32_e64 s[20:21], 0, v50
	s_or_b64 s[20:21], s[20:21], vcc
                                        ; implicit-def: $vgpr34
	s_and_saveexec_b64 s[94:95], s[20:21]
	s_xor_b64 s[20:21], exec, s[94:95]
; %bb.1055:                             ;   in Loop: Header=BB2_1033 Depth=2
	v_min_i32_e32 v17, 15, v50
	v_lshl_or_b32 v17, v17, 3, v46
	v_and_or_b32 v34, v16, 7, v17
                                        ; implicit-def: $vgpr46
; %bb.1056:                             ;   in Loop: Header=BB2_1033 Depth=2
	s_andn2_saveexec_b64 s[20:21], s[20:21]
; %bb.1057:                             ;   in Loop: Header=BB2_1033 Depth=2
	v_mov_b32_e32 v34, v46
; %bb.1058:                             ;   in Loop: Header=BB2_1033 Depth=2
	s_or_b64 exec, exec, s[20:21]
.LBB2_1059:                             ;   in Loop: Header=BB2_1033 Depth=2
	s_or_b64 exec, exec, s[92:93]
                                        ; implicit-def: $vgpr46
.LBB2_1060:                             ;   in Loop: Header=BB2_1033 Depth=2
	s_andn2_saveexec_b64 s[20:21], s[90:91]
; %bb.1061:                             ;   in Loop: Header=BB2_1033 Depth=2
	v_or_b32_e32 v34, 0x7e, v46
; %bb.1062:                             ;   in Loop: Header=BB2_1033 Depth=2
	s_or_b64 exec, exec, s[20:21]
                                        ; implicit-def: $vgpr16
.LBB2_1063:                             ;   in Loop: Header=BB2_1033 Depth=2
	s_andn2_saveexec_b64 s[20:21], s[88:89]
; %bb.1064:                             ;   in Loop: Header=BB2_1033 Depth=2
	v_or_b32_sdwa v34, v16, s53 dst_sel:DWORD dst_unused:UNUSED_PAD src0_sel:BYTE_3 src1_sel:DWORD
; %bb.1065:                             ;   in Loop: Header=BB2_1033 Depth=2
	s_or_b64 exec, exec, s[20:21]
	v_and_b32_e32 v16, 0xff, v45
	v_cmp_ne_u16_e32 vcc, 0, v16
	v_mov_b32_e32 v17, 0
	v_mov_b32_e32 v36, 0
	s_and_saveexec_b64 s[20:21], vcc
	s_cbranch_execz .LBB2_1071
; %bb.1066:                             ;   in Loop: Header=BB2_1033 Depth=2
	v_cmp_ne_u16_e32 vcc, s52, v16
	v_bfrev_b32_e32 v36, 1
	s_and_saveexec_b64 s[88:89], vcc
	s_cbranch_execz .LBB2_1070
; %bb.1067:                             ;   in Loop: Header=BB2_1033 Depth=2
	v_and_b32_e32 v50, 0x7f, v45
	v_cmp_ne_u32_e32 vcc, s53, v50
	v_mov_b32_e32 v36, 0x7f800001
	s_and_saveexec_b64 s[90:91], vcc
	s_cbranch_execz .LBB2_1069
; %bb.1068:                             ;   in Loop: Header=BB2_1033 Depth=2
	v_and_b32_e32 v36, 7, v16
	v_ffbh_u32_e32 v24, v36
	v_lshrrev_b32_e32 v51, 3, v50
	v_cmp_gt_u32_e32 vcc, 8, v50
	v_min_u32_e32 v50, 32, v24
	v_subrev_u32_e32 v24, 28, v50
	v_lshlrev_b64 v[24:25], v24, v[16:17]
	v_sub_u32_e32 v16, 29, v50
	v_and_b32_e32 v24, 7, v24
	v_cndmask_b32_e32 v16, v51, v16, vcc
	v_cndmask_b32_e32 v24, v36, v24, vcc
	v_lshlrev_b32_e32 v25, 24, v45
	v_lshlrev_b32_e32 v24, 20, v24
	v_and_b32_e32 v25, 0x80000000, v25
	v_lshl_add_u32 v16, v16, 23, v3
	v_or3_b32 v36, v25, v16, v24
.LBB2_1069:                             ;   in Loop: Header=BB2_1033 Depth=2
	s_or_b64 exec, exec, s[90:91]
.LBB2_1070:                             ;   in Loop: Header=BB2_1033 Depth=2
	s_or_b64 exec, exec, s[88:89]
.LBB2_1071:                             ;   in Loop: Header=BB2_1033 Depth=2
	s_or_b64 exec, exec, s[20:21]
	v_and_b32_e32 v16, 0xff, v53
	v_cmp_ne_u16_e32 vcc, 0, v16
	s_and_saveexec_b64 s[20:21], vcc
	s_cbranch_execz .LBB2_1077
; %bb.1072:                             ;   in Loop: Header=BB2_1033 Depth=2
	v_cmp_ne_u16_e32 vcc, s52, v16
	v_bfrev_b32_e32 v17, 1
	s_and_saveexec_b64 s[88:89], vcc
	s_cbranch_execz .LBB2_1076
; %bb.1073:                             ;   in Loop: Header=BB2_1033 Depth=2
	v_and_b32_e32 v50, 0x7f, v53
	v_cmp_ne_u32_e32 vcc, s53, v50
	v_mov_b32_e32 v17, 0x7f800001
	s_and_saveexec_b64 s[90:91], vcc
	s_cbranch_execz .LBB2_1075
; %bb.1074:                             ;   in Loop: Header=BB2_1033 Depth=2
	v_and_b32_e32 v24, 7, v16
	v_ffbh_u32_e32 v17, v24
	v_lshrrev_b32_e32 v25, 3, v50
	v_cmp_gt_u32_e32 vcc, 8, v50
	v_min_u32_e32 v50, 32, v17
	v_subrev_u32_e32 v17, 28, v50
	v_lshlrev_b64 v[16:17], v17, v[16:17]
	v_sub_u32_e32 v17, 29, v50
	v_and_b32_e32 v16, 7, v16
	v_cndmask_b32_e32 v17, v25, v17, vcc
	v_cndmask_b32_e32 v16, v24, v16, vcc
	v_lshlrev_b32_e32 v24, 24, v53
	v_lshlrev_b32_e32 v16, 20, v16
	v_and_b32_e32 v24, 0x80000000, v24
	v_lshl_add_u32 v17, v17, 23, v3
	v_or3_b32 v17, v24, v17, v16
.LBB2_1075:                             ;   in Loop: Header=BB2_1033 Depth=2
	s_or_b64 exec, exec, s[90:91]
.LBB2_1076:                             ;   in Loop: Header=BB2_1033 Depth=2
	s_or_b64 exec, exec, s[88:89]
.LBB2_1077:                             ;   in Loop: Header=BB2_1033 Depth=2
	s_or_b64 exec, exec, s[20:21]
	v_add_f32_e32 v16, v36, v17
	v_and_b32_e32 v36, 0x7f800000, v16
	v_cmp_ne_u64_e32 vcc, s[56:57], v[36:37]
                                        ; implicit-def: $vgpr53
	s_and_saveexec_b64 s[20:21], vcc
	s_xor_b64 s[88:89], exec, s[20:21]
	s_cbranch_execz .LBB2_1095
; %bb.1078:                             ;   in Loop: Header=BB2_1033 Depth=2
	v_and_b32_e32 v36, 0x7fffffff, v16
	v_cmp_gt_u64_e32 vcc, s[58:59], v[36:37]
	v_and_b32_sdwa v45, v16, s52 dst_sel:DWORD dst_unused:UNUSED_PAD src0_sel:BYTE_3 src1_sel:DWORD
                                        ; implicit-def: $vgpr53
	s_and_saveexec_b64 s[20:21], vcc
	s_xor_b64 s[90:91], exec, s[20:21]
	s_cbranch_execz .LBB2_1092
; %bb.1079:                             ;   in Loop: Header=BB2_1033 Depth=2
	v_cmp_ne_u32_e32 vcc, 0, v16
	v_mov_b32_e32 v53, 0
	s_and_saveexec_b64 s[92:93], vcc
	s_cbranch_execz .LBB2_1091
; %bb.1080:                             ;   in Loop: Header=BB2_1033 Depth=2
	v_bfe_u32 v53, v16, 23, 8
	v_and_b32_e32 v17, 0x7fffff, v16
	v_cmp_gt_u32_e64 s[20:21], s54, v53
	v_sub_u32_e32 v16, 0x79, v53
	v_cmp_eq_u32_e32 vcc, 0, v53
	v_cndmask_b32_e64 v16, 0, v16, s[20:21]
	v_cndmask_b32_e32 v46, v16, v2, vcc
	v_or_b32_e32 v24, 0x800000, v17
	v_add_u32_e32 v16, 20, v46
	v_cndmask_b32_e32 v36, v24, v17, vcc
	v_lshlrev_b64 v[16:17], v16, -1
	v_add_u32_e32 v24, 19, v46
	v_lshlrev_b64 v[24:25], v24, 1
	v_bfi_b32 v17, v17, 0, 0
	v_bfi_b32 v16, v16, 0, v36
	v_cmp_eq_u64_e64 s[20:21], v[16:17], v[24:25]
	v_lshrrev_b64 v[16:17], v46, v[36:37]
	v_mov_b32_e32 v51, v17
	v_mov_b32_e32 v50, v16
	s_and_saveexec_b64 s[94:95], s[20:21]
; %bb.1081:                             ;   in Loop: Header=BB2_1033 Depth=2
	v_bfe_u32 v17, v16, 20, 1
	v_add_co_u32_e64 v17, s[20:21], v16, v17
	v_add_co_u32_e64 v50, s[20:21], -1, v17
; %bb.1082:                             ;   in Loop: Header=BB2_1033 Depth=2
	s_or_b64 exec, exec, s[94:95]
	v_add_u32_e32 v17, 0xffffff81, v53
	v_cndmask_b32_e32 v17, v17, v20, vcc
	v_lshrrev_b32_e32 v24, 23, v16
	v_add3_u32 v53, v46, v17, v24
	v_add_u32_e32 v51, 6, v53
	v_and_b32_e32 v17, 0xfffff, v50
	v_add_u32_e32 v36, v17, v16
	v_cmp_ne_u32_e32 vcc, 0, v51
                                        ; implicit-def: $vgpr16_vgpr17
                                        ; implicit-def: $vgpr50
	s_and_saveexec_b64 s[20:21], vcc
	s_xor_b64 s[20:21], exec, s[20:21]
; %bb.1083:                             ;   in Loop: Header=BB2_1033 Depth=2
	v_cmp_lt_u64_e32 vcc, s[60:61], v[36:37]
	v_add_u32_e32 v16, 7, v53
	v_cndmask_b32_e32 v50, v51, v16, vcc
	v_cndmask_b32_e64 v16, 0, 1, vcc
	v_lshrrev_b64 v[16:17], v16, v[36:37]
; %bb.1084:                             ;   in Loop: Header=BB2_1033 Depth=2
	s_andn2_saveexec_b64 s[20:21], s[20:21]
; %bb.1085:                             ;   in Loop: Header=BB2_1033 Depth=2
	v_mov_b32_e32 v16, v36
	v_bfe_u32 v50, v36, 23, 1
	v_mov_b32_e32 v17, v37
; %bb.1086:                             ;   in Loop: Header=BB2_1033 Depth=2
	s_or_b64 exec, exec, s[20:21]
	v_lshrrev_b64 v[16:17], 20, v[16:17]
	v_cmp_gt_i32_e32 vcc, 16, v50
	v_cndmask_b32_e32 v17, 0, v17, vcc
	v_cndmask_b32_e32 v16, 7, v16, vcc
	v_cmp_ne_u64_e32 vcc, 0, v[16:17]
	v_cmp_ne_u32_e64 s[20:21], 0, v50
	s_or_b64 s[20:21], s[20:21], vcc
                                        ; implicit-def: $vgpr53
	s_and_saveexec_b64 s[94:95], s[20:21]
	s_xor_b64 s[20:21], exec, s[94:95]
; %bb.1087:                             ;   in Loop: Header=BB2_1033 Depth=2
	v_min_i32_e32 v17, 15, v50
	v_lshl_or_b32 v17, v17, 3, v45
	v_and_or_b32 v53, v16, 7, v17
                                        ; implicit-def: $vgpr45
; %bb.1088:                             ;   in Loop: Header=BB2_1033 Depth=2
	s_andn2_saveexec_b64 s[20:21], s[20:21]
; %bb.1089:                             ;   in Loop: Header=BB2_1033 Depth=2
	v_mov_b32_e32 v53, v45
; %bb.1090:                             ;   in Loop: Header=BB2_1033 Depth=2
	s_or_b64 exec, exec, s[20:21]
.LBB2_1091:                             ;   in Loop: Header=BB2_1033 Depth=2
	s_or_b64 exec, exec, s[92:93]
                                        ; implicit-def: $vgpr45
.LBB2_1092:                             ;   in Loop: Header=BB2_1033 Depth=2
	s_andn2_saveexec_b64 s[20:21], s[90:91]
; %bb.1093:                             ;   in Loop: Header=BB2_1033 Depth=2
	v_or_b32_e32 v53, 0x7e, v45
; %bb.1094:                             ;   in Loop: Header=BB2_1033 Depth=2
	s_or_b64 exec, exec, s[20:21]
                                        ; implicit-def: $vgpr16
.LBB2_1095:                             ;   in Loop: Header=BB2_1033 Depth=2
	s_andn2_saveexec_b64 s[20:21], s[88:89]
; %bb.1096:                             ;   in Loop: Header=BB2_1033 Depth=2
	v_or_b32_sdwa v53, v16, s53 dst_sel:DWORD dst_unused:UNUSED_PAD src0_sel:BYTE_3 src1_sel:DWORD
; %bb.1097:                             ;   in Loop: Header=BB2_1033 Depth=2
	s_or_b64 exec, exec, s[20:21]
	v_and_b32_e32 v16, 0xff, v44
	v_cmp_ne_u16_e32 vcc, 0, v16
	v_mov_b32_e32 v17, 0
	v_mov_b32_e32 v36, 0
	s_and_saveexec_b64 s[20:21], vcc
	s_cbranch_execz .LBB2_1103
; %bb.1098:                             ;   in Loop: Header=BB2_1033 Depth=2
	v_cmp_ne_u16_e32 vcc, s52, v16
	v_bfrev_b32_e32 v36, 1
	s_and_saveexec_b64 s[88:89], vcc
	s_cbranch_execz .LBB2_1102
; %bb.1099:                             ;   in Loop: Header=BB2_1033 Depth=2
	v_and_b32_e32 v50, 0x7f, v44
	v_cmp_ne_u32_e32 vcc, s53, v50
	v_mov_b32_e32 v36, 0x7f800001
	s_and_saveexec_b64 s[90:91], vcc
	s_cbranch_execz .LBB2_1101
; %bb.1100:                             ;   in Loop: Header=BB2_1033 Depth=2
	v_and_b32_e32 v36, 7, v16
	v_ffbh_u32_e32 v24, v36
	v_lshrrev_b32_e32 v51, 3, v50
	v_cmp_gt_u32_e32 vcc, 8, v50
	v_min_u32_e32 v50, 32, v24
	v_subrev_u32_e32 v24, 28, v50
	v_lshlrev_b64 v[24:25], v24, v[16:17]
	v_sub_u32_e32 v16, 29, v50
	v_and_b32_e32 v24, 7, v24
	v_cndmask_b32_e32 v16, v51, v16, vcc
	v_cndmask_b32_e32 v24, v36, v24, vcc
	v_lshlrev_b32_e32 v25, 24, v44
	v_lshlrev_b32_e32 v24, 20, v24
	v_and_b32_e32 v25, 0x80000000, v25
	v_lshl_add_u32 v16, v16, 23, v3
	v_or3_b32 v36, v25, v16, v24
.LBB2_1101:                             ;   in Loop: Header=BB2_1033 Depth=2
	s_or_b64 exec, exec, s[90:91]
.LBB2_1102:                             ;   in Loop: Header=BB2_1033 Depth=2
	s_or_b64 exec, exec, s[88:89]
.LBB2_1103:                             ;   in Loop: Header=BB2_1033 Depth=2
	s_or_b64 exec, exec, s[20:21]
	v_and_b32_e32 v16, 0xff, v19
	v_cmp_ne_u16_e32 vcc, 0, v16
	s_and_saveexec_b64 s[20:21], vcc
	s_cbranch_execz .LBB2_1109
; %bb.1104:                             ;   in Loop: Header=BB2_1033 Depth=2
	v_cmp_ne_u16_e32 vcc, s52, v16
	v_bfrev_b32_e32 v17, 1
	s_and_saveexec_b64 s[88:89], vcc
	s_cbranch_execz .LBB2_1108
; %bb.1105:                             ;   in Loop: Header=BB2_1033 Depth=2
	v_and_b32_e32 v50, 0x7f, v19
	v_cmp_ne_u32_e32 vcc, s53, v50
	v_mov_b32_e32 v17, 0x7f800001
	s_and_saveexec_b64 s[90:91], vcc
	s_cbranch_execz .LBB2_1107
; %bb.1106:                             ;   in Loop: Header=BB2_1033 Depth=2
	v_and_b32_e32 v24, 7, v16
	v_ffbh_u32_e32 v17, v24
	v_lshrrev_b32_e32 v25, 3, v50
	v_cmp_gt_u32_e32 vcc, 8, v50
	v_min_u32_e32 v50, 32, v17
	v_subrev_u32_e32 v17, 28, v50
	v_lshlrev_b64 v[16:17], v17, v[16:17]
	v_sub_u32_e32 v17, 29, v50
	v_and_b32_e32 v16, 7, v16
	v_cndmask_b32_e32 v17, v25, v17, vcc
	v_cndmask_b32_e32 v16, v24, v16, vcc
	v_lshlrev_b32_e32 v19, 24, v19
	v_lshlrev_b32_e32 v16, 20, v16
	v_and_b32_e32 v19, 0x80000000, v19
	v_lshl_add_u32 v17, v17, 23, v3
	v_or3_b32 v17, v19, v17, v16
.LBB2_1107:                             ;   in Loop: Header=BB2_1033 Depth=2
	s_or_b64 exec, exec, s[90:91]
.LBB2_1108:                             ;   in Loop: Header=BB2_1033 Depth=2
	s_or_b64 exec, exec, s[88:89]
.LBB2_1109:                             ;   in Loop: Header=BB2_1033 Depth=2
	s_or_b64 exec, exec, s[20:21]
	v_add_f32_e32 v16, v36, v17
	v_and_b32_e32 v36, 0x7f800000, v16
	v_cmp_ne_u64_e32 vcc, s[56:57], v[36:37]
                                        ; implicit-def: $vgpr19
	s_and_saveexec_b64 s[20:21], vcc
	s_xor_b64 s[88:89], exec, s[20:21]
	s_cbranch_execz .LBB2_1127
; %bb.1110:                             ;   in Loop: Header=BB2_1033 Depth=2
	v_and_b32_e32 v36, 0x7fffffff, v16
	v_cmp_gt_u64_e32 vcc, s[58:59], v[36:37]
	v_and_b32_sdwa v44, v16, s52 dst_sel:DWORD dst_unused:UNUSED_PAD src0_sel:BYTE_3 src1_sel:DWORD
                                        ; implicit-def: $vgpr19
	s_and_saveexec_b64 s[20:21], vcc
	s_xor_b64 s[90:91], exec, s[20:21]
	s_cbranch_execz .LBB2_1124
; %bb.1111:                             ;   in Loop: Header=BB2_1033 Depth=2
	v_cmp_ne_u32_e32 vcc, 0, v16
	v_mov_b32_e32 v19, 0
	s_and_saveexec_b64 s[92:93], vcc
	s_cbranch_execz .LBB2_1123
; %bb.1112:                             ;   in Loop: Header=BB2_1033 Depth=2
	v_bfe_u32 v19, v16, 23, 8
	v_and_b32_e32 v17, 0x7fffff, v16
	v_cmp_gt_u32_e64 s[20:21], s54, v19
	v_sub_u32_e32 v16, 0x79, v19
	v_cmp_eq_u32_e32 vcc, 0, v19
	v_cndmask_b32_e64 v16, 0, v16, s[20:21]
	v_cndmask_b32_e32 v45, v16, v2, vcc
	v_or_b32_e32 v24, 0x800000, v17
	v_add_u32_e32 v16, 20, v45
	v_cndmask_b32_e32 v36, v24, v17, vcc
	v_lshlrev_b64 v[16:17], v16, -1
	v_add_u32_e32 v24, 19, v45
	v_lshlrev_b64 v[24:25], v24, 1
	v_bfi_b32 v17, v17, 0, 0
	v_bfi_b32 v16, v16, 0, v36
	v_cmp_eq_u64_e64 s[20:21], v[16:17], v[24:25]
	v_lshrrev_b64 v[16:17], v45, v[36:37]
	v_mov_b32_e32 v51, v17
	v_mov_b32_e32 v50, v16
	s_and_saveexec_b64 s[94:95], s[20:21]
; %bb.1113:                             ;   in Loop: Header=BB2_1033 Depth=2
	v_bfe_u32 v17, v16, 20, 1
	v_add_co_u32_e64 v17, s[20:21], v16, v17
	v_add_co_u32_e64 v50, s[20:21], -1, v17
; %bb.1114:                             ;   in Loop: Header=BB2_1033 Depth=2
	s_or_b64 exec, exec, s[94:95]
	v_add_u32_e32 v17, 0xffffff81, v19
	v_cndmask_b32_e32 v17, v17, v20, vcc
	v_lshrrev_b32_e32 v19, 23, v16
	v_add3_u32 v51, v45, v17, v19
	v_add_u32_e32 v19, 6, v51
	v_and_b32_e32 v17, 0xfffff, v50
	v_add_u32_e32 v36, v17, v16
	v_cmp_ne_u32_e32 vcc, 0, v19
                                        ; implicit-def: $vgpr16_vgpr17
                                        ; implicit-def: $vgpr50
	s_and_saveexec_b64 s[20:21], vcc
	s_xor_b64 s[20:21], exec, s[20:21]
; %bb.1115:                             ;   in Loop: Header=BB2_1033 Depth=2
	v_cmp_lt_u64_e32 vcc, s[60:61], v[36:37]
	v_add_u32_e32 v16, 7, v51
	v_cndmask_b32_e32 v50, v19, v16, vcc
	v_cndmask_b32_e64 v16, 0, 1, vcc
	v_lshrrev_b64 v[16:17], v16, v[36:37]
; %bb.1116:                             ;   in Loop: Header=BB2_1033 Depth=2
	s_andn2_saveexec_b64 s[20:21], s[20:21]
; %bb.1117:                             ;   in Loop: Header=BB2_1033 Depth=2
	v_mov_b32_e32 v16, v36
	v_bfe_u32 v50, v36, 23, 1
	v_mov_b32_e32 v17, v37
; %bb.1118:                             ;   in Loop: Header=BB2_1033 Depth=2
	s_or_b64 exec, exec, s[20:21]
	v_lshrrev_b64 v[16:17], 20, v[16:17]
	v_cmp_gt_i32_e32 vcc, 16, v50
	v_cndmask_b32_e32 v17, 0, v17, vcc
	v_cndmask_b32_e32 v16, 7, v16, vcc
	v_cmp_ne_u64_e32 vcc, 0, v[16:17]
	v_cmp_ne_u32_e64 s[20:21], 0, v50
	s_or_b64 s[20:21], s[20:21], vcc
                                        ; implicit-def: $vgpr19
	s_and_saveexec_b64 s[94:95], s[20:21]
	s_xor_b64 s[20:21], exec, s[94:95]
; %bb.1119:                             ;   in Loop: Header=BB2_1033 Depth=2
	v_min_i32_e32 v17, 15, v50
	v_lshl_or_b32 v17, v17, 3, v44
	v_and_or_b32 v19, v16, 7, v17
                                        ; implicit-def: $vgpr44
; %bb.1120:                             ;   in Loop: Header=BB2_1033 Depth=2
	s_andn2_saveexec_b64 s[20:21], s[20:21]
; %bb.1121:                             ;   in Loop: Header=BB2_1033 Depth=2
	v_mov_b32_e32 v19, v44
; %bb.1122:                             ;   in Loop: Header=BB2_1033 Depth=2
	s_or_b64 exec, exec, s[20:21]
.LBB2_1123:                             ;   in Loop: Header=BB2_1033 Depth=2
	s_or_b64 exec, exec, s[92:93]
                                        ; implicit-def: $vgpr44
.LBB2_1124:                             ;   in Loop: Header=BB2_1033 Depth=2
	s_andn2_saveexec_b64 s[20:21], s[90:91]
; %bb.1125:                             ;   in Loop: Header=BB2_1033 Depth=2
	v_or_b32_e32 v19, 0x7e, v44
; %bb.1126:                             ;   in Loop: Header=BB2_1033 Depth=2
	s_or_b64 exec, exec, s[20:21]
                                        ; implicit-def: $vgpr16
.LBB2_1127:                             ;   in Loop: Header=BB2_1033 Depth=2
	s_andn2_saveexec_b64 s[20:21], s[88:89]
; %bb.1128:                             ;   in Loop: Header=BB2_1033 Depth=2
	v_or_b32_sdwa v19, v16, s53 dst_sel:DWORD dst_unused:UNUSED_PAD src0_sel:BYTE_3 src1_sel:DWORD
; %bb.1129:                             ;   in Loop: Header=BB2_1033 Depth=2
	s_or_b64 exec, exec, s[20:21]
	v_and_b32_e32 v16, 0xff, v43
	v_cmp_ne_u16_e32 vcc, 0, v16
	v_mov_b32_e32 v17, 0
	v_mov_b32_e32 v36, 0
	s_and_saveexec_b64 s[20:21], vcc
	s_cbranch_execz .LBB2_1135
; %bb.1130:                             ;   in Loop: Header=BB2_1033 Depth=2
	v_cmp_ne_u16_e32 vcc, s52, v16
	v_bfrev_b32_e32 v36, 1
	s_and_saveexec_b64 s[88:89], vcc
	s_cbranch_execz .LBB2_1134
; %bb.1131:                             ;   in Loop: Header=BB2_1033 Depth=2
	v_and_b32_e32 v50, 0x7f, v43
	v_cmp_ne_u32_e32 vcc, s53, v50
	v_mov_b32_e32 v36, 0x7f800001
	s_and_saveexec_b64 s[90:91], vcc
	s_cbranch_execz .LBB2_1133
; %bb.1132:                             ;   in Loop: Header=BB2_1033 Depth=2
	v_and_b32_e32 v36, 7, v16
	v_ffbh_u32_e32 v24, v36
	v_lshrrev_b32_e32 v51, 3, v50
	v_cmp_gt_u32_e32 vcc, 8, v50
	v_min_u32_e32 v50, 32, v24
	v_subrev_u32_e32 v24, 28, v50
	v_lshlrev_b64 v[24:25], v24, v[16:17]
	v_sub_u32_e32 v16, 29, v50
	v_and_b32_e32 v24, 7, v24
	v_cndmask_b32_e32 v16, v51, v16, vcc
	v_cndmask_b32_e32 v24, v36, v24, vcc
	v_lshlrev_b32_e32 v25, 24, v43
	v_lshlrev_b32_e32 v24, 20, v24
	v_and_b32_e32 v25, 0x80000000, v25
	v_lshl_add_u32 v16, v16, 23, v3
	v_or3_b32 v36, v25, v16, v24
.LBB2_1133:                             ;   in Loop: Header=BB2_1033 Depth=2
	s_or_b64 exec, exec, s[90:91]
.LBB2_1134:                             ;   in Loop: Header=BB2_1033 Depth=2
	s_or_b64 exec, exec, s[88:89]
.LBB2_1135:                             ;   in Loop: Header=BB2_1033 Depth=2
	s_or_b64 exec, exec, s[20:21]
	v_and_b32_e32 v16, 0xff, v40
	v_cmp_ne_u16_e32 vcc, 0, v16
	s_and_saveexec_b64 s[20:21], vcc
	s_cbranch_execz .LBB2_1141
; %bb.1136:                             ;   in Loop: Header=BB2_1033 Depth=2
	v_cmp_ne_u16_e32 vcc, s52, v16
	v_bfrev_b32_e32 v17, 1
	s_and_saveexec_b64 s[88:89], vcc
	s_cbranch_execz .LBB2_1140
; %bb.1137:                             ;   in Loop: Header=BB2_1033 Depth=2
	v_and_b32_e32 v50, 0x7f, v40
	v_cmp_ne_u32_e32 vcc, s53, v50
	v_mov_b32_e32 v17, 0x7f800001
	s_and_saveexec_b64 s[90:91], vcc
	s_cbranch_execz .LBB2_1139
; %bb.1138:                             ;   in Loop: Header=BB2_1033 Depth=2
	v_and_b32_e32 v24, 7, v16
	v_ffbh_u32_e32 v17, v24
	v_lshrrev_b32_e32 v25, 3, v50
	v_cmp_gt_u32_e32 vcc, 8, v50
	v_min_u32_e32 v50, 32, v17
	v_subrev_u32_e32 v17, 28, v50
	v_lshlrev_b64 v[16:17], v17, v[16:17]
	v_sub_u32_e32 v17, 29, v50
	v_and_b32_e32 v16, 7, v16
	v_cndmask_b32_e32 v17, v25, v17, vcc
	v_cndmask_b32_e32 v16, v24, v16, vcc
	v_lshlrev_b32_e32 v24, 24, v40
	v_lshlrev_b32_e32 v16, 20, v16
	v_and_b32_e32 v24, 0x80000000, v24
	v_lshl_add_u32 v17, v17, 23, v3
	v_or3_b32 v17, v24, v17, v16
.LBB2_1139:                             ;   in Loop: Header=BB2_1033 Depth=2
	s_or_b64 exec, exec, s[90:91]
.LBB2_1140:                             ;   in Loop: Header=BB2_1033 Depth=2
	s_or_b64 exec, exec, s[88:89]
.LBB2_1141:                             ;   in Loop: Header=BB2_1033 Depth=2
	s_or_b64 exec, exec, s[20:21]
	v_add_f32_e32 v16, v36, v17
	v_and_b32_e32 v36, 0x7f800000, v16
	v_cmp_ne_u64_e32 vcc, s[56:57], v[36:37]
                                        ; implicit-def: $vgpr40
	s_and_saveexec_b64 s[20:21], vcc
	s_xor_b64 s[88:89], exec, s[20:21]
	s_cbranch_execz .LBB2_1159
; %bb.1142:                             ;   in Loop: Header=BB2_1033 Depth=2
	v_and_b32_e32 v36, 0x7fffffff, v16
	v_cmp_gt_u64_e32 vcc, s[58:59], v[36:37]
	v_and_b32_sdwa v43, v16, s52 dst_sel:DWORD dst_unused:UNUSED_PAD src0_sel:BYTE_3 src1_sel:DWORD
                                        ; implicit-def: $vgpr40
	s_and_saveexec_b64 s[20:21], vcc
	s_xor_b64 s[90:91], exec, s[20:21]
	s_cbranch_execz .LBB2_1156
; %bb.1143:                             ;   in Loop: Header=BB2_1033 Depth=2
	v_cmp_ne_u32_e32 vcc, 0, v16
	v_mov_b32_e32 v40, 0
	s_and_saveexec_b64 s[92:93], vcc
	s_cbranch_execz .LBB2_1155
; %bb.1144:                             ;   in Loop: Header=BB2_1033 Depth=2
	v_bfe_u32 v40, v16, 23, 8
	v_and_b32_e32 v17, 0x7fffff, v16
	v_cmp_gt_u32_e64 s[20:21], s54, v40
	v_sub_u32_e32 v16, 0x79, v40
	v_cmp_eq_u32_e32 vcc, 0, v40
	v_cndmask_b32_e64 v16, 0, v16, s[20:21]
	v_cndmask_b32_e32 v44, v16, v2, vcc
	v_or_b32_e32 v24, 0x800000, v17
	v_add_u32_e32 v16, 20, v44
	v_cndmask_b32_e32 v36, v24, v17, vcc
	v_lshlrev_b64 v[16:17], v16, -1
	v_add_u32_e32 v24, 19, v44
	v_lshlrev_b64 v[24:25], v24, 1
	v_bfi_b32 v17, v17, 0, 0
	v_bfi_b32 v16, v16, 0, v36
	v_cmp_eq_u64_e64 s[20:21], v[16:17], v[24:25]
	v_lshrrev_b64 v[16:17], v44, v[36:37]
	v_mov_b32_e32 v51, v17
	v_mov_b32_e32 v50, v16
	s_and_saveexec_b64 s[94:95], s[20:21]
; %bb.1145:                             ;   in Loop: Header=BB2_1033 Depth=2
	v_bfe_u32 v17, v16, 20, 1
	v_add_co_u32_e64 v17, s[20:21], v16, v17
	v_add_co_u32_e64 v50, s[20:21], -1, v17
; %bb.1146:                             ;   in Loop: Header=BB2_1033 Depth=2
	s_or_b64 exec, exec, s[94:95]
	v_add_u32_e32 v17, 0xffffff81, v40
	v_cndmask_b32_e32 v17, v17, v20, vcc
	v_lshrrev_b32_e32 v24, 23, v16
	v_add3_u32 v40, v44, v17, v24
	v_add_u32_e32 v51, 6, v40
	v_and_b32_e32 v17, 0xfffff, v50
	v_add_u32_e32 v36, v17, v16
	v_cmp_ne_u32_e32 vcc, 0, v51
                                        ; implicit-def: $vgpr16_vgpr17
                                        ; implicit-def: $vgpr50
	s_and_saveexec_b64 s[20:21], vcc
	s_xor_b64 s[20:21], exec, s[20:21]
; %bb.1147:                             ;   in Loop: Header=BB2_1033 Depth=2
	v_cmp_lt_u64_e32 vcc, s[60:61], v[36:37]
	v_add_u32_e32 v16, 7, v40
	v_cndmask_b32_e32 v50, v51, v16, vcc
	v_cndmask_b32_e64 v16, 0, 1, vcc
	v_lshrrev_b64 v[16:17], v16, v[36:37]
; %bb.1148:                             ;   in Loop: Header=BB2_1033 Depth=2
	s_andn2_saveexec_b64 s[20:21], s[20:21]
; %bb.1149:                             ;   in Loop: Header=BB2_1033 Depth=2
	v_mov_b32_e32 v16, v36
	v_bfe_u32 v50, v36, 23, 1
	v_mov_b32_e32 v17, v37
; %bb.1150:                             ;   in Loop: Header=BB2_1033 Depth=2
	s_or_b64 exec, exec, s[20:21]
	v_lshrrev_b64 v[16:17], 20, v[16:17]
	v_cmp_gt_i32_e32 vcc, 16, v50
	v_cndmask_b32_e32 v17, 0, v17, vcc
	v_cndmask_b32_e32 v16, 7, v16, vcc
	v_cmp_ne_u64_e32 vcc, 0, v[16:17]
	v_cmp_ne_u32_e64 s[20:21], 0, v50
	s_or_b64 s[20:21], s[20:21], vcc
                                        ; implicit-def: $vgpr40
	s_and_saveexec_b64 s[94:95], s[20:21]
	s_xor_b64 s[20:21], exec, s[94:95]
; %bb.1151:                             ;   in Loop: Header=BB2_1033 Depth=2
	v_min_i32_e32 v17, 15, v50
	v_lshl_or_b32 v17, v17, 3, v43
	v_and_or_b32 v40, v16, 7, v17
                                        ; implicit-def: $vgpr43
; %bb.1152:                             ;   in Loop: Header=BB2_1033 Depth=2
	s_andn2_saveexec_b64 s[20:21], s[20:21]
; %bb.1153:                             ;   in Loop: Header=BB2_1033 Depth=2
	v_mov_b32_e32 v40, v43
; %bb.1154:                             ;   in Loop: Header=BB2_1033 Depth=2
	s_or_b64 exec, exec, s[20:21]
.LBB2_1155:                             ;   in Loop: Header=BB2_1033 Depth=2
	s_or_b64 exec, exec, s[92:93]
                                        ; implicit-def: $vgpr43
.LBB2_1156:                             ;   in Loop: Header=BB2_1033 Depth=2
	s_andn2_saveexec_b64 s[20:21], s[90:91]
; %bb.1157:                             ;   in Loop: Header=BB2_1033 Depth=2
	v_or_b32_e32 v40, 0x7e, v43
; %bb.1158:                             ;   in Loop: Header=BB2_1033 Depth=2
	s_or_b64 exec, exec, s[20:21]
                                        ; implicit-def: $vgpr16
.LBB2_1159:                             ;   in Loop: Header=BB2_1033 Depth=2
	s_andn2_saveexec_b64 s[20:21], s[88:89]
; %bb.1160:                             ;   in Loop: Header=BB2_1033 Depth=2
	v_or_b32_sdwa v40, v16, s53 dst_sel:DWORD dst_unused:UNUSED_PAD src0_sel:BYTE_3 src1_sel:DWORD
; %bb.1161:                             ;   in Loop: Header=BB2_1033 Depth=2
	s_or_b64 exec, exec, s[20:21]
	v_and_b32_e32 v16, 0xff, v42
	v_cmp_ne_u16_e32 vcc, 0, v16
	v_mov_b32_e32 v17, 0
	v_mov_b32_e32 v36, 0
	s_and_saveexec_b64 s[20:21], vcc
	s_cbranch_execz .LBB2_1167
; %bb.1162:                             ;   in Loop: Header=BB2_1033 Depth=2
	v_cmp_ne_u16_e32 vcc, s52, v16
	v_bfrev_b32_e32 v36, 1
	s_and_saveexec_b64 s[88:89], vcc
	s_cbranch_execz .LBB2_1166
; %bb.1163:                             ;   in Loop: Header=BB2_1033 Depth=2
	v_and_b32_e32 v50, 0x7f, v42
	v_cmp_ne_u32_e32 vcc, s53, v50
	v_mov_b32_e32 v36, 0x7f800001
	s_and_saveexec_b64 s[90:91], vcc
	s_cbranch_execz .LBB2_1165
; %bb.1164:                             ;   in Loop: Header=BB2_1033 Depth=2
	v_and_b32_e32 v36, 7, v16
	v_ffbh_u32_e32 v24, v36
	v_lshrrev_b32_e32 v51, 3, v50
	v_cmp_gt_u32_e32 vcc, 8, v50
	v_min_u32_e32 v50, 32, v24
	v_subrev_u32_e32 v24, 28, v50
	v_lshlrev_b64 v[24:25], v24, v[16:17]
	v_sub_u32_e32 v16, 29, v50
	v_and_b32_e32 v24, 7, v24
	v_cndmask_b32_e32 v16, v51, v16, vcc
	v_cndmask_b32_e32 v24, v36, v24, vcc
	v_lshlrev_b32_e32 v25, 24, v42
	v_lshlrev_b32_e32 v24, 20, v24
	v_and_b32_e32 v25, 0x80000000, v25
	v_lshl_add_u32 v16, v16, 23, v3
	v_or3_b32 v36, v25, v16, v24
.LBB2_1165:                             ;   in Loop: Header=BB2_1033 Depth=2
	s_or_b64 exec, exec, s[90:91]
.LBB2_1166:                             ;   in Loop: Header=BB2_1033 Depth=2
	s_or_b64 exec, exec, s[88:89]
.LBB2_1167:                             ;   in Loop: Header=BB2_1033 Depth=2
	s_or_b64 exec, exec, s[20:21]
	v_and_b32_e32 v16, 0xff, v41
	v_cmp_ne_u16_e32 vcc, 0, v16
	s_and_saveexec_b64 s[20:21], vcc
	s_cbranch_execz .LBB2_1173
; %bb.1168:                             ;   in Loop: Header=BB2_1033 Depth=2
	v_cmp_ne_u16_e32 vcc, s52, v16
	v_bfrev_b32_e32 v17, 1
	s_and_saveexec_b64 s[88:89], vcc
	s_cbranch_execz .LBB2_1172
; %bb.1169:                             ;   in Loop: Header=BB2_1033 Depth=2
	v_and_b32_e32 v50, 0x7f, v41
	v_cmp_ne_u32_e32 vcc, s53, v50
	v_mov_b32_e32 v17, 0x7f800001
	s_and_saveexec_b64 s[90:91], vcc
	s_cbranch_execz .LBB2_1171
; %bb.1170:                             ;   in Loop: Header=BB2_1033 Depth=2
	v_and_b32_e32 v24, 7, v16
	v_ffbh_u32_e32 v17, v24
	v_lshrrev_b32_e32 v25, 3, v50
	v_cmp_gt_u32_e32 vcc, 8, v50
	v_min_u32_e32 v50, 32, v17
	v_subrev_u32_e32 v17, 28, v50
	v_lshlrev_b64 v[16:17], v17, v[16:17]
	v_sub_u32_e32 v17, 29, v50
	v_and_b32_e32 v16, 7, v16
	v_cndmask_b32_e32 v17, v25, v17, vcc
	v_cndmask_b32_e32 v16, v24, v16, vcc
	v_lshlrev_b32_e32 v24, 24, v41
	v_lshlrev_b32_e32 v16, 20, v16
	v_and_b32_e32 v24, 0x80000000, v24
	v_lshl_add_u32 v17, v17, 23, v3
	v_or3_b32 v17, v24, v17, v16
.LBB2_1171:                             ;   in Loop: Header=BB2_1033 Depth=2
	s_or_b64 exec, exec, s[90:91]
.LBB2_1172:                             ;   in Loop: Header=BB2_1033 Depth=2
	s_or_b64 exec, exec, s[88:89]
.LBB2_1173:                             ;   in Loop: Header=BB2_1033 Depth=2
	s_or_b64 exec, exec, s[20:21]
	v_add_f32_e32 v16, v36, v17
	v_and_b32_e32 v36, 0x7f800000, v16
	v_cmp_ne_u64_e32 vcc, s[56:57], v[36:37]
                                        ; implicit-def: $vgpr41
	s_and_saveexec_b64 s[20:21], vcc
	s_xor_b64 s[88:89], exec, s[20:21]
	s_cbranch_execz .LBB2_1191
; %bb.1174:                             ;   in Loop: Header=BB2_1033 Depth=2
	v_and_b32_e32 v36, 0x7fffffff, v16
	v_cmp_gt_u64_e32 vcc, s[58:59], v[36:37]
	v_and_b32_sdwa v42, v16, s52 dst_sel:DWORD dst_unused:UNUSED_PAD src0_sel:BYTE_3 src1_sel:DWORD
                                        ; implicit-def: $vgpr41
	s_and_saveexec_b64 s[20:21], vcc
	s_xor_b64 s[90:91], exec, s[20:21]
	s_cbranch_execz .LBB2_1188
; %bb.1175:                             ;   in Loop: Header=BB2_1033 Depth=2
	v_cmp_ne_u32_e32 vcc, 0, v16
	v_mov_b32_e32 v41, 0
	s_and_saveexec_b64 s[92:93], vcc
	s_cbranch_execz .LBB2_1187
; %bb.1176:                             ;   in Loop: Header=BB2_1033 Depth=2
	v_bfe_u32 v41, v16, 23, 8
	v_and_b32_e32 v17, 0x7fffff, v16
	v_cmp_gt_u32_e64 s[20:21], s54, v41
	v_sub_u32_e32 v16, 0x79, v41
	v_cmp_eq_u32_e32 vcc, 0, v41
	v_cndmask_b32_e64 v16, 0, v16, s[20:21]
	v_cndmask_b32_e32 v43, v16, v2, vcc
	v_or_b32_e32 v24, 0x800000, v17
	v_add_u32_e32 v16, 20, v43
	v_cndmask_b32_e32 v36, v24, v17, vcc
	v_lshlrev_b64 v[16:17], v16, -1
	v_add_u32_e32 v24, 19, v43
	v_lshlrev_b64 v[24:25], v24, 1
	v_bfi_b32 v17, v17, 0, 0
	v_bfi_b32 v16, v16, 0, v36
	v_cmp_eq_u64_e64 s[20:21], v[16:17], v[24:25]
	v_lshrrev_b64 v[16:17], v43, v[36:37]
	v_mov_b32_e32 v51, v17
	v_mov_b32_e32 v50, v16
	s_and_saveexec_b64 s[94:95], s[20:21]
; %bb.1177:                             ;   in Loop: Header=BB2_1033 Depth=2
	v_bfe_u32 v17, v16, 20, 1
	v_add_co_u32_e64 v17, s[20:21], v16, v17
	v_add_co_u32_e64 v50, s[20:21], -1, v17
; %bb.1178:                             ;   in Loop: Header=BB2_1033 Depth=2
	s_or_b64 exec, exec, s[94:95]
	v_add_u32_e32 v17, 0xffffff81, v41
	v_cndmask_b32_e32 v17, v17, v20, vcc
	v_lshrrev_b32_e32 v24, 23, v16
	v_add3_u32 v41, v43, v17, v24
	v_add_u32_e32 v51, 6, v41
	v_and_b32_e32 v17, 0xfffff, v50
	v_add_u32_e32 v36, v17, v16
	v_cmp_ne_u32_e32 vcc, 0, v51
                                        ; implicit-def: $vgpr16_vgpr17
                                        ; implicit-def: $vgpr50
	s_and_saveexec_b64 s[20:21], vcc
	s_xor_b64 s[20:21], exec, s[20:21]
; %bb.1179:                             ;   in Loop: Header=BB2_1033 Depth=2
	v_cmp_lt_u64_e32 vcc, s[60:61], v[36:37]
	v_add_u32_e32 v16, 7, v41
	v_cndmask_b32_e32 v50, v51, v16, vcc
	v_cndmask_b32_e64 v16, 0, 1, vcc
	v_lshrrev_b64 v[16:17], v16, v[36:37]
; %bb.1180:                             ;   in Loop: Header=BB2_1033 Depth=2
	s_andn2_saveexec_b64 s[20:21], s[20:21]
; %bb.1181:                             ;   in Loop: Header=BB2_1033 Depth=2
	v_mov_b32_e32 v16, v36
	v_bfe_u32 v50, v36, 23, 1
	v_mov_b32_e32 v17, v37
; %bb.1182:                             ;   in Loop: Header=BB2_1033 Depth=2
	s_or_b64 exec, exec, s[20:21]
	v_lshrrev_b64 v[16:17], 20, v[16:17]
	v_cmp_gt_i32_e32 vcc, 16, v50
	v_cndmask_b32_e32 v17, 0, v17, vcc
	v_cndmask_b32_e32 v16, 7, v16, vcc
	v_cmp_ne_u64_e32 vcc, 0, v[16:17]
	v_cmp_ne_u32_e64 s[20:21], 0, v50
	s_or_b64 s[20:21], s[20:21], vcc
                                        ; implicit-def: $vgpr41
	s_and_saveexec_b64 s[94:95], s[20:21]
	s_xor_b64 s[20:21], exec, s[94:95]
; %bb.1183:                             ;   in Loop: Header=BB2_1033 Depth=2
	v_min_i32_e32 v17, 15, v50
	v_lshl_or_b32 v17, v17, 3, v42
	v_and_or_b32 v41, v16, 7, v17
                                        ; implicit-def: $vgpr42
; %bb.1184:                             ;   in Loop: Header=BB2_1033 Depth=2
	s_andn2_saveexec_b64 s[20:21], s[20:21]
; %bb.1185:                             ;   in Loop: Header=BB2_1033 Depth=2
	v_mov_b32_e32 v41, v42
; %bb.1186:                             ;   in Loop: Header=BB2_1033 Depth=2
	s_or_b64 exec, exec, s[20:21]
.LBB2_1187:                             ;   in Loop: Header=BB2_1033 Depth=2
	s_or_b64 exec, exec, s[92:93]
                                        ; implicit-def: $vgpr42
.LBB2_1188:                             ;   in Loop: Header=BB2_1033 Depth=2
	s_andn2_saveexec_b64 s[20:21], s[90:91]
; %bb.1189:                             ;   in Loop: Header=BB2_1033 Depth=2
	v_or_b32_e32 v41, 0x7e, v42
; %bb.1190:                             ;   in Loop: Header=BB2_1033 Depth=2
	s_or_b64 exec, exec, s[20:21]
                                        ; implicit-def: $vgpr16
.LBB2_1191:                             ;   in Loop: Header=BB2_1033 Depth=2
	s_andn2_saveexec_b64 s[20:21], s[88:89]
; %bb.1192:                             ;   in Loop: Header=BB2_1033 Depth=2
	v_or_b32_sdwa v41, v16, s53 dst_sel:DWORD dst_unused:UNUSED_PAD src0_sel:BYTE_3 src1_sel:DWORD
; %bb.1193:                             ;   in Loop: Header=BB2_1033 Depth=2
	s_or_b64 exec, exec, s[20:21]
	v_and_b32_e32 v16, 0xff, v55
	v_cmp_ne_u16_e32 vcc, 0, v16
	v_mov_b32_e32 v17, 0
	v_mov_b32_e32 v36, 0
	s_and_saveexec_b64 s[20:21], vcc
	s_cbranch_execz .LBB2_1199
; %bb.1194:                             ;   in Loop: Header=BB2_1033 Depth=2
	v_cmp_ne_u16_e32 vcc, s52, v16
	v_bfrev_b32_e32 v36, 1
	s_and_saveexec_b64 s[88:89], vcc
	s_cbranch_execz .LBB2_1198
; %bb.1195:                             ;   in Loop: Header=BB2_1033 Depth=2
	v_and_b32_e32 v50, 0x7f, v55
	v_cmp_ne_u32_e32 vcc, s53, v50
	v_mov_b32_e32 v36, 0x7f800001
	s_and_saveexec_b64 s[90:91], vcc
	s_cbranch_execz .LBB2_1197
; %bb.1196:                             ;   in Loop: Header=BB2_1033 Depth=2
	v_and_b32_e32 v36, 7, v16
	v_ffbh_u32_e32 v24, v36
	v_lshrrev_b32_e32 v51, 3, v50
	v_cmp_gt_u32_e32 vcc, 8, v50
	v_min_u32_e32 v50, 32, v24
	v_subrev_u32_e32 v24, 28, v50
	v_lshlrev_b64 v[24:25], v24, v[16:17]
	v_sub_u32_e32 v16, 29, v50
	v_and_b32_e32 v24, 7, v24
	v_cndmask_b32_e32 v16, v51, v16, vcc
	v_cndmask_b32_e32 v24, v36, v24, vcc
	v_lshlrev_b32_e32 v25, 24, v55
	v_lshlrev_b32_e32 v24, 20, v24
	v_and_b32_e32 v25, 0x80000000, v25
	v_lshl_add_u32 v16, v16, 23, v3
	v_or3_b32 v36, v25, v16, v24
.LBB2_1197:                             ;   in Loop: Header=BB2_1033 Depth=2
	s_or_b64 exec, exec, s[90:91]
.LBB2_1198:                             ;   in Loop: Header=BB2_1033 Depth=2
	s_or_b64 exec, exec, s[88:89]
.LBB2_1199:                             ;   in Loop: Header=BB2_1033 Depth=2
	s_or_b64 exec, exec, s[20:21]
	v_and_b32_e32 v16, 0xff, v18
	v_cmp_ne_u16_e32 vcc, 0, v16
	s_and_saveexec_b64 s[20:21], vcc
	s_cbranch_execz .LBB2_1205
; %bb.1200:                             ;   in Loop: Header=BB2_1033 Depth=2
	v_cmp_ne_u16_e32 vcc, s52, v16
	v_bfrev_b32_e32 v17, 1
	s_and_saveexec_b64 s[88:89], vcc
	s_cbranch_execz .LBB2_1204
; %bb.1201:                             ;   in Loop: Header=BB2_1033 Depth=2
	v_and_b32_e32 v50, 0x7f, v18
	v_cmp_ne_u32_e32 vcc, s53, v50
	v_mov_b32_e32 v17, 0x7f800001
	s_and_saveexec_b64 s[90:91], vcc
	s_cbranch_execz .LBB2_1203
; %bb.1202:                             ;   in Loop: Header=BB2_1033 Depth=2
	v_and_b32_e32 v24, 7, v16
	v_ffbh_u32_e32 v17, v24
	v_lshrrev_b32_e32 v25, 3, v50
	v_cmp_gt_u32_e32 vcc, 8, v50
	v_min_u32_e32 v50, 32, v17
	v_subrev_u32_e32 v17, 28, v50
	v_lshlrev_b64 v[16:17], v17, v[16:17]
	v_sub_u32_e32 v17, 29, v50
	v_and_b32_e32 v16, 7, v16
	v_cndmask_b32_e32 v17, v25, v17, vcc
	v_cndmask_b32_e32 v16, v24, v16, vcc
	v_lshlrev_b32_e32 v18, 24, v18
	v_lshlrev_b32_e32 v16, 20, v16
	v_and_b32_e32 v18, 0x80000000, v18
	v_lshl_add_u32 v17, v17, 23, v3
	v_or3_b32 v17, v18, v17, v16
.LBB2_1203:                             ;   in Loop: Header=BB2_1033 Depth=2
	s_or_b64 exec, exec, s[90:91]
.LBB2_1204:                             ;   in Loop: Header=BB2_1033 Depth=2
	s_or_b64 exec, exec, s[88:89]
.LBB2_1205:                             ;   in Loop: Header=BB2_1033 Depth=2
	s_or_b64 exec, exec, s[20:21]
	v_add_f32_e32 v16, v36, v17
	v_and_b32_e32 v36, 0x7f800000, v16
	v_cmp_ne_u64_e32 vcc, s[56:57], v[36:37]
                                        ; implicit-def: $vgpr18
	s_and_saveexec_b64 s[20:21], vcc
	s_xor_b64 s[88:89], exec, s[20:21]
	s_cbranch_execz .LBB2_1223
; %bb.1206:                             ;   in Loop: Header=BB2_1033 Depth=2
	v_and_b32_e32 v36, 0x7fffffff, v16
	v_cmp_gt_u64_e32 vcc, s[58:59], v[36:37]
	v_and_b32_sdwa v55, v16, s52 dst_sel:DWORD dst_unused:UNUSED_PAD src0_sel:BYTE_3 src1_sel:DWORD
                                        ; implicit-def: $vgpr18
	s_and_saveexec_b64 s[20:21], vcc
	s_xor_b64 s[90:91], exec, s[20:21]
	s_cbranch_execz .LBB2_1220
; %bb.1207:                             ;   in Loop: Header=BB2_1033 Depth=2
	v_cmp_ne_u32_e32 vcc, 0, v16
	v_mov_b32_e32 v18, 0
	s_and_saveexec_b64 s[92:93], vcc
	s_cbranch_execz .LBB2_1219
; %bb.1208:                             ;   in Loop: Header=BB2_1033 Depth=2
	v_bfe_u32 v18, v16, 23, 8
	v_and_b32_e32 v17, 0x7fffff, v16
	v_cmp_gt_u32_e64 s[20:21], s54, v18
	v_sub_u32_e32 v16, 0x79, v18
	v_cmp_eq_u32_e32 vcc, 0, v18
	v_cndmask_b32_e64 v16, 0, v16, s[20:21]
	v_cndmask_b32_e32 v42, v16, v2, vcc
	v_or_b32_e32 v24, 0x800000, v17
	v_add_u32_e32 v16, 20, v42
	v_cndmask_b32_e32 v36, v24, v17, vcc
	v_lshlrev_b64 v[16:17], v16, -1
	v_add_u32_e32 v24, 19, v42
	v_lshlrev_b64 v[24:25], v24, 1
	v_bfi_b32 v17, v17, 0, 0
	v_bfi_b32 v16, v16, 0, v36
	v_cmp_eq_u64_e64 s[20:21], v[16:17], v[24:25]
	v_lshrrev_b64 v[16:17], v42, v[36:37]
	v_mov_b32_e32 v51, v17
	v_mov_b32_e32 v50, v16
	s_and_saveexec_b64 s[94:95], s[20:21]
; %bb.1209:                             ;   in Loop: Header=BB2_1033 Depth=2
	v_bfe_u32 v17, v16, 20, 1
	v_add_co_u32_e64 v17, s[20:21], v16, v17
	v_add_co_u32_e64 v50, s[20:21], -1, v17
; %bb.1210:                             ;   in Loop: Header=BB2_1033 Depth=2
	s_or_b64 exec, exec, s[94:95]
	v_add_u32_e32 v17, 0xffffff81, v18
	v_cndmask_b32_e32 v17, v17, v20, vcc
	v_lshrrev_b32_e32 v18, 23, v16
	v_add3_u32 v51, v42, v17, v18
	v_add_u32_e32 v18, 6, v51
	v_and_b32_e32 v17, 0xfffff, v50
	v_add_u32_e32 v36, v17, v16
	v_cmp_ne_u32_e32 vcc, 0, v18
                                        ; implicit-def: $vgpr16_vgpr17
                                        ; implicit-def: $vgpr50
	s_and_saveexec_b64 s[20:21], vcc
	s_xor_b64 s[20:21], exec, s[20:21]
; %bb.1211:                             ;   in Loop: Header=BB2_1033 Depth=2
	v_cmp_lt_u64_e32 vcc, s[60:61], v[36:37]
	v_add_u32_e32 v16, 7, v51
	v_cndmask_b32_e32 v50, v18, v16, vcc
	v_cndmask_b32_e64 v16, 0, 1, vcc
	v_lshrrev_b64 v[16:17], v16, v[36:37]
; %bb.1212:                             ;   in Loop: Header=BB2_1033 Depth=2
	s_andn2_saveexec_b64 s[20:21], s[20:21]
; %bb.1213:                             ;   in Loop: Header=BB2_1033 Depth=2
	v_mov_b32_e32 v16, v36
	v_bfe_u32 v50, v36, 23, 1
	v_mov_b32_e32 v17, v37
; %bb.1214:                             ;   in Loop: Header=BB2_1033 Depth=2
	s_or_b64 exec, exec, s[20:21]
	v_lshrrev_b64 v[16:17], 20, v[16:17]
	v_cmp_gt_i32_e32 vcc, 16, v50
	v_cndmask_b32_e32 v17, 0, v17, vcc
	v_cndmask_b32_e32 v16, 7, v16, vcc
	v_cmp_ne_u64_e32 vcc, 0, v[16:17]
	v_cmp_ne_u32_e64 s[20:21], 0, v50
	s_or_b64 s[20:21], s[20:21], vcc
                                        ; implicit-def: $vgpr18
	s_and_saveexec_b64 s[94:95], s[20:21]
	s_xor_b64 s[20:21], exec, s[94:95]
; %bb.1215:                             ;   in Loop: Header=BB2_1033 Depth=2
	v_min_i32_e32 v17, 15, v50
	v_lshl_or_b32 v17, v17, 3, v55
	v_and_or_b32 v18, v16, 7, v17
                                        ; implicit-def: $vgpr55
; %bb.1216:                             ;   in Loop: Header=BB2_1033 Depth=2
	s_andn2_saveexec_b64 s[20:21], s[20:21]
; %bb.1217:                             ;   in Loop: Header=BB2_1033 Depth=2
	v_mov_b32_e32 v18, v55
; %bb.1218:                             ;   in Loop: Header=BB2_1033 Depth=2
	s_or_b64 exec, exec, s[20:21]
.LBB2_1219:                             ;   in Loop: Header=BB2_1033 Depth=2
	s_or_b64 exec, exec, s[92:93]
                                        ; implicit-def: $vgpr55
.LBB2_1220:                             ;   in Loop: Header=BB2_1033 Depth=2
	s_andn2_saveexec_b64 s[20:21], s[90:91]
; %bb.1221:                             ;   in Loop: Header=BB2_1033 Depth=2
	v_or_b32_e32 v18, 0x7e, v55
; %bb.1222:                             ;   in Loop: Header=BB2_1033 Depth=2
	s_or_b64 exec, exec, s[20:21]
                                        ; implicit-def: $vgpr16
.LBB2_1223:                             ;   in Loop: Header=BB2_1033 Depth=2
	s_andn2_saveexec_b64 s[20:21], s[88:89]
; %bb.1224:                             ;   in Loop: Header=BB2_1033 Depth=2
	v_or_b32_sdwa v18, v16, s53 dst_sel:DWORD dst_unused:UNUSED_PAD src0_sel:BYTE_3 src1_sel:DWORD
; %bb.1225:                             ;   in Loop: Header=BB2_1033 Depth=2
	s_or_b64 exec, exec, s[20:21]
	v_and_b32_e32 v16, 0xff, v54
	v_cmp_ne_u16_e32 vcc, 0, v16
	v_mov_b32_e32 v17, 0
	v_mov_b32_e32 v36, 0
	s_and_saveexec_b64 s[20:21], vcc
	s_cbranch_execz .LBB2_1231
; %bb.1226:                             ;   in Loop: Header=BB2_1033 Depth=2
	v_cmp_ne_u16_e32 vcc, s52, v16
	v_bfrev_b32_e32 v36, 1
	s_and_saveexec_b64 s[88:89], vcc
	s_cbranch_execz .LBB2_1230
; %bb.1227:                             ;   in Loop: Header=BB2_1033 Depth=2
	v_and_b32_e32 v50, 0x7f, v54
	v_cmp_ne_u32_e32 vcc, s53, v50
	v_mov_b32_e32 v36, 0x7f800001
	s_and_saveexec_b64 s[90:91], vcc
	s_cbranch_execz .LBB2_1229
; %bb.1228:                             ;   in Loop: Header=BB2_1033 Depth=2
	v_and_b32_e32 v36, 7, v16
	v_ffbh_u32_e32 v24, v36
	v_lshrrev_b32_e32 v51, 3, v50
	v_cmp_gt_u32_e32 vcc, 8, v50
	v_min_u32_e32 v50, 32, v24
	v_subrev_u32_e32 v24, 28, v50
	v_lshlrev_b64 v[24:25], v24, v[16:17]
	v_sub_u32_e32 v16, 29, v50
	v_and_b32_e32 v24, 7, v24
	v_cndmask_b32_e32 v16, v51, v16, vcc
	v_cndmask_b32_e32 v24, v36, v24, vcc
	v_lshlrev_b32_e32 v25, 24, v54
	v_lshlrev_b32_e32 v24, 20, v24
	v_and_b32_e32 v25, 0x80000000, v25
	v_lshl_add_u32 v16, v16, 23, v3
	v_or3_b32 v36, v25, v16, v24
.LBB2_1229:                             ;   in Loop: Header=BB2_1033 Depth=2
	s_or_b64 exec, exec, s[90:91]
.LBB2_1230:                             ;   in Loop: Header=BB2_1033 Depth=2
	s_or_b64 exec, exec, s[88:89]
.LBB2_1231:                             ;   in Loop: Header=BB2_1033 Depth=2
	s_or_b64 exec, exec, s[20:21]
	v_and_b32_e32 v16, 0xff, v52
	v_cmp_ne_u16_e32 vcc, 0, v16
	s_and_saveexec_b64 s[20:21], vcc
	s_cbranch_execz .LBB2_1237
; %bb.1232:                             ;   in Loop: Header=BB2_1033 Depth=2
	v_cmp_ne_u16_e32 vcc, s52, v16
	v_bfrev_b32_e32 v17, 1
	s_and_saveexec_b64 s[88:89], vcc
	s_cbranch_execz .LBB2_1236
; %bb.1233:                             ;   in Loop: Header=BB2_1033 Depth=2
	v_and_b32_e32 v50, 0x7f, v52
	v_cmp_ne_u32_e32 vcc, s53, v50
	v_mov_b32_e32 v17, 0x7f800001
	s_and_saveexec_b64 s[90:91], vcc
	s_cbranch_execz .LBB2_1235
; %bb.1234:                             ;   in Loop: Header=BB2_1033 Depth=2
	v_and_b32_e32 v24, 7, v16
	v_ffbh_u32_e32 v17, v24
	v_lshrrev_b32_e32 v25, 3, v50
	v_cmp_gt_u32_e32 vcc, 8, v50
	v_min_u32_e32 v50, 32, v17
	v_subrev_u32_e32 v17, 28, v50
	v_lshlrev_b64 v[16:17], v17, v[16:17]
	v_sub_u32_e32 v17, 29, v50
	v_and_b32_e32 v16, 7, v16
	v_cndmask_b32_e32 v17, v25, v17, vcc
	v_cndmask_b32_e32 v16, v24, v16, vcc
	v_lshlrev_b32_e32 v24, 24, v52
	v_lshlrev_b32_e32 v16, 20, v16
	v_and_b32_e32 v24, 0x80000000, v24
	v_lshl_add_u32 v17, v17, 23, v3
	v_or3_b32 v17, v24, v17, v16
.LBB2_1235:                             ;   in Loop: Header=BB2_1033 Depth=2
	s_or_b64 exec, exec, s[90:91]
.LBB2_1236:                             ;   in Loop: Header=BB2_1033 Depth=2
	s_or_b64 exec, exec, s[88:89]
.LBB2_1237:                             ;   in Loop: Header=BB2_1033 Depth=2
	s_or_b64 exec, exec, s[20:21]
	v_add_f32_e32 v16, v36, v17
	v_and_b32_e32 v36, 0x7f800000, v16
	v_cmp_ne_u64_e32 vcc, s[56:57], v[36:37]
                                        ; implicit-def: $vgpr52
	s_and_saveexec_b64 s[20:21], vcc
	s_xor_b64 s[88:89], exec, s[20:21]
	s_cbranch_execz .LBB2_1255
; %bb.1238:                             ;   in Loop: Header=BB2_1033 Depth=2
	v_and_b32_e32 v36, 0x7fffffff, v16
	v_cmp_gt_u64_e32 vcc, s[58:59], v[36:37]
	v_and_b32_sdwa v54, v16, s52 dst_sel:DWORD dst_unused:UNUSED_PAD src0_sel:BYTE_3 src1_sel:DWORD
                                        ; implicit-def: $vgpr52
	s_and_saveexec_b64 s[20:21], vcc
	s_xor_b64 s[90:91], exec, s[20:21]
	s_cbranch_execz .LBB2_1252
; %bb.1239:                             ;   in Loop: Header=BB2_1033 Depth=2
	v_cmp_ne_u32_e32 vcc, 0, v16
	v_mov_b32_e32 v52, 0
	s_and_saveexec_b64 s[92:93], vcc
	s_cbranch_execz .LBB2_1251
; %bb.1240:                             ;   in Loop: Header=BB2_1033 Depth=2
	v_bfe_u32 v52, v16, 23, 8
	v_and_b32_e32 v17, 0x7fffff, v16
	v_cmp_gt_u32_e64 s[20:21], s54, v52
	v_sub_u32_e32 v16, 0x79, v52
	v_cmp_eq_u32_e32 vcc, 0, v52
	v_cndmask_b32_e64 v16, 0, v16, s[20:21]
	v_cndmask_b32_e32 v55, v16, v2, vcc
	v_or_b32_e32 v24, 0x800000, v17
	v_add_u32_e32 v16, 20, v55
	v_cndmask_b32_e32 v36, v24, v17, vcc
	v_lshlrev_b64 v[16:17], v16, -1
	v_add_u32_e32 v24, 19, v55
	v_lshlrev_b64 v[24:25], v24, 1
	v_bfi_b32 v17, v17, 0, 0
	v_bfi_b32 v16, v16, 0, v36
	v_cmp_eq_u64_e64 s[20:21], v[16:17], v[24:25]
	v_lshrrev_b64 v[16:17], v55, v[36:37]
	v_mov_b32_e32 v51, v17
	v_mov_b32_e32 v50, v16
	s_and_saveexec_b64 s[94:95], s[20:21]
; %bb.1241:                             ;   in Loop: Header=BB2_1033 Depth=2
	v_bfe_u32 v17, v16, 20, 1
	v_add_co_u32_e64 v17, s[20:21], v16, v17
	v_add_co_u32_e64 v50, s[20:21], -1, v17
; %bb.1242:                             ;   in Loop: Header=BB2_1033 Depth=2
	s_or_b64 exec, exec, s[94:95]
	v_add_u32_e32 v17, 0xffffff81, v52
	v_cndmask_b32_e32 v17, v17, v20, vcc
	v_lshrrev_b32_e32 v24, 23, v16
	v_add3_u32 v52, v55, v17, v24
	v_add_u32_e32 v51, 6, v52
	v_and_b32_e32 v17, 0xfffff, v50
	v_add_u32_e32 v36, v17, v16
	v_cmp_ne_u32_e32 vcc, 0, v51
                                        ; implicit-def: $vgpr16_vgpr17
                                        ; implicit-def: $vgpr50
	s_and_saveexec_b64 s[20:21], vcc
	s_xor_b64 s[20:21], exec, s[20:21]
; %bb.1243:                             ;   in Loop: Header=BB2_1033 Depth=2
	v_cmp_lt_u64_e32 vcc, s[60:61], v[36:37]
	v_add_u32_e32 v16, 7, v52
	v_cndmask_b32_e32 v50, v51, v16, vcc
	v_cndmask_b32_e64 v16, 0, 1, vcc
	v_lshrrev_b64 v[16:17], v16, v[36:37]
; %bb.1244:                             ;   in Loop: Header=BB2_1033 Depth=2
	s_andn2_saveexec_b64 s[20:21], s[20:21]
; %bb.1245:                             ;   in Loop: Header=BB2_1033 Depth=2
	v_mov_b32_e32 v16, v36
	v_bfe_u32 v50, v36, 23, 1
	v_mov_b32_e32 v17, v37
; %bb.1246:                             ;   in Loop: Header=BB2_1033 Depth=2
	s_or_b64 exec, exec, s[20:21]
	v_lshrrev_b64 v[16:17], 20, v[16:17]
	v_cmp_gt_i32_e32 vcc, 16, v50
	v_cndmask_b32_e32 v17, 0, v17, vcc
	v_cndmask_b32_e32 v16, 7, v16, vcc
	v_cmp_ne_u64_e32 vcc, 0, v[16:17]
	v_cmp_ne_u32_e64 s[20:21], 0, v50
	s_or_b64 s[20:21], s[20:21], vcc
                                        ; implicit-def: $vgpr52
	s_and_saveexec_b64 s[94:95], s[20:21]
	s_xor_b64 s[20:21], exec, s[94:95]
; %bb.1247:                             ;   in Loop: Header=BB2_1033 Depth=2
	v_min_i32_e32 v17, 15, v50
	v_lshl_or_b32 v17, v17, 3, v54
	v_and_or_b32 v52, v16, 7, v17
                                        ; implicit-def: $vgpr54
; %bb.1248:                             ;   in Loop: Header=BB2_1033 Depth=2
	s_andn2_saveexec_b64 s[20:21], s[20:21]
; %bb.1249:                             ;   in Loop: Header=BB2_1033 Depth=2
	v_mov_b32_e32 v52, v54
; %bb.1250:                             ;   in Loop: Header=BB2_1033 Depth=2
	s_or_b64 exec, exec, s[20:21]
.LBB2_1251:                             ;   in Loop: Header=BB2_1033 Depth=2
	s_or_b64 exec, exec, s[92:93]
                                        ; implicit-def: $vgpr54
.LBB2_1252:                             ;   in Loop: Header=BB2_1033 Depth=2
	s_andn2_saveexec_b64 s[20:21], s[90:91]
; %bb.1253:                             ;   in Loop: Header=BB2_1033 Depth=2
	v_or_b32_e32 v52, 0x7e, v54
; %bb.1254:                             ;   in Loop: Header=BB2_1033 Depth=2
	s_or_b64 exec, exec, s[20:21]
                                        ; implicit-def: $vgpr16
.LBB2_1255:                             ;   in Loop: Header=BB2_1033 Depth=2
	s_andn2_saveexec_b64 s[20:21], s[88:89]
; %bb.1256:                             ;   in Loop: Header=BB2_1033 Depth=2
	v_or_b32_sdwa v52, v16, s53 dst_sel:DWORD dst_unused:UNUSED_PAD src0_sel:BYTE_3 src1_sel:DWORD
; %bb.1257:                             ;   in Loop: Header=BB2_1033 Depth=2
	s_or_b64 exec, exec, s[20:21]
	v_and_b32_e32 v16, 0xff, v35
	v_cmp_ne_u16_e32 vcc, 0, v16
	v_mov_b32_e32 v17, 0
	v_mov_b32_e32 v36, 0
	s_and_saveexec_b64 s[20:21], vcc
	s_cbranch_execz .LBB2_1263
; %bb.1258:                             ;   in Loop: Header=BB2_1033 Depth=2
	v_cmp_ne_u16_e32 vcc, s52, v16
	v_bfrev_b32_e32 v36, 1
	s_and_saveexec_b64 s[88:89], vcc
	s_cbranch_execz .LBB2_1262
; %bb.1259:                             ;   in Loop: Header=BB2_1033 Depth=2
	v_and_b32_e32 v50, 0x7f, v35
	v_cmp_ne_u32_e32 vcc, s53, v50
	v_mov_b32_e32 v36, 0x7f800001
	s_and_saveexec_b64 s[90:91], vcc
	s_cbranch_execz .LBB2_1261
; %bb.1260:                             ;   in Loop: Header=BB2_1033 Depth=2
	v_and_b32_e32 v36, 7, v16
	v_ffbh_u32_e32 v24, v36
	v_lshrrev_b32_e32 v51, 3, v50
	v_cmp_gt_u32_e32 vcc, 8, v50
	v_min_u32_e32 v50, 32, v24
	v_subrev_u32_e32 v24, 28, v50
	v_lshlrev_b64 v[24:25], v24, v[16:17]
	v_sub_u32_e32 v16, 29, v50
	v_and_b32_e32 v24, 7, v24
	v_cndmask_b32_e32 v16, v51, v16, vcc
	v_cndmask_b32_e32 v24, v36, v24, vcc
	v_lshlrev_b32_e32 v25, 24, v35
	v_lshlrev_b32_e32 v24, 20, v24
	v_and_b32_e32 v25, 0x80000000, v25
	v_lshl_add_u32 v16, v16, 23, v3
	v_or3_b32 v36, v25, v16, v24
.LBB2_1261:                             ;   in Loop: Header=BB2_1033 Depth=2
	s_or_b64 exec, exec, s[90:91]
.LBB2_1262:                             ;   in Loop: Header=BB2_1033 Depth=2
	s_or_b64 exec, exec, s[88:89]
.LBB2_1263:                             ;   in Loop: Header=BB2_1033 Depth=2
	s_or_b64 exec, exec, s[20:21]
	v_and_b32_e32 v16, 0xff, v31
	v_cmp_ne_u16_e32 vcc, 0, v16
	s_and_saveexec_b64 s[20:21], vcc
	s_cbranch_execz .LBB2_1269
; %bb.1264:                             ;   in Loop: Header=BB2_1033 Depth=2
	v_cmp_ne_u16_e32 vcc, s52, v16
	v_bfrev_b32_e32 v17, 1
	s_and_saveexec_b64 s[88:89], vcc
	s_cbranch_execz .LBB2_1268
; %bb.1265:                             ;   in Loop: Header=BB2_1033 Depth=2
	v_and_b32_e32 v35, 0x7f, v31
	v_cmp_ne_u32_e32 vcc, s53, v35
	v_mov_b32_e32 v17, 0x7f800001
	s_and_saveexec_b64 s[90:91], vcc
	s_cbranch_execz .LBB2_1267
; %bb.1266:                             ;   in Loop: Header=BB2_1033 Depth=2
	v_and_b32_e32 v24, 7, v16
	v_ffbh_u32_e32 v17, v24
	v_lshrrev_b32_e32 v25, 3, v35
	v_cmp_gt_u32_e32 vcc, 8, v35
	v_min_u32_e32 v35, 32, v17
	v_subrev_u32_e32 v17, 28, v35
	v_lshlrev_b64 v[16:17], v17, v[16:17]
	v_sub_u32_e32 v17, 29, v35
	v_and_b32_e32 v16, 7, v16
	v_cndmask_b32_e32 v17, v25, v17, vcc
	v_cndmask_b32_e32 v16, v24, v16, vcc
	v_lshlrev_b32_e32 v24, 24, v31
	v_lshlrev_b32_e32 v16, 20, v16
	v_and_b32_e32 v24, 0x80000000, v24
	v_lshl_add_u32 v17, v17, 23, v3
	v_or3_b32 v17, v24, v17, v16
.LBB2_1267:                             ;   in Loop: Header=BB2_1033 Depth=2
	s_or_b64 exec, exec, s[90:91]
.LBB2_1268:                             ;   in Loop: Header=BB2_1033 Depth=2
	s_or_b64 exec, exec, s[88:89]
.LBB2_1269:                             ;   in Loop: Header=BB2_1033 Depth=2
	s_or_b64 exec, exec, s[20:21]
	v_add_f32_e32 v16, v36, v17
	v_and_b32_e32 v36, 0x7f800000, v16
	v_cmp_ne_u64_e32 vcc, s[56:57], v[36:37]
                                        ; implicit-def: $vgpr17
	s_and_saveexec_b64 s[20:21], vcc
	s_xor_b64 s[88:89], exec, s[20:21]
	s_cbranch_execz .LBB2_1287
; %bb.1270:                             ;   in Loop: Header=BB2_1033 Depth=2
	v_and_b32_e32 v36, 0x7fffffff, v16
	v_cmp_gt_u64_e32 vcc, s[58:59], v[36:37]
	v_and_b32_sdwa v31, v16, s52 dst_sel:DWORD dst_unused:UNUSED_PAD src0_sel:BYTE_3 src1_sel:DWORD
                                        ; implicit-def: $vgpr17
	s_and_saveexec_b64 s[20:21], vcc
	s_xor_b64 s[90:91], exec, s[20:21]
	s_cbranch_execz .LBB2_1284
; %bb.1271:                             ;   in Loop: Header=BB2_1033 Depth=2
	v_cmp_ne_u32_e32 vcc, 0, v16
	v_mov_b32_e32 v17, 0
	s_and_saveexec_b64 s[92:93], vcc
	s_cbranch_execz .LBB2_1283
; %bb.1272:                             ;   in Loop: Header=BB2_1033 Depth=2
	v_bfe_u32 v35, v16, 23, 8
	v_and_b32_e32 v17, 0x7fffff, v16
	v_cmp_gt_u32_e64 s[20:21], s54, v35
	v_sub_u32_e32 v16, 0x79, v35
	v_cmp_eq_u32_e32 vcc, 0, v35
	v_cndmask_b32_e64 v16, 0, v16, s[20:21]
	v_cndmask_b32_e32 v54, v16, v2, vcc
	v_or_b32_e32 v24, 0x800000, v17
	v_add_u32_e32 v16, 20, v54
	v_cndmask_b32_e32 v36, v24, v17, vcc
	v_lshlrev_b64 v[16:17], v16, -1
	v_add_u32_e32 v24, 19, v54
	v_lshlrev_b64 v[24:25], v24, 1
	v_bfi_b32 v17, v17, 0, 0
	v_bfi_b32 v16, v16, 0, v36
	v_cmp_eq_u64_e64 s[20:21], v[16:17], v[24:25]
	v_lshrrev_b64 v[16:17], v54, v[36:37]
	v_mov_b32_e32 v51, v17
	v_mov_b32_e32 v50, v16
	s_and_saveexec_b64 s[94:95], s[20:21]
; %bb.1273:                             ;   in Loop: Header=BB2_1033 Depth=2
	v_bfe_u32 v17, v16, 20, 1
	v_add_co_u32_e64 v17, s[20:21], v16, v17
	v_add_co_u32_e64 v50, s[20:21], -1, v17
; %bb.1274:                             ;   in Loop: Header=BB2_1033 Depth=2
	s_or_b64 exec, exec, s[94:95]
	v_add_u32_e32 v17, 0xffffff81, v35
	v_cndmask_b32_e32 v17, v17, v20, vcc
	v_lshrrev_b32_e32 v24, 23, v16
	v_add3_u32 v54, v54, v17, v24
	v_add_u32_e32 v51, 6, v54
	v_and_b32_e32 v17, 0xfffff, v50
	v_add_u32_e32 v36, v17, v16
	v_cmp_ne_u32_e32 vcc, 0, v51
                                        ; implicit-def: $vgpr16_vgpr17
                                        ; implicit-def: $vgpr35
	s_and_saveexec_b64 s[20:21], vcc
	s_xor_b64 s[20:21], exec, s[20:21]
; %bb.1275:                             ;   in Loop: Header=BB2_1033 Depth=2
	v_cmp_lt_u64_e32 vcc, s[60:61], v[36:37]
	v_add_u32_e32 v16, 7, v54
	v_cndmask_b32_e32 v35, v51, v16, vcc
	v_cndmask_b32_e64 v16, 0, 1, vcc
	v_lshrrev_b64 v[16:17], v16, v[36:37]
; %bb.1276:                             ;   in Loop: Header=BB2_1033 Depth=2
	s_andn2_saveexec_b64 s[20:21], s[20:21]
; %bb.1277:                             ;   in Loop: Header=BB2_1033 Depth=2
	v_mov_b32_e32 v16, v36
	v_bfe_u32 v35, v36, 23, 1
	v_mov_b32_e32 v17, v37
; %bb.1278:                             ;   in Loop: Header=BB2_1033 Depth=2
	s_or_b64 exec, exec, s[20:21]
	v_lshrrev_b64 v[16:17], 20, v[16:17]
	v_cmp_gt_i32_e32 vcc, 16, v35
	v_cndmask_b32_e32 v17, 0, v17, vcc
	v_cndmask_b32_e32 v16, 7, v16, vcc
	v_cmp_ne_u64_e32 vcc, 0, v[16:17]
	v_cmp_ne_u32_e64 s[20:21], 0, v35
	s_or_b64 s[20:21], s[20:21], vcc
                                        ; implicit-def: $vgpr17
	s_and_saveexec_b64 s[94:95], s[20:21]
	s_xor_b64 s[20:21], exec, s[94:95]
; %bb.1279:                             ;   in Loop: Header=BB2_1033 Depth=2
	v_min_i32_e32 v17, 15, v35
	v_lshl_or_b32 v17, v17, 3, v31
	v_and_or_b32 v17, v16, 7, v17
                                        ; implicit-def: $vgpr31
; %bb.1280:                             ;   in Loop: Header=BB2_1033 Depth=2
	s_andn2_saveexec_b64 s[20:21], s[20:21]
; %bb.1281:                             ;   in Loop: Header=BB2_1033 Depth=2
	v_mov_b32_e32 v17, v31
; %bb.1282:                             ;   in Loop: Header=BB2_1033 Depth=2
	s_or_b64 exec, exec, s[20:21]
.LBB2_1283:                             ;   in Loop: Header=BB2_1033 Depth=2
	s_or_b64 exec, exec, s[92:93]
                                        ; implicit-def: $vgpr31
.LBB2_1284:                             ;   in Loop: Header=BB2_1033 Depth=2
	s_andn2_saveexec_b64 s[20:21], s[90:91]
; %bb.1285:                             ;   in Loop: Header=BB2_1033 Depth=2
	v_or_b32_e32 v17, 0x7e, v31
; %bb.1286:                             ;   in Loop: Header=BB2_1033 Depth=2
	s_or_b64 exec, exec, s[20:21]
                                        ; implicit-def: $vgpr16
.LBB2_1287:                             ;   in Loop: Header=BB2_1033 Depth=2
	s_andn2_saveexec_b64 s[20:21], s[88:89]
	s_cbranch_execz .LBB2_1032
; %bb.1288:                             ;   in Loop: Header=BB2_1033 Depth=2
	v_or_b32_sdwa v17, v16, s53 dst_sel:DWORD dst_unused:UNUSED_PAD src0_sel:BYTE_3 src1_sel:DWORD
	s_branch .LBB2_1032
.LBB2_1289:                             ;   in Loop: Header=BB2_49 Depth=1
	s_or_b64 exec, exec, s[78:79]
	buffer_load_dword v55, off, s[0:3], s33 offset:92 ; 4-byte Folded Reload
	buffer_load_dword v52, off, s[0:3], s33 offset:100 ; 4-byte Folded Reload
	;; [unrolled: 1-line block ×3, first 2 shown]
	v_mov_b32_e32 v54, 1
	v_mov_b32_e32 v40, 0xc8
	;; [unrolled: 1-line block ×4, first 2 shown]
.LBB2_1290:                             ;   in Loop: Header=BB2_49 Depth=1
	s_or_b64 exec, exec, s[76:77]
	v_and_b32_e32 v10, 0x7ffffe00, v60
	v_cmp_ne_u32_e32 vcc, v60, v10
	s_and_b64 exec, exec, vcc
	s_cbranch_execz .LBB2_1326
; %bb.1291:                             ;   in Loop: Header=BB2_49 Depth=1
	v_lshlrev_b32_e32 v1, 6, v1
	v_sub_u32_e32 v0, v0, v1
	v_lshlrev_b32_e32 v1, 6, v30
	v_sub_u32_e32 v1, v0, v1
	v_and_b32_e32 v0, 0x1ff, v60
	v_sub_u32_e32 v0, v0, v1
	v_cmp_lt_i32_e32 vcc, 0, v0
	s_and_b64 exec, exec, vcc
	s_cbranch_execz .LBB2_1326
; %bb.1292:                             ;   in Loop: Header=BB2_49 Depth=1
	s_trap 2
	ds_read_b128 v[11:14], v0
	ds_read_b64 v[15:16], v0
	v_add3_u32 v1, v10, v59, v1
	v_ashrrev_i32_e32 v17, 31, v1
	s_mov_b64 s[76:77], 0
	s_waitcnt lgkmcnt(0)
	v_add_co_u32_e32 v10, vcc, v11, v1
	v_addc_co_u32_e32 v11, vcc, v12, v17, vcc
	v_add_co_u32_e32 v12, vcc, v13, v1
	v_addc_co_u32_e32 v13, vcc, v14, v17, vcc
	;; [unrolled: 2-line block ×3, first 2 shown]
	s_branch .LBB2_1294
.LBB2_1293:                             ;   in Loop: Header=BB2_1294 Depth=2
	s_or_b64 exec, exec, s[20:21]
	v_add_co_u32_e32 v10, vcc, v10, v53
	v_addc_co_u32_e32 v11, vcc, 0, v11, vcc
	v_add_co_u32_e32 v12, vcc, v12, v53
	v_addc_co_u32_e32 v13, vcc, 0, v13, vcc
	v_sub_u32_e32 v0, v0, v53
	v_cmp_gt_i32_e32 vcc, 1, v0
	flat_store_byte v[14:15], v17 glc slc
	s_or_b64 s[76:77], vcc, s[76:77]
	v_add_co_u32_e32 v14, vcc, v14, v53
	v_addc_co_u32_e32 v15, vcc, 0, v15, vcc
	s_andn2_b64 exec, exec, s[76:77]
	s_cbranch_execz .LBB2_1326
.LBB2_1294:                             ;   Parent Loop BB2_49 Depth=1
                                        ; =>  This Inner Loop Header: Depth=2
	flat_load_ubyte v19, v[10:11] glc slc
	flat_load_ubyte v17, v[12:13] glc slc
	v_mov_b32_e32 v1, 0
	v_mov_b32_e32 v18, 0
	s_waitcnt vmcnt(0) lgkmcnt(0)
	v_cmp_ne_u16_e32 vcc, 0, v19
	s_and_saveexec_b64 s[20:21], vcc
	s_cbranch_execz .LBB2_1300
; %bb.1295:                             ;   in Loop: Header=BB2_1294 Depth=2
	v_cmp_ne_u16_e32 vcc, s52, v19
	v_bfrev_b32_e32 v18, 1
	s_and_saveexec_b64 s[78:79], vcc
	s_cbranch_execz .LBB2_1299
; %bb.1296:                             ;   in Loop: Header=BB2_1294 Depth=2
	v_and_b32_e32 v16, 0xffff, v19
	v_and_b32_e32 v30, 0x7f, v16
	v_cmp_ne_u32_e32 vcc, s53, v30
	v_mov_b32_e32 v18, 0x7f800001
	s_and_saveexec_b64 s[88:89], vcc
	s_cbranch_execz .LBB2_1298
; %bb.1297:                             ;   in Loop: Header=BB2_1294 Depth=2
	v_and_b32_e32 v18, 7, v16
	v_ffbh_u32_e32 v24, v18
	v_lshrrev_b32_e32 v31, 3, v30
	v_cmp_gt_u32_e32 vcc, 8, v30
	v_min_u32_e32 v30, 32, v24
	v_subrev_u32_e32 v24, 28, v30
	v_lshlrev_b64 v[24:25], v24, v[16:17]
	v_sub_u32_e32 v16, 29, v30
	v_and_b32_e32 v24, 7, v24
	v_cndmask_b32_e32 v16, v31, v16, vcc
	v_cndmask_b32_e32 v18, v18, v24, vcc
	v_lshlrev_b32_e32 v19, 24, v19
	v_lshlrev_b32_e32 v18, 20, v18
	v_and_b32_e32 v19, 0x80000000, v19
	v_lshl_add_u32 v16, v16, 23, v3
	v_or3_b32 v18, v19, v16, v18
.LBB2_1298:                             ;   in Loop: Header=BB2_1294 Depth=2
	s_or_b64 exec, exec, s[88:89]
.LBB2_1299:                             ;   in Loop: Header=BB2_1294 Depth=2
	s_or_b64 exec, exec, s[78:79]
.LBB2_1300:                             ;   in Loop: Header=BB2_1294 Depth=2
	s_or_b64 exec, exec, s[20:21]
	v_and_b32_e32 v16, 0xff, v17
	v_cmp_ne_u16_e32 vcc, 0, v16
	s_and_saveexec_b64 s[20:21], vcc
	s_cbranch_execz .LBB2_1306
; %bb.1301:                             ;   in Loop: Header=BB2_1294 Depth=2
	v_cmp_ne_u16_e32 vcc, s52, v16
	v_bfrev_b32_e32 v1, 1
	s_and_saveexec_b64 s[78:79], vcc
	s_cbranch_execz .LBB2_1305
; %bb.1302:                             ;   in Loop: Header=BB2_1294 Depth=2
	v_and_b32_e32 v19, 0x7f, v17
	v_cmp_ne_u32_e32 vcc, s53, v19
	v_mov_b32_e32 v1, 0x7f800001
	s_and_saveexec_b64 s[88:89], vcc
	s_cbranch_execz .LBB2_1304
; %bb.1303:                             ;   in Loop: Header=BB2_1294 Depth=2
	v_and_b32_e32 v1, 7, v16
	v_lshlrev_b32_e32 v17, 24, v17
	v_and_b32_e32 v25, 0x80000000, v17
	v_ffbh_u32_e32 v17, v1
	v_lshrrev_b32_e32 v24, 3, v19
	v_cmp_gt_u32_e32 vcc, 8, v19
	v_min_u32_e32 v19, 32, v17
	v_subrev_u32_e32 v17, 28, v19
	v_lshlrev_b64 v[16:17], v17, v[16:17]
	v_sub_u32_e32 v17, 29, v19
	v_and_b32_e32 v16, 7, v16
	v_cndmask_b32_e32 v17, v24, v17, vcc
	v_cndmask_b32_e32 v1, v1, v16, vcc
	v_lshlrev_b32_e32 v1, 20, v1
	v_lshl_add_u32 v16, v17, 23, v3
	v_or3_b32 v1, v25, v16, v1
.LBB2_1304:                             ;   in Loop: Header=BB2_1294 Depth=2
	s_or_b64 exec, exec, s[88:89]
.LBB2_1305:                             ;   in Loop: Header=BB2_1294 Depth=2
	s_or_b64 exec, exec, s[78:79]
.LBB2_1306:                             ;   in Loop: Header=BB2_1294 Depth=2
	s_or_b64 exec, exec, s[20:21]
	v_add_f32_e32 v16, v18, v1
	v_and_b32_e32 v36, 0x7f800000, v16
	v_cmp_ne_u64_e32 vcc, s[56:57], v[36:37]
                                        ; implicit-def: $vgpr17
	s_and_saveexec_b64 s[20:21], vcc
	s_xor_b64 s[78:79], exec, s[20:21]
	s_cbranch_execz .LBB2_1324
; %bb.1307:                             ;   in Loop: Header=BB2_1294 Depth=2
	v_and_b32_e32 v36, 0x7fffffff, v16
	v_cmp_gt_u64_e32 vcc, s[58:59], v[36:37]
	v_and_b32_sdwa v1, v16, s52 dst_sel:DWORD dst_unused:UNUSED_PAD src0_sel:BYTE_3 src1_sel:DWORD
                                        ; implicit-def: $vgpr17
	s_and_saveexec_b64 s[20:21], vcc
	s_xor_b64 s[88:89], exec, s[20:21]
	s_cbranch_execz .LBB2_1321
; %bb.1308:                             ;   in Loop: Header=BB2_1294 Depth=2
	v_cmp_ne_u32_e32 vcc, 0, v16
	v_mov_b32_e32 v17, 0
	s_and_saveexec_b64 s[90:91], vcc
	s_cbranch_execz .LBB2_1320
; %bb.1309:                             ;   in Loop: Header=BB2_1294 Depth=2
	v_bfe_u32 v18, v16, 23, 8
	v_and_b32_e32 v17, 0x7fffff, v16
	v_cmp_gt_u32_e64 s[20:21], s54, v18
	v_sub_u32_e32 v16, 0x79, v18
	v_cmp_eq_u32_e32 vcc, 0, v18
	v_cndmask_b32_e64 v16, 0, v16, s[20:21]
	v_cndmask_b32_e32 v19, v16, v2, vcc
	v_or_b32_e32 v24, 0x800000, v17
	v_add_u32_e32 v16, 20, v19
	v_cndmask_b32_e32 v36, v24, v17, vcc
	v_lshlrev_b64 v[16:17], v16, -1
	v_add_u32_e32 v24, 19, v19
	v_lshlrev_b64 v[24:25], v24, 1
	v_bfi_b32 v17, v17, 0, 0
	v_bfi_b32 v16, v16, 0, v36
	v_cmp_eq_u64_e64 s[20:21], v[16:17], v[24:25]
	v_lshrrev_b64 v[16:17], v19, v[36:37]
	v_mov_b32_e32 v51, v17
	v_mov_b32_e32 v50, v16
	s_and_saveexec_b64 s[92:93], s[20:21]
; %bb.1310:                             ;   in Loop: Header=BB2_1294 Depth=2
	v_bfe_u32 v17, v16, 20, 1
	v_add_co_u32_e64 v17, s[20:21], v16, v17
	v_add_co_u32_e64 v50, s[20:21], -1, v17
; %bb.1311:                             ;   in Loop: Header=BB2_1294 Depth=2
	s_or_b64 exec, exec, s[92:93]
	v_add_u32_e32 v17, 0xffffff81, v18
	v_cndmask_b32_e32 v17, v17, v20, vcc
	v_lshrrev_b32_e32 v18, 23, v16
	v_add3_u32 v30, v19, v17, v18
	v_add_u32_e32 v19, 6, v30
	v_and_b32_e32 v17, 0xfffff, v50
	v_add_u32_e32 v36, v17, v16
	v_cmp_ne_u32_e32 vcc, 0, v19
                                        ; implicit-def: $vgpr16_vgpr17
                                        ; implicit-def: $vgpr18
	s_and_saveexec_b64 s[20:21], vcc
	s_xor_b64 s[20:21], exec, s[20:21]
; %bb.1312:                             ;   in Loop: Header=BB2_1294 Depth=2
	v_cmp_lt_u64_e32 vcc, s[60:61], v[36:37]
	v_add_u32_e32 v16, 7, v30
	v_cndmask_b32_e32 v18, v19, v16, vcc
	v_cndmask_b32_e64 v16, 0, 1, vcc
	v_lshrrev_b64 v[16:17], v16, v[36:37]
; %bb.1313:                             ;   in Loop: Header=BB2_1294 Depth=2
	s_andn2_saveexec_b64 s[20:21], s[20:21]
; %bb.1314:                             ;   in Loop: Header=BB2_1294 Depth=2
	v_mov_b32_e32 v16, v36
	v_bfe_u32 v18, v36, 23, 1
	v_mov_b32_e32 v17, v37
; %bb.1315:                             ;   in Loop: Header=BB2_1294 Depth=2
	s_or_b64 exec, exec, s[20:21]
	v_lshrrev_b64 v[16:17], 20, v[16:17]
	v_cmp_gt_i32_e32 vcc, 16, v18
	v_cndmask_b32_e32 v17, 0, v17, vcc
	v_cndmask_b32_e32 v16, 7, v16, vcc
	v_cmp_ne_u64_e32 vcc, 0, v[16:17]
	v_cmp_ne_u32_e64 s[20:21], 0, v18
	s_or_b64 s[20:21], s[20:21], vcc
                                        ; implicit-def: $vgpr17
	s_and_saveexec_b64 s[92:93], s[20:21]
	s_xor_b64 s[20:21], exec, s[92:93]
; %bb.1316:                             ;   in Loop: Header=BB2_1294 Depth=2
	v_min_i32_e32 v17, 15, v18
	v_lshl_or_b32 v1, v17, 3, v1
	v_and_or_b32 v17, v16, 7, v1
                                        ; implicit-def: $vgpr1
; %bb.1317:                             ;   in Loop: Header=BB2_1294 Depth=2
	s_andn2_saveexec_b64 s[20:21], s[20:21]
; %bb.1318:                             ;   in Loop: Header=BB2_1294 Depth=2
	v_mov_b32_e32 v17, v1
; %bb.1319:                             ;   in Loop: Header=BB2_1294 Depth=2
	s_or_b64 exec, exec, s[20:21]
.LBB2_1320:                             ;   in Loop: Header=BB2_1294 Depth=2
	s_or_b64 exec, exec, s[90:91]
                                        ; implicit-def: $vgpr1
.LBB2_1321:                             ;   in Loop: Header=BB2_1294 Depth=2
	s_andn2_saveexec_b64 s[20:21], s[88:89]
; %bb.1322:                             ;   in Loop: Header=BB2_1294 Depth=2
	v_or_b32_e32 v17, 0x7e, v1
; %bb.1323:                             ;   in Loop: Header=BB2_1294 Depth=2
	s_or_b64 exec, exec, s[20:21]
                                        ; implicit-def: $vgpr16
.LBB2_1324:                             ;   in Loop: Header=BB2_1294 Depth=2
	s_andn2_saveexec_b64 s[20:21], s[78:79]
	s_cbranch_execz .LBB2_1293
; %bb.1325:                             ;   in Loop: Header=BB2_1294 Depth=2
	v_or_b32_sdwa v17, v16, s53 dst_sel:DWORD dst_unused:UNUSED_PAD src0_sel:BYTE_3 src1_sel:DWORD
	s_branch .LBB2_1293
.LBB2_1326:                             ;   in Loop: Header=BB2_49 Depth=1
	s_or_b64 exec, exec, s[22:23]
	v_cmp_ne_u32_e64 s[20:21], 0, v42
	s_and_saveexec_b64 s[22:23], s[10:11]
	s_cbranch_execz .LBB2_1345
.LBB2_1327:                             ;   in Loop: Header=BB2_49 Depth=1
	s_and_saveexec_b64 s[76:77], s[42:43]
	s_xor_b64 s[76:77], exec, s[76:77]
	s_cbranch_execz .LBB2_1342
; %bb.1328:                             ;   in Loop: Header=BB2_49 Depth=1
	s_and_saveexec_b64 s[78:79], s[12:13]
	s_cbranch_execz .LBB2_1341
; %bb.1329:                             ;   in Loop: Header=BB2_49 Depth=1
	s_mov_b64 s[90:91], exec
	v_mbcnt_lo_u32_b32 v0, s90, 0
	v_mbcnt_hi_u32_b32 v0, s91, v0
	v_cmp_eq_u32_e32 vcc, 0, v0
	s_waitcnt vmcnt(0) lgkmcnt(0)
	buffer_wbinvl1_vol
	s_and_saveexec_b64 s[88:89], vcc
	s_cbranch_execz .LBB2_1331
; %bb.1330:                             ;   in Loop: Header=BB2_49 Depth=1
	s_bcnt1_i32_b64 s90, s[90:91]
	v_mov_b32_e32 v36, s90
	ds_add_u64 v0, v[36:37]
	s_trap 2
.LBB2_1331:                             ;   in Loop: Header=BB2_49 Depth=1
	s_or_b64 exec, exec, s[88:89]
	s_trap 2
	ds_read_b64 v[0:1], v0
	s_waitcnt lgkmcnt(0)
	v_add_co_u32_e32 v26, vcc, v26, v61
	v_addc_co_u32_e32 v27, vcc, 0, v27, vcc
	v_cmp_lt_u64_e32 vcc, v[0:1], v[26:27]
	s_and_saveexec_b64 s[88:89], vcc
	s_cbranch_execz .LBB2_1340
; %bb.1332:                             ;   in Loop: Header=BB2_49 Depth=1
	s_mov_b32 s36, 0
	s_mov_b64 s[90:91], 0
                                        ; implicit-def: $sgpr92_sgpr93
                                        ; implicit-def: $sgpr94_sgpr95
	s_branch .LBB2_1334
.LBB2_1333:                             ;   in Loop: Header=BB2_1334 Depth=2
	s_or_b64 exec, exec, s[34:35]
	s_and_b64 vcc, exec, vcc
	s_or_b64 s[90:91], vcc, s[90:91]
	s_andn2_b64 s[92:93], s[92:93], exec
	s_and_b64 vcc, s[94:95], exec
	s_or_b64 s[92:93], s[92:93], vcc
	s_andn2_b64 exec, exec, s[90:91]
	s_cbranch_execz .LBB2_1338
.LBB2_1334:                             ;   Parent Loop BB2_49 Depth=1
                                        ; =>  This Inner Loop Header: Depth=2
	s_add_i32 s36, s36, 1
	s_cmpk_lg_i32 s36, 0x2710
	s_cselect_b64 s[30:31], -1, 0
	s_and_b64 vcc, exec, s[30:31]
	s_cbranch_vccz .LBB2_1336
; %bb.1335:                             ;   in Loop: Header=BB2_1334 Depth=2
	s_mov_b64 vcc, -1
	s_or_b64 s[94:95], s[94:95], exec
	s_and_saveexec_b64 s[34:35], s[30:31]
	s_cbranch_execz .LBB2_1333
	s_branch .LBB2_1337
.LBB2_1336:                             ;   in Loop: Header=BB2_1334 Depth=2
	s_trap 2
	ds_read_b64 v[0:1], v0
	s_andn2_b64 s[30:31], s[30:31], exec
	s_mov_b32 s36, 0
	s_waitcnt lgkmcnt(0)
	flat_load_dword v0, v[0:1] glc
	s_waitcnt vmcnt(0) lgkmcnt(0)
	buffer_wbinvl1_vol
	v_cmp_eq_u32_e32 vcc, 0, v0
	s_and_b64 vcc, vcc, exec
	s_or_b64 s[30:31], s[30:31], vcc
	s_mov_b64 vcc, -1
	s_or_b64 s[94:95], s[94:95], exec
	s_and_saveexec_b64 s[34:35], s[30:31]
	s_cbranch_execz .LBB2_1333
.LBB2_1337:                             ;   in Loop: Header=BB2_1334 Depth=2
	s_sleep 1
	s_trap 2
	ds_read_b64 v[0:1], v0
	s_waitcnt lgkmcnt(0)
	s_andn2_b64 s[94:95], s[94:95], exec
	v_cmp_ge_u64_e32 vcc, v[0:1], v[26:27]
	s_orn2_b64 vcc, vcc, exec
	s_branch .LBB2_1333
.LBB2_1338:                             ;   in Loop: Header=BB2_49 Depth=1
	s_or_b64 exec, exec, s[90:91]
	s_and_saveexec_b64 s[90:91], s[92:93]
	s_xor_b64 s[90:91], exec, s[90:91]
	s_cbranch_execz .LBB2_1340
; %bb.1339:                             ;   in Loop: Header=BB2_49 Depth=1
	ds_write_b32 v0, v54
	s_trap 2
.LBB2_1340:                             ;   in Loop: Header=BB2_49 Depth=1
	s_or_b64 exec, exec, s[88:89]
	;;#ASMSTART
	s_wakeup
	;;#ASMEND
.LBB2_1341:                             ;   in Loop: Header=BB2_49 Depth=1
	s_or_b64 exec, exec, s[78:79]
.LBB2_1342:                             ;   in Loop: Header=BB2_49 Depth=1
	s_andn2_saveexec_b64 s[76:77], s[76:77]
	s_cbranch_execz .LBB2_1344
; %bb.1343:                             ;   in Loop: Header=BB2_49 Depth=1
	s_waitcnt vmcnt(0) lgkmcnt(0)
	buffer_wbinvl1_vol
	s_barrier
.LBB2_1344:                             ;   in Loop: Header=BB2_49 Depth=1
	s_or_b64 exec, exec, s[76:77]
.LBB2_1345:                             ;   in Loop: Header=BB2_49 Depth=1
	s_or_b64 exec, exec, s[22:23]
	v_and_b32_e32 v0, 16, v57
	v_cmp_ne_u32_e32 vcc, 0, v0
	s_and_b64 s[22:23], vcc, s[20:21]
	s_and_saveexec_b64 s[20:21], s[22:23]
	s_cbranch_execz .LBB2_1347
; %bb.1346:                             ;   in Loop: Header=BB2_49 Depth=1
	s_waitcnt vmcnt(0) lgkmcnt(0)
	buffer_wbinvl1_vol
.LBB2_1347:                             ;   in Loop: Header=BB2_49 Depth=1
	s_or_b64 exec, exec, s[20:21]
	v_cmp_ne_u32_e32 vcc, 0, v0
	s_xor_b64 s[20:21], s[18:19], -1
	s_and_b64 s[22:23], vcc, s[20:21]
	s_and_saveexec_b64 s[20:21], s[22:23]
	s_cbranch_execz .LBB2_1349
; %bb.1348:                             ;   in Loop: Header=BB2_49 Depth=1
	buffer_load_dword v0, off, s[0:3], s33 offset:72 ; 4-byte Folded Reload
	buffer_load_dword v1, off, s[0:3], s33 offset:76 ; 4-byte Folded Reload
	s_waitcnt vmcnt(0)
	flat_store_dword v[0:1], v54
.LBB2_1349:                             ;   in Loop: Header=BB2_49 Depth=1
	s_or_b64 exec, exec, s[20:21]
	v_and_b32_e32 v0, 48, v57
	v_cmp_ne_u32_e32 vcc, 0, v0
	s_and_saveexec_b64 s[20:21], vcc
	s_cbranch_execz .LBB2_1351
; %bb.1350:                             ;   in Loop: Header=BB2_49 Depth=1
	v_add_co_u32_e32 v8, vcc, 1, v8
	v_addc_co_u32_e32 v9, vcc, 0, v9, vcc
	flat_store_dwordx2 v[22:23], v[8:9]
.LBB2_1351:                             ;   in Loop: Header=BB2_49 Depth=1
	s_or_b64 exec, exec, s[20:21]
	v_mov_b32_e32 v0, v49
.LBB2_1352:                             ;   in Loop: Header=BB2_49 Depth=1
	s_or_b64 exec, exec, s[74:75]
	s_and_saveexec_b64 s[22:23], s[72:73]
	s_cbranch_execz .LBB2_48
; %bb.1353:                             ;   in Loop: Header=BB2_49 Depth=1
	v_sub_u32_e32 v0, v48, v0
	v_min_i32_e32 v10, v49, v0
	v_and_b32_e32 v0, 12, v57
	v_cmp_ne_u32_e32 vcc, 0, v0
	s_and_saveexec_b64 s[72:73], vcc
	s_cbranch_execz .LBB2_1377
; %bb.1354:                             ;   in Loop: Header=BB2_49 Depth=1
	v_and_b32_e32 v0, 8, v57
	v_add_co_u32_e32 v14, vcc, v28, v0
	v_addc_co_u32_e32 v15, vcc, 0, v29, vcc
	s_waitcnt lgkmcnt(0)
	v_add_co_u32_e32 v12, vcc, 1, v8
	v_addc_co_u32_e32 v13, vcc, 0, v9, vcc
	v_cmp_lt_u64_e32 vcc, v[14:15], v[12:13]
	s_and_saveexec_b64 s[74:75], vcc
	s_cbranch_execz .LBB2_1366
; %bb.1355:                             ;   in Loop: Header=BB2_49 Depth=1
	v_and_b32_e32 v1, 64, v57
	s_mov_b32 s38, 0
	v_cmp_eq_u32_e32 vcc, 0, v1
	s_mov_b64 s[76:77], 0
                                        ; implicit-def: $sgpr78_sgpr79
                                        ; implicit-def: $sgpr88_sgpr89
                                        ; implicit-def: $sgpr90_sgpr91
	s_branch .LBB2_1359
.LBB2_1356:                             ;   in Loop: Header=BB2_1359 Depth=2
	s_waitcnt vmcnt(0) lgkmcnt(0)
	v_add_co_u32_e64 v14, s[20:21], v28, v0
	v_addc_co_u32_e64 v15, s[20:21], 0, v29, s[20:21]
	v_cmp_ge_u64_e64 s[20:21], v[14:15], v[12:13]
	s_or_b64 s[30:31], s[30:31], exec
	s_orn2_b64 s[94:95], s[20:21], exec
.LBB2_1357:                             ;   in Loop: Header=BB2_1359 Depth=2
	s_or_b64 exec, exec, s[36:37]
	s_andn2_b64 s[20:21], s[90:91], exec
	s_and_b64 s[90:91], s[30:31], exec
	s_or_b64 s[90:91], s[20:21], s[90:91]
	s_andn2_b64 s[20:21], s[88:89], exec
	s_and_b64 s[88:89], s[94:95], exec
	s_or_b64 s[88:89], s[20:21], s[88:89]
.LBB2_1358:                             ;   in Loop: Header=BB2_1359 Depth=2
	s_or_b64 exec, exec, s[92:93]
	s_and_b64 s[20:21], exec, s[88:89]
	s_or_b64 s[76:77], s[20:21], s[76:77]
	s_andn2_b64 s[20:21], s[78:79], exec
	s_and_b64 s[78:79], s[90:91], exec
	s_or_b64 s[78:79], s[20:21], s[78:79]
	s_andn2_b64 exec, exec, s[76:77]
	s_cbranch_execz .LBB2_1363
.LBB2_1359:                             ;   Parent Loop BB2_49 Depth=1
                                        ; =>  This Inner Loop Header: Depth=2
	s_sleep 1
	s_waitcnt vmcnt(0) lgkmcnt(0)
	flat_load_dwordx2 v[28:29], v[22:23] glc
	s_or_b64 s[90:91], s[90:91], exec
	s_or_b64 s[88:89], s[88:89], exec
                                        ; implicit-def: $vgpr1
	s_and_saveexec_b64 s[92:93], vcc
	s_cbranch_execz .LBB2_1358
; %bb.1360:                             ;   in Loop: Header=BB2_1359 Depth=2
	s_cmpk_lt_i32 s38, 0x270f
	s_cselect_b64 s[34:35], -1, 0
	s_cmpk_gt_i32 s38, 0x270e
	s_mov_b64 s[94:95], -1
	s_cbranch_scc0 .LBB2_1362
; %bb.1361:                             ;   in Loop: Header=BB2_1359 Depth=2
	s_trap 2
	ds_read_b64 v[14:15], v0
	s_andn2_b64 s[34:35], s[34:35], exec
	s_mov_b32 s38, 0
	s_mov_b64 s[30:31], 0
	s_waitcnt vmcnt(0) lgkmcnt(0)
	flat_load_dword v1, v[14:15] glc
	s_waitcnt vmcnt(0) lgkmcnt(0)
	buffer_wbinvl1_vol
	v_cmp_eq_u32_e64 s[20:21], 0, v1
	s_and_b64 s[20:21], s[20:21], exec
	s_or_b64 s[34:35], s[34:35], s[20:21]
	s_and_saveexec_b64 s[36:37], s[34:35]
	s_cbranch_execz .LBB2_1357
	s_branch .LBB2_1356
.LBB2_1362:                             ;   in Loop: Header=BB2_1359 Depth=2
	s_add_i32 s38, s38, 1
	s_mov_b64 s[30:31], -1
                                        ; implicit-def: $vgpr1
	s_and_saveexec_b64 s[36:37], s[34:35]
	s_cbranch_execz .LBB2_1357
	s_branch .LBB2_1356
.LBB2_1363:                             ;   in Loop: Header=BB2_49 Depth=1
	s_or_b64 exec, exec, s[76:77]
	s_xor_b64 s[20:21], s[78:79], -1
	s_and_saveexec_b64 s[76:77], s[20:21]
	s_xor_b64 s[20:21], exec, s[76:77]
	s_cbranch_execz .LBB2_1365
; %bb.1364:                             ;   in Loop: Header=BB2_49 Depth=1
	v_or_b32_e32 v57, 64, v57
	s_waitcnt lgkmcnt(0)
	ds_write_b32 v0, v1
	s_trap 2
.LBB2_1365:                             ;   in Loop: Header=BB2_49 Depth=1
	s_or_b64 exec, exec, s[20:21]
.LBB2_1366:                             ;   in Loop: Header=BB2_49 Depth=1
	s_or_b64 exec, exec, s[74:75]
	v_and_b32_e32 v1, 0x108, v57
	v_cmp_ne_u32_e32 vcc, s51, v1
	v_and_b32_e32 v1, 7, v8
	;;#ASMSTART
	s_wakeup
	;;#ASMEND
	s_and_saveexec_b64 s[20:21], vcc
	s_xor_b64 s[20:21], exec, s[20:21]
	s_andn2_saveexec_b64 s[20:21], s[20:21]
	s_cbranch_execz .LBB2_1368
; %bb.1367:                             ;   in Loop: Header=BB2_49 Depth=1
	v_mad_u64_u32 v[8:9], s[74:75], v1, 24, v[6:7]
	v_ashrrev_i32_e32 v11, 31, v10
	flat_store_dwordx2 v[8:9], v[10:11] offset:8
.LBB2_1368:                             ;   in Loop: Header=BB2_49 Depth=1
	s_or_b64 exec, exec, s[20:21]
	v_and_b32_e32 v8, 0x100, v57
	v_cmp_ne_u32_e32 vcc, 0, v8
	s_mov_b64 s[20:21], -1
                                        ; implicit-def: $vgpr8_vgpr9
	s_and_saveexec_b64 s[74:75], vcc
	s_cbranch_execz .LBB2_1372
; %bb.1369:                             ;   in Loop: Header=BB2_49 Depth=1
	v_mad_u64_u32 v[14:15], s[20:21], v1, 24, v[6:7]
	v_mov_b32_e32 v8, v15
	v_mad_u64_u32 v[8:9], s[20:21], v37, 24, v[8:9]
	v_mov_b32_e32 v15, v8
	flat_load_dword v8, v[14:15]
	s_waitcnt vmcnt(0) lgkmcnt(0)
	v_cmp_ne_u32_e32 vcc, 1, v8
	v_cmp_eq_u32_e64 s[20:21], 1, v8
                                        ; implicit-def: $vgpr8_vgpr9
	s_and_saveexec_b64 s[76:77], s[20:21]
	s_cbranch_execz .LBB2_1371
; %bb.1370:                             ;   in Loop: Header=BB2_49 Depth=1
	flat_load_dword v8, v[14:15] offset:4 glc
	s_waitcnt vmcnt(0) lgkmcnt(0)
	v_ashrrev_i32_e32 v9, 31, v8
.LBB2_1371:                             ;   in Loop: Header=BB2_49 Depth=1
	s_or_b64 exec, exec, s[76:77]
	s_orn2_b64 s[20:21], vcc, exec
.LBB2_1372:                             ;   in Loop: Header=BB2_49 Depth=1
	s_or_b64 exec, exec, s[74:75]
	s_and_saveexec_b64 s[74:75], s[20:21]
	s_cbranch_execz .LBB2_1374
; %bb.1373:                             ;   in Loop: Header=BB2_49 Depth=1
	buffer_load_dword v8, off, s[0:3], s33 offset:88 ; 4-byte Folded Reload
	s_waitcnt vmcnt(0)
	v_mul_lo_u32 v14, v1, v52
	v_mul_lo_u32 v11, v37, v8
	v_mad_u64_u32 v[8:9], s[20:21], v1, v8, 0
	v_add3_u32 v9, v9, v14, v11
.LBB2_1374:                             ;   in Loop: Header=BB2_49 Depth=1
	s_or_b64 exec, exec, s[74:75]
	v_cmp_eq_u32_e32 vcc, 0, v0
	buffer_load_dword v0, off, s[0:3], s33 offset:60 ; 4-byte Folded Reload
	buffer_load_dword v1, off, s[0:3], s33 offset:64 ; 4-byte Folded Reload
	v_cndmask_b32_e32 v11, v40, v41, vcc
	s_waitcnt vmcnt(0)
	v_add_co_u32_e32 v0, vcc, v0, v8
	v_addc_co_u32_e32 v1, vcc, v1, v9, vcc
	v_add_u32_e32 v8, v0, v11
	ds_write_b64 v8, v[0:1] offset:584
	v_and_b32_e32 v0, 0x2000, v57
	v_cmp_ne_u32_e32 vcc, 0, v0
	s_and_saveexec_b64 s[20:21], vcc
	s_cbranch_execz .LBB2_1376
; %bb.1375:                             ;   in Loop: Header=BB2_49 Depth=1
	ds_read_b64 v[0:1], v0 offset:872
	s_waitcnt lgkmcnt(0)
	v_add_co_u32_e32 v0, vcc, 1, v0
	v_addc_co_u32_e32 v1, vcc, 0, v1, vcc
	ds_write_b64 v0, v[0:1] offset:872
.LBB2_1376:                             ;   in Loop: Header=BB2_49 Depth=1
	s_or_b64 exec, exec, s[20:21]
	v_mov_b32_e32 v8, v12
	v_mov_b32_e32 v9, v13
.LBB2_1377:                             ;   in Loop: Header=BB2_49 Depth=1
	s_or_b64 exec, exec, s[72:73]
	s_and_saveexec_b64 s[20:21], s[10:11]
	s_cbranch_execz .LBB2_1396
; %bb.1378:                             ;   in Loop: Header=BB2_49 Depth=1
	s_and_saveexec_b64 s[72:73], s[42:43]
	s_xor_b64 s[72:73], exec, s[72:73]
	s_cbranch_execz .LBB2_1393
; %bb.1379:                             ;   in Loop: Header=BB2_49 Depth=1
	s_and_saveexec_b64 s[74:75], s[12:13]
	s_cbranch_execz .LBB2_1392
; %bb.1380:                             ;   in Loop: Header=BB2_49 Depth=1
	s_mov_b64 s[78:79], exec
	v_mbcnt_lo_u32_b32 v0, s78, 0
	v_mbcnt_hi_u32_b32 v0, s79, v0
	v_cmp_eq_u32_e32 vcc, 0, v0
	s_waitcnt vmcnt(0) lgkmcnt(0)
	buffer_wbinvl1_vol
	s_and_saveexec_b64 s[76:77], vcc
	s_cbranch_execz .LBB2_1382
; %bb.1381:                             ;   in Loop: Header=BB2_49 Depth=1
	s_bcnt1_i32_b64 s78, s[78:79]
	v_mov_b32_e32 v36, s78
	ds_add_u64 v0, v[36:37]
	s_trap 2
.LBB2_1382:                             ;   in Loop: Header=BB2_49 Depth=1
	s_or_b64 exec, exec, s[76:77]
	s_trap 2
	ds_read_b64 v[0:1], v0
	s_waitcnt lgkmcnt(0)
	v_add_co_u32_e32 v26, vcc, v26, v61
	v_addc_co_u32_e32 v27, vcc, 0, v27, vcc
	v_cmp_lt_u64_e32 vcc, v[0:1], v[26:27]
	s_and_saveexec_b64 s[76:77], vcc
	s_cbranch_execz .LBB2_1391
; %bb.1383:                             ;   in Loop: Header=BB2_49 Depth=1
	s_mov_b32 s30, 0
	s_mov_b64 s[78:79], 0
                                        ; implicit-def: $sgpr88_sgpr89
                                        ; implicit-def: $sgpr90_sgpr91
	s_branch .LBB2_1385
.LBB2_1384:                             ;   in Loop: Header=BB2_1385 Depth=2
	s_or_b64 exec, exec, s[94:95]
	s_and_b64 s[92:93], exec, vcc
	s_or_b64 s[78:79], s[92:93], s[78:79]
	s_andn2_b64 s[88:89], s[88:89], exec
	s_and_b64 s[92:93], s[90:91], exec
	s_or_b64 s[88:89], s[88:89], s[92:93]
	s_andn2_b64 exec, exec, s[78:79]
	s_cbranch_execz .LBB2_1389
.LBB2_1385:                             ;   Parent Loop BB2_49 Depth=1
                                        ; =>  This Inner Loop Header: Depth=2
	s_add_i32 s30, s30, 1
	s_cmpk_lg_i32 s30, 0x2710
	s_cselect_b64 s[92:93], -1, 0
	s_and_b64 vcc, exec, s[92:93]
	s_cbranch_vccz .LBB2_1387
; %bb.1386:                             ;   in Loop: Header=BB2_1385 Depth=2
	s_mov_b64 vcc, -1
	s_or_b64 s[90:91], s[90:91], exec
	s_and_saveexec_b64 s[94:95], s[92:93]
	s_cbranch_execz .LBB2_1384
	s_branch .LBB2_1388
.LBB2_1387:                             ;   in Loop: Header=BB2_1385 Depth=2
	s_trap 2
	ds_read_b64 v[0:1], v0
	s_andn2_b64 s[92:93], s[92:93], exec
	s_mov_b32 s30, 0
	s_waitcnt lgkmcnt(0)
	flat_load_dword v0, v[0:1] glc
	s_waitcnt vmcnt(0) lgkmcnt(0)
	buffer_wbinvl1_vol
	v_cmp_eq_u32_e32 vcc, 0, v0
	s_and_b64 s[94:95], vcc, exec
	s_or_b64 s[92:93], s[92:93], s[94:95]
	s_mov_b64 vcc, -1
	s_or_b64 s[90:91], s[90:91], exec
	s_and_saveexec_b64 s[94:95], s[92:93]
	s_cbranch_execz .LBB2_1384
.LBB2_1388:                             ;   in Loop: Header=BB2_1385 Depth=2
	s_sleep 1
	s_trap 2
	ds_read_b64 v[0:1], v0
	s_waitcnt lgkmcnt(0)
	s_andn2_b64 s[90:91], s[90:91], exec
	v_cmp_ge_u64_e32 vcc, v[0:1], v[26:27]
	s_orn2_b64 vcc, vcc, exec
	s_branch .LBB2_1384
.LBB2_1389:                             ;   in Loop: Header=BB2_49 Depth=1
	s_or_b64 exec, exec, s[78:79]
	s_and_saveexec_b64 s[78:79], s[88:89]
	s_xor_b64 s[78:79], exec, s[78:79]
	s_cbranch_execz .LBB2_1391
; %bb.1390:                             ;   in Loop: Header=BB2_49 Depth=1
	ds_write_b32 v0, v54
	s_trap 2
.LBB2_1391:                             ;   in Loop: Header=BB2_49 Depth=1
	s_or_b64 exec, exec, s[76:77]
	;;#ASMSTART
	s_wakeup
	;;#ASMEND
.LBB2_1392:                             ;   in Loop: Header=BB2_49 Depth=1
	s_or_b64 exec, exec, s[74:75]
.LBB2_1393:                             ;   in Loop: Header=BB2_49 Depth=1
	s_andn2_saveexec_b64 s[72:73], s[72:73]
	s_cbranch_execz .LBB2_1395
; %bb.1394:                             ;   in Loop: Header=BB2_49 Depth=1
	s_waitcnt vmcnt(0) lgkmcnt(0)
	buffer_wbinvl1_vol
	s_barrier
.LBB2_1395:                             ;   in Loop: Header=BB2_49 Depth=1
	s_or_b64 exec, exec, s[72:73]
.LBB2_1396:                             ;   in Loop: Header=BB2_49 Depth=1
	s_or_b64 exec, exec, s[20:21]
	s_trap 2
	ds_read_b32 v1, v0
	v_cmp_lt_i32_e32 vcc, 0, v10
	v_and_b32_e32 v0, 16, v57
	s_waitcnt lgkmcnt(0)
	v_readfirstlane_b32 s20, v1
	s_cmp_eq_u32 s20, 0
	s_cselect_b64 s[20:21], -1, 0
	s_and_b64 s[20:21], vcc, s[20:21]
	v_cmp_ne_u32_e32 vcc, 0, v0
	s_and_b64 s[72:73], vcc, s[20:21]
	s_and_saveexec_b64 s[20:21], s[72:73]
	s_cbranch_execz .LBB2_1398
; %bb.1397:                             ;   in Loop: Header=BB2_49 Depth=1
	s_waitcnt vmcnt(0)
	buffer_wbinvl1_vol
.LBB2_1398:                             ;   in Loop: Header=BB2_49 Depth=1
	s_or_b64 exec, exec, s[20:21]
	v_cmp_ne_u32_e32 vcc, 0, v0
	s_xor_b64 s[20:21], s[18:19], -1
	s_and_b64 s[72:73], vcc, s[20:21]
	s_and_saveexec_b64 s[20:21], s[72:73]
	s_cbranch_execz .LBB2_1400
; %bb.1399:                             ;   in Loop: Header=BB2_49 Depth=1
	buffer_load_dword v0, off, s[0:3], s33 offset:72 ; 4-byte Folded Reload
	buffer_load_dword v1, off, s[0:3], s33 offset:76 ; 4-byte Folded Reload
	s_waitcnt vmcnt(0)
	flat_store_dword v[0:1], v54
.LBB2_1400:                             ;   in Loop: Header=BB2_49 Depth=1
	s_or_b64 exec, exec, s[20:21]
	v_and_b32_e32 v0, 48, v57
	v_cmp_ne_u32_e32 vcc, 0, v0
	s_and_saveexec_b64 s[20:21], vcc
	s_cbranch_execz .LBB2_47
; %bb.1401:                             ;   in Loop: Header=BB2_49 Depth=1
	v_add_co_u32_e32 v8, vcc, 1, v8
	v_addc_co_u32_e32 v9, vcc, 0, v9, vcc
	flat_store_dwordx2 v[22:23], v[8:9]
	s_branch .LBB2_47
.LBB2_1402:
	s_or_b64 exec, exec, s[44:45]
	buffer_load_dword v44, off, s[0:3], s33 offset:108 ; 4-byte Folded Reload
	buffer_load_dword v45, off, s[0:3], s33 offset:112 ; 4-byte Folded Reload
	;; [unrolled: 1-line block ×5, first 2 shown]
.LBB2_1403:
	s_or_b64 exec, exec, s[40:41]
                                        ; implicit-def: $vgpr58_vgpr59
                                        ; implicit-def: $vgpr4_vgpr5
                                        ; implicit-def: $vgpr47
                                        ; implicit-def: $vgpr28_vgpr29
                                        ; implicit-def: $vgpr0_vgpr1
                                        ; kill: killed $vgpr0_vgpr1
                                        ; implicit-def: $vgpr22_vgpr23
                                        ; implicit-def: $vgpr55
                                        ; implicit-def: $vgpr18
                                        ; implicit-def: $vgpr32
.LBB2_1404:
	s_andn2_saveexec_b64 s[22:23], s[28:29]
	s_cbranch_execz .LBB2_2756
; %bb.1405:
	v_mov_b32_e32 v26, 0
	v_cmp_ne_u64_e32 vcc, 0, v[4:5]
	v_mov_b32_e32 v27, 0
	s_and_saveexec_b64 s[28:29], vcc
	s_cbranch_execz .LBB2_2755
; %bb.1406:
	s_waitcnt vmcnt(0)
	v_and_b32_e32 v0, 63, v45
	v_cmp_eq_u32_e64 s[12:13], 0, v0
	v_ashrrev_i32_e32 v0, 31, v55
	v_lshrrev_b32_e32 v0, 26, v0
	v_add_u32_e32 v0, v55, v0
	v_and_b32_e32 v1, 0xffffffc0, v0
	v_ashrrev_i32_e32 v0, 6, v0
	s_ashr_i32 s6, s48, 31
	v_sub_u32_e32 v0, 0, v0
	buffer_store_dword v47, off, s[0:3], s33 offset:88 ; 4-byte Folded Spill
	buffer_store_dword v60, off, s[0:3], s33 offset:128 ; 4-byte Folded Spill
	s_nop 0
	buffer_store_dword v61, off, s[0:3], s33 offset:132 ; 4-byte Folded Spill
	buffer_store_dword v58, off, s[0:3], s33 offset:80 ; 4-byte Folded Spill
	s_nop 0
	buffer_store_dword v59, off, s[0:3], s33 offset:84 ; 4-byte Folded Spill
	s_lshr_b32 s6, s6, 24
	s_trap 2
	buffer_store_dword v0, off, s[0:3], s33 offset:152 ; 4-byte Folded Spill
	v_lshlrev_b32_e32 v0, 4, v55
	s_add_i32 s6, s48, s6
	v_cmp_eq_u32_e32 vcc, 64, v44
	v_lshrrev_b32_e32 v2, 6, v44
	v_sub_u32_e32 v1, v55, v1
	buffer_store_dword v0, off, s[0:3], s33 offset:96 ; 4-byte Folded Spill
	v_ashrrev_i32_e32 v0, 31, v0
	v_mov_b32_e32 v36, 0
	v_mov_b32_e32 v26, 0
	s_mov_b32 s60, -1
	s_ashr_i32 s38, s6, 8
	v_cmp_ge_i32_e64 s[6:7], v55, v44
	v_cmp_ne_u32_e64 s[10:11], 64, v44
	buffer_store_dword v46, off, s[0:3], s33 offset:116 ; 4-byte Folded Spill
	v_cmp_ne_u32_sdwa s[40:41], v44, v46 src0_sel:DWORD src1_sel:WORD_0
	buffer_store_dword v45, off, s[0:3], s33 offset:112 ; 4-byte Folded Spill
	v_mov_b32_e32 v35, 0
	s_movk_i32 s39, 0xffc0
	v_cmp_le_i32_e64 s[14:15], v1, v18
	v_cmp_gt_i32_e64 s[16:17], 1, v1
	buffer_store_dword v0, off, s[0:3], s33 offset:164 ; 4-byte Folded Spill
	v_lshlrev_b32_e32 v46, 10, v2
	v_mov_b32_e32 v47, v2
	v_lshlrev_b32_e32 v0, 9, v2
	v_and_b32_e32 v24, 0x3fc0, v44
	s_mov_b64 s[42:43], 0
	v_mov_b32_e32 v37, 0
	v_mov_b32_e32 v27, 0
	s_xor_b64 s[44:45], vcc, -1
	s_movk_i32 s49, 0x80
	s_movk_i32 s50, 0x7f
	s_mov_b64 s[46:47], 0x7f800000
	s_mov_b64 s[56:57], 0x43e00001
	s_movk_i32 s51, 0x7a
	s_mov_b64 s[58:59], 0xffffff
	s_mov_b32 s61, 0xffffff
	s_mov_b32 s52, 0x3ffffc00
	v_bfrev_b32_e32 v60, 60
	v_mov_b32_e32 v61, 0x7f800001
	v_mov_b32_e32 v62, 0x78
	;; [unrolled: 1-line block ×3, first 2 shown]
	v_bfrev_b32_e32 v45, 1
	buffer_store_dword v1, off, s[0:3], s33 offset:160 ; 4-byte Folded Spill
	buffer_store_dword v0, off, s[0:3], s33 offset:68 ; 4-byte Folded Spill
	;; [unrolled: 1-line block ×5, first 2 shown]
	s_branch .LBB2_1409
.LBB2_1407:                             ;   in Loop: Header=BB2_1409 Depth=1
	s_or_b64 exec, exec, s[18:19]
.LBB2_1408:                             ;   in Loop: Header=BB2_1409 Depth=1
	s_or_b64 exec, exec, s[20:21]
	v_add_co_u32_e32 v36, vcc, v36, v32
	v_addc_co_u32_e32 v37, vcc, 0, v37, vcc
	v_cmp_ge_u64_e32 vcc, v[36:37], v[4:5]
	s_or_b64 s[42:43], vcc, s[42:43]
	s_andn2_b64 exec, exec, s[42:43]
	s_cbranch_execz .LBB2_2754
.LBB2_1409:                             ; =>This Loop Header: Depth=1
                                        ;     Child Loop BB2_1418 Depth 2
                                        ;     Child Loop BB2_1442 Depth 2
	;; [unrolled: 1-line block ×10, first 2 shown]
	v_sub_co_u32_e32 v0, vcc, v4, v36
	v_subb_co_u32_e32 v1, vcc, v5, v37, vcc
	v_cmp_lt_u64_e32 vcc, v[32:33], v[0:1]
	v_cndmask_b32_e64 v39, v1, 0, vcc
	v_cndmask_b32_e32 v38, v0, v32, vcc
	v_cmp_eq_u64_e32 vcc, 0, v[38:39]
	v_add_u32_e32 v0, 15, v38
	v_and_b32_e32 v0, 0x7ffffff0, v0
	s_or_b64 s[62:63], s[6:7], vcc
	v_max_i32_e32 v20, s38, v0
	s_xor_b64 s[18:19], s[62:63], -1
	v_mov_b32_e32 v0, v35
	s_and_saveexec_b64 s[72:73], s[18:19]
	s_cbranch_execz .LBB2_2708
; %bb.1410:                             ;   in Loop: Header=BB2_1409 Depth=1
	s_and_saveexec_b64 s[18:19], s[4:5]
	s_cbranch_execz .LBB2_1412
; %bb.1411:                             ;   in Loop: Header=BB2_1409 Depth=1
	s_trap 2
	ds_read2_b64 v[0:3], v0 offset1:1
	buffer_load_dword v10, off, s[0:3], s33 offset:80 ; 4-byte Folded Reload
	buffer_load_dword v11, off, s[0:3], s33 offset:84 ; 4-byte Folded Reload
	s_waitcnt vmcnt(0)
	v_add_co_u32_e32 v12, vcc, v36, v10
	v_addc_co_u32_e32 v13, vcc, v37, v11, vcc
	s_waitcnt lgkmcnt(0)
	ds_read_b64 v[10:11], v0
	v_add_co_u32_e32 v0, vcc, v0, v12
	v_addc_co_u32_e32 v1, vcc, v1, v13, vcc
	ds_write_b64 v0, v[0:1]
	v_add_co_u32_e32 v0, vcc, v2, v12
	v_addc_co_u32_e32 v1, vcc, v3, v13, vcc
	ds_write_b64 v0, v[0:1]
	s_waitcnt lgkmcnt(2)
	v_add_co_u32_e32 v0, vcc, v10, v12
	v_addc_co_u32_e32 v1, vcc, v11, v13, vcc
	v_cmp_ne_u64_e32 vcc, 0, v[10:11]
	v_cndmask_b32_e32 v1, 0, v1, vcc
	v_cndmask_b32_e32 v0, 0, v0, vcc
	ds_write_b64 v0, v[0:1]
.LBB2_1412:                             ;   in Loop: Header=BB2_1409 Depth=1
	s_or_b64 exec, exec, s[18:19]
	v_and_b32_e32 v0, 4, v57
	v_cmp_ne_u32_e32 vcc, 0, v0
	s_and_saveexec_b64 s[20:21], vcc
	s_cbranch_execz .LBB2_1434
; %bb.1413:                             ;   in Loop: Header=BB2_1409 Depth=1
	s_waitcnt lgkmcnt(0)
	v_add_co_u32_e32 v10, vcc, 1, v8
	v_addc_co_u32_e32 v11, vcc, 0, v9, vcc
	v_cmp_lt_u64_e32 vcc, v[28:29], v[10:11]
	s_and_saveexec_b64 s[74:75], vcc
	s_cbranch_execz .LBB2_1425
; %bb.1414:                             ;   in Loop: Header=BB2_1409 Depth=1
	v_and_b32_e32 v0, 64, v57
	s_mov_b32 s53, 0
	v_cmp_eq_u32_e32 vcc, 0, v0
	s_mov_b64 s[76:77], 0
                                        ; implicit-def: $sgpr78_sgpr79
                                        ; implicit-def: $sgpr88_sgpr89
                                        ; implicit-def: $sgpr90_sgpr91
	s_branch .LBB2_1418
.LBB2_1415:                             ;   in Loop: Header=BB2_1418 Depth=2
	s_waitcnt vmcnt(0) lgkmcnt(0)
	v_cmp_ge_u64_e64 s[18:19], v[28:29], v[10:11]
	s_or_b64 s[30:31], s[30:31], exec
	s_orn2_b64 s[94:95], s[18:19], exec
.LBB2_1416:                             ;   in Loop: Header=BB2_1418 Depth=2
	s_or_b64 exec, exec, s[36:37]
	s_andn2_b64 s[18:19], s[90:91], exec
	s_and_b64 s[90:91], s[30:31], exec
	s_or_b64 s[90:91], s[18:19], s[90:91]
	s_andn2_b64 s[18:19], s[88:89], exec
	s_and_b64 s[88:89], s[94:95], exec
	s_or_b64 s[88:89], s[18:19], s[88:89]
.LBB2_1417:                             ;   in Loop: Header=BB2_1418 Depth=2
	s_or_b64 exec, exec, s[92:93]
	s_and_b64 s[18:19], exec, s[88:89]
	s_or_b64 s[76:77], s[18:19], s[76:77]
	s_andn2_b64 s[18:19], s[78:79], exec
	s_and_b64 s[78:79], s[90:91], exec
	s_or_b64 s[78:79], s[18:19], s[78:79]
	s_andn2_b64 exec, exec, s[76:77]
	s_cbranch_execz .LBB2_1422
.LBB2_1418:                             ;   Parent Loop BB2_1409 Depth=1
                                        ; =>  This Inner Loop Header: Depth=2
	s_sleep 1
	s_waitcnt vmcnt(0) lgkmcnt(0)
	flat_load_dwordx2 v[28:29], v[22:23] glc
	s_or_b64 s[90:91], s[90:91], exec
	s_or_b64 s[88:89], s[88:89], exec
                                        ; implicit-def: $vgpr0
	s_and_saveexec_b64 s[92:93], vcc
	s_cbranch_execz .LBB2_1417
; %bb.1419:                             ;   in Loop: Header=BB2_1418 Depth=2
	s_cmpk_lt_i32 s53, 0x270f
	s_cselect_b64 s[34:35], -1, 0
	s_cmpk_gt_i32 s53, 0x270e
	s_mov_b64 s[94:95], -1
	s_cbranch_scc0 .LBB2_1421
; %bb.1420:                             ;   in Loop: Header=BB2_1418 Depth=2
	s_trap 2
	ds_read_b64 v[0:1], v0
	s_andn2_b64 s[34:35], s[34:35], exec
	s_mov_b32 s53, 0
	s_mov_b64 s[30:31], 0
	s_waitcnt vmcnt(0) lgkmcnt(0)
	flat_load_dword v0, v[0:1] glc
	s_waitcnt vmcnt(0) lgkmcnt(0)
	buffer_wbinvl1_vol
	v_cmp_eq_u32_e64 s[18:19], 0, v0
	s_and_b64 s[18:19], s[18:19], exec
	s_or_b64 s[34:35], s[34:35], s[18:19]
	s_and_saveexec_b64 s[36:37], s[34:35]
	s_cbranch_execz .LBB2_1416
	s_branch .LBB2_1415
.LBB2_1421:                             ;   in Loop: Header=BB2_1418 Depth=2
	s_add_i32 s53, s53, 1
	s_mov_b64 s[30:31], -1
                                        ; implicit-def: $vgpr0
	s_and_saveexec_b64 s[36:37], s[34:35]
	s_cbranch_execz .LBB2_1416
	s_branch .LBB2_1415
.LBB2_1422:                             ;   in Loop: Header=BB2_1409 Depth=1
	s_or_b64 exec, exec, s[76:77]
	s_xor_b64 s[18:19], s[78:79], -1
	s_and_saveexec_b64 s[76:77], s[18:19]
	s_xor_b64 s[18:19], exec, s[76:77]
	s_cbranch_execz .LBB2_1424
; %bb.1423:                             ;   in Loop: Header=BB2_1409 Depth=1
	v_or_b32_e32 v57, 64, v57
	s_waitcnt lgkmcnt(0)
	ds_write_b32 v0, v0
	s_trap 2
.LBB2_1424:                             ;   in Loop: Header=BB2_1409 Depth=1
	s_or_b64 exec, exec, s[18:19]
.LBB2_1425:                             ;   in Loop: Header=BB2_1409 Depth=1
	s_or_b64 exec, exec, s[74:75]
	v_and_b32_e32 v0, 0x100, v57
	v_cmp_ne_u32_e32 vcc, 0, v0
	v_and_b32_e32 v0, 7, v8
	s_mov_b64 s[18:19], -1
	;;#ASMSTART
	s_wakeup
	;;#ASMEND
                                        ; implicit-def: $vgpr8_vgpr9
	s_and_saveexec_b64 s[74:75], vcc
	s_cbranch_execz .LBB2_1429
; %bb.1426:                             ;   in Loop: Header=BB2_1409 Depth=1
	v_mad_u64_u32 v[12:13], s[18:19], v0, 24, v[6:7]
                                        ; implicit-def: $vgpr8_vgpr9
	flat_load_dword v1, v[12:13]
	s_waitcnt vmcnt(0) lgkmcnt(0)
	v_cmp_ne_u32_e32 vcc, 1, v1
	v_cmp_eq_u32_e64 s[18:19], 1, v1
	s_and_saveexec_b64 s[76:77], s[18:19]
	s_cbranch_execz .LBB2_1428
; %bb.1427:                             ;   in Loop: Header=BB2_1409 Depth=1
	flat_load_dword v8, v[12:13] offset:4 glc
	s_waitcnt vmcnt(0) lgkmcnt(0)
	v_ashrrev_i32_e32 v9, 31, v8
.LBB2_1428:                             ;   in Loop: Header=BB2_1409 Depth=1
	s_or_b64 exec, exec, s[76:77]
	s_orn2_b64 s[18:19], vcc, exec
.LBB2_1429:                             ;   in Loop: Header=BB2_1409 Depth=1
	s_or_b64 exec, exec, s[74:75]
	s_and_saveexec_b64 s[74:75], s[18:19]
	s_cbranch_execz .LBB2_1431
; %bb.1430:                             ;   in Loop: Header=BB2_1409 Depth=1
	buffer_load_dword v1, off, s[0:3], s33 offset:88 ; 4-byte Folded Reload
	s_waitcnt vmcnt(0)
	v_mad_i64_i32 v[8:9], s[18:19], v0, v1, 0
.LBB2_1431:                             ;   in Loop: Header=BB2_1409 Depth=1
	s_or_b64 exec, exec, s[74:75]
	buffer_load_dword v0, off, s[0:3], s33 offset:60 ; 4-byte Folded Reload
	buffer_load_dword v1, off, s[0:3], s33 offset:64 ; 4-byte Folded Reload
	s_waitcnt vmcnt(0)
	v_add_co_u32_e32 v0, vcc, v0, v8
	v_addc_co_u32_e32 v1, vcc, v1, v9, vcc
	ds_write_b64 v0, v[0:1] offset:728
	v_and_b32_e32 v0, 0x2000, v57
	v_cmp_ne_u32_e32 vcc, 0, v0
	s_and_saveexec_b64 s[18:19], vcc
	s_cbranch_execz .LBB2_1433
; %bb.1432:                             ;   in Loop: Header=BB2_1409 Depth=1
	ds_read_b64 v[0:1], v0 offset:872
	s_waitcnt lgkmcnt(0)
	v_add_co_u32_e32 v0, vcc, 1, v0
	v_addc_co_u32_e32 v1, vcc, 0, v1, vcc
	ds_write_b64 v0, v[0:1] offset:872
.LBB2_1433:                             ;   in Loop: Header=BB2_1409 Depth=1
	s_or_b64 exec, exec, s[18:19]
	v_mov_b32_e32 v8, v10
	v_mov_b32_e32 v9, v11
.LBB2_1434:                             ;   in Loop: Header=BB2_1409 Depth=1
	s_or_b64 exec, exec, s[20:21]
	s_and_saveexec_b64 s[18:19], s[10:11]
	s_cbranch_execz .LBB2_1453
; %bb.1435:                             ;   in Loop: Header=BB2_1409 Depth=1
	s_and_saveexec_b64 s[20:21], s[40:41]
	s_xor_b64 s[20:21], exec, s[20:21]
	s_cbranch_execz .LBB2_1450
; %bb.1436:                             ;   in Loop: Header=BB2_1409 Depth=1
	s_and_saveexec_b64 s[74:75], s[12:13]
	s_cbranch_execz .LBB2_1449
; %bb.1437:                             ;   in Loop: Header=BB2_1409 Depth=1
	s_mov_b64 s[78:79], exec
	v_mbcnt_lo_u32_b32 v0, s78, 0
	v_mbcnt_hi_u32_b32 v0, s79, v0
	v_cmp_eq_u32_e32 vcc, 0, v0
	s_waitcnt vmcnt(0) lgkmcnt(0)
	buffer_wbinvl1_vol
	s_and_saveexec_b64 s[76:77], vcc
	s_cbranch_execz .LBB2_1439
; %bb.1438:                             ;   in Loop: Header=BB2_1409 Depth=1
	s_bcnt1_i32_b64 s78, s[78:79]
	v_mov_b32_e32 v34, s78
	ds_add_u64 v0, v[34:35]
	s_trap 2
.LBB2_1439:                             ;   in Loop: Header=BB2_1409 Depth=1
	s_or_b64 exec, exec, s[76:77]
	s_trap 2
	ds_read_b64 v[0:1], v0
	s_waitcnt lgkmcnt(0)
	v_add_co_u32_e32 v26, vcc, v26, v47
	v_addc_co_u32_e32 v27, vcc, 0, v27, vcc
	v_cmp_lt_u64_e32 vcc, v[0:1], v[26:27]
	s_and_saveexec_b64 s[76:77], vcc
	s_cbranch_execz .LBB2_1448
; %bb.1440:                             ;   in Loop: Header=BB2_1409 Depth=1
	s_mov_b32 s30, 0
	s_mov_b64 s[78:79], 0
                                        ; implicit-def: $sgpr88_sgpr89
                                        ; implicit-def: $sgpr90_sgpr91
	s_branch .LBB2_1442
.LBB2_1441:                             ;   in Loop: Header=BB2_1442 Depth=2
	s_or_b64 exec, exec, s[94:95]
	s_and_b64 s[92:93], exec, vcc
	s_or_b64 s[78:79], s[92:93], s[78:79]
	s_andn2_b64 s[88:89], s[88:89], exec
	s_and_b64 s[92:93], s[90:91], exec
	s_or_b64 s[88:89], s[88:89], s[92:93]
	s_andn2_b64 exec, exec, s[78:79]
	s_cbranch_execz .LBB2_1446
.LBB2_1442:                             ;   Parent Loop BB2_1409 Depth=1
                                        ; =>  This Inner Loop Header: Depth=2
	s_add_i32 s30, s30, 1
	s_cmpk_lg_i32 s30, 0x2710
	s_cselect_b64 s[92:93], -1, 0
	s_and_b64 vcc, exec, s[92:93]
	s_cbranch_vccz .LBB2_1444
; %bb.1443:                             ;   in Loop: Header=BB2_1442 Depth=2
	s_mov_b64 vcc, -1
	s_or_b64 s[90:91], s[90:91], exec
	s_and_saveexec_b64 s[94:95], s[92:93]
	s_cbranch_execz .LBB2_1441
	s_branch .LBB2_1445
.LBB2_1444:                             ;   in Loop: Header=BB2_1442 Depth=2
	s_trap 2
	ds_read_b64 v[0:1], v0
	s_andn2_b64 s[92:93], s[92:93], exec
	s_mov_b32 s30, 0
	s_waitcnt lgkmcnt(0)
	flat_load_dword v0, v[0:1] glc
	s_waitcnt vmcnt(0) lgkmcnt(0)
	buffer_wbinvl1_vol
	v_cmp_eq_u32_e32 vcc, 0, v0
	s_and_b64 s[94:95], vcc, exec
	s_or_b64 s[92:93], s[92:93], s[94:95]
	s_mov_b64 vcc, -1
	s_or_b64 s[90:91], s[90:91], exec
	s_and_saveexec_b64 s[94:95], s[92:93]
	s_cbranch_execz .LBB2_1441
.LBB2_1445:                             ;   in Loop: Header=BB2_1442 Depth=2
	s_sleep 1
	s_trap 2
	ds_read_b64 v[0:1], v0
	s_waitcnt lgkmcnt(0)
	s_andn2_b64 s[90:91], s[90:91], exec
	v_cmp_ge_u64_e32 vcc, v[0:1], v[26:27]
	s_orn2_b64 vcc, vcc, exec
	s_branch .LBB2_1441
.LBB2_1446:                             ;   in Loop: Header=BB2_1409 Depth=1
	s_or_b64 exec, exec, s[78:79]
	s_and_saveexec_b64 s[78:79], s[88:89]
	s_xor_b64 s[78:79], exec, s[78:79]
	s_cbranch_execz .LBB2_1448
; %bb.1447:                             ;   in Loop: Header=BB2_1409 Depth=1
	v_mov_b32_e32 v0, 1
	ds_write_b32 v0, v0
	s_trap 2
.LBB2_1448:                             ;   in Loop: Header=BB2_1409 Depth=1
	s_or_b64 exec, exec, s[76:77]
	;;#ASMSTART
	s_wakeup
	;;#ASMEND
.LBB2_1449:                             ;   in Loop: Header=BB2_1409 Depth=1
	s_or_b64 exec, exec, s[74:75]
.LBB2_1450:                             ;   in Loop: Header=BB2_1409 Depth=1
	s_andn2_saveexec_b64 s[20:21], s[20:21]
	s_cbranch_execz .LBB2_1452
; %bb.1451:                             ;   in Loop: Header=BB2_1409 Depth=1
	s_waitcnt vmcnt(0) lgkmcnt(0)
	buffer_wbinvl1_vol
	s_barrier
.LBB2_1452:                             ;   in Loop: Header=BB2_1409 Depth=1
	s_or_b64 exec, exec, s[20:21]
.LBB2_1453:                             ;   in Loop: Header=BB2_1409 Depth=1
	s_or_b64 exec, exec, s[18:19]
	s_trap 2
	ds_read_b32 v0, v0
	v_and_b32_e32 v1, 0x4000, v57
	v_cmp_ne_u32_e32 vcc, 0, v1
	s_and_b64 s[20:21], s[44:45], vcc
	s_and_saveexec_b64 s[18:19], s[20:21]
	s_cbranch_execz .LBB2_1472
; %bb.1454:                             ;   in Loop: Header=BB2_1409 Depth=1
	s_and_saveexec_b64 s[20:21], s[40:41]
	s_xor_b64 s[20:21], exec, s[20:21]
	s_cbranch_execz .LBB2_1469
; %bb.1455:                             ;   in Loop: Header=BB2_1409 Depth=1
	s_and_saveexec_b64 s[74:75], s[12:13]
	s_cbranch_execz .LBB2_1468
; %bb.1456:                             ;   in Loop: Header=BB2_1409 Depth=1
	s_mov_b64 s[78:79], exec
	v_mbcnt_lo_u32_b32 v1, s78, 0
	v_mbcnt_hi_u32_b32 v1, s79, v1
	v_cmp_eq_u32_e32 vcc, 0, v1
	s_waitcnt vmcnt(0) lgkmcnt(0)
	buffer_wbinvl1_vol
	s_and_saveexec_b64 s[76:77], vcc
	s_cbranch_execz .LBB2_1458
; %bb.1457:                             ;   in Loop: Header=BB2_1409 Depth=1
	s_bcnt1_i32_b64 s78, s[78:79]
	v_mov_b32_e32 v34, s78
	ds_add_u64 v0, v[34:35]
	s_trap 2
.LBB2_1458:                             ;   in Loop: Header=BB2_1409 Depth=1
	s_or_b64 exec, exec, s[76:77]
	s_trap 2
	ds_read_b64 v[1:2], v0
	s_waitcnt lgkmcnt(0)
	v_add_co_u32_e32 v26, vcc, v26, v47
	v_addc_co_u32_e32 v27, vcc, 0, v27, vcc
	v_cmp_lt_u64_e32 vcc, v[1:2], v[26:27]
	s_and_saveexec_b64 s[76:77], vcc
	s_cbranch_execz .LBB2_1467
; %bb.1459:                             ;   in Loop: Header=BB2_1409 Depth=1
	s_mov_b32 s30, 0
	s_mov_b64 s[78:79], 0
                                        ; implicit-def: $sgpr88_sgpr89
                                        ; implicit-def: $sgpr90_sgpr91
	s_branch .LBB2_1461
.LBB2_1460:                             ;   in Loop: Header=BB2_1461 Depth=2
	s_or_b64 exec, exec, s[94:95]
	s_and_b64 s[92:93], exec, vcc
	s_or_b64 s[78:79], s[92:93], s[78:79]
	s_andn2_b64 s[88:89], s[88:89], exec
	s_and_b64 s[92:93], s[90:91], exec
	s_or_b64 s[88:89], s[88:89], s[92:93]
	s_andn2_b64 exec, exec, s[78:79]
	s_cbranch_execz .LBB2_1465
.LBB2_1461:                             ;   Parent Loop BB2_1409 Depth=1
                                        ; =>  This Inner Loop Header: Depth=2
	s_add_i32 s30, s30, 1
	s_cmpk_lg_i32 s30, 0x2710
	s_cselect_b64 s[92:93], -1, 0
	s_and_b64 vcc, exec, s[92:93]
	s_cbranch_vccz .LBB2_1463
; %bb.1462:                             ;   in Loop: Header=BB2_1461 Depth=2
	s_mov_b64 vcc, -1
	s_or_b64 s[90:91], s[90:91], exec
	s_and_saveexec_b64 s[94:95], s[92:93]
	s_cbranch_execz .LBB2_1460
	s_branch .LBB2_1464
.LBB2_1463:                             ;   in Loop: Header=BB2_1461 Depth=2
	s_trap 2
	ds_read_b64 v[1:2], v0
	s_andn2_b64 s[92:93], s[92:93], exec
	s_mov_b32 s30, 0
	s_waitcnt lgkmcnt(0)
	flat_load_dword v1, v[1:2] glc
	s_waitcnt vmcnt(0) lgkmcnt(0)
	buffer_wbinvl1_vol
	v_cmp_eq_u32_e32 vcc, 0, v1
	s_and_b64 s[94:95], vcc, exec
	s_or_b64 s[92:93], s[92:93], s[94:95]
	s_mov_b64 vcc, -1
	s_or_b64 s[90:91], s[90:91], exec
	s_and_saveexec_b64 s[94:95], s[92:93]
	s_cbranch_execz .LBB2_1460
.LBB2_1464:                             ;   in Loop: Header=BB2_1461 Depth=2
	s_sleep 1
	s_trap 2
	ds_read_b64 v[1:2], v0
	s_waitcnt lgkmcnt(0)
	s_andn2_b64 s[90:91], s[90:91], exec
	v_cmp_ge_u64_e32 vcc, v[1:2], v[26:27]
	s_orn2_b64 vcc, vcc, exec
	s_branch .LBB2_1460
.LBB2_1465:                             ;   in Loop: Header=BB2_1409 Depth=1
	s_or_b64 exec, exec, s[78:79]
	s_and_saveexec_b64 s[78:79], s[88:89]
	s_xor_b64 s[78:79], exec, s[78:79]
	s_cbranch_execz .LBB2_1467
; %bb.1466:                             ;   in Loop: Header=BB2_1409 Depth=1
	v_mov_b32_e32 v1, 1
	ds_write_b32 v0, v1
	s_trap 2
.LBB2_1467:                             ;   in Loop: Header=BB2_1409 Depth=1
	s_or_b64 exec, exec, s[76:77]
	;;#ASMSTART
	s_wakeup
	;;#ASMEND
.LBB2_1468:                             ;   in Loop: Header=BB2_1409 Depth=1
	s_or_b64 exec, exec, s[74:75]
.LBB2_1469:                             ;   in Loop: Header=BB2_1409 Depth=1
	s_andn2_saveexec_b64 s[20:21], s[20:21]
	s_cbranch_execz .LBB2_1471
; %bb.1470:                             ;   in Loop: Header=BB2_1409 Depth=1
	s_waitcnt vmcnt(0) lgkmcnt(0)
	buffer_wbinvl1_vol
	s_barrier
.LBB2_1471:                             ;   in Loop: Header=BB2_1409 Depth=1
	s_or_b64 exec, exec, s[20:21]
.LBB2_1472:                             ;   in Loop: Header=BB2_1409 Depth=1
	s_or_b64 exec, exec, s[18:19]
	s_trap 2
	s_waitcnt lgkmcnt(0)
	ds_read_b64 v[16:17], v0
	v_min_u32_e32 v20, v20, v38
	s_waitcnt lgkmcnt(0)
	v_cmp_eq_u64_e32 vcc, 0, v[16:17]
	s_cbranch_vccnz .LBB2_1480
; %bb.1473:                             ;   in Loop: Header=BB2_1409 Depth=1
	s_trap 2
	ds_read_b64 v[14:15], v0
	s_waitcnt lgkmcnt(0)
	v_cmp_eq_u64_e32 vcc, 0, v[14:15]
	s_cbranch_vccnz .LBB2_1480
; %bb.1474:                             ;   in Loop: Header=BB2_1409 Depth=1
	s_mov_b64 s[18:19], -1
	s_and_saveexec_b64 s[20:21], s[14:15]
	s_cbranch_execz .LBB2_1476
; %bb.1475:                             ;   in Loop: Header=BB2_1409 Depth=1
	ds_read_b32 v1, v0 offset:720
	s_waitcnt lgkmcnt(0)
	v_and_b32_e32 v1, 15, v1
	v_cmp_eq_u32_e32 vcc, 0, v1
	s_orn2_b64 s[18:19], vcc, exec
.LBB2_1476:                             ;   in Loop: Header=BB2_1409 Depth=1
	s_or_b64 exec, exec, s[20:21]
	s_and_saveexec_b64 s[20:21], s[16:17]
	s_cbranch_execz .LBB2_1478
; %bb.1477:                             ;   in Loop: Header=BB2_1409 Depth=1
	ds_read_b32 v1, v0 offset:784
	s_waitcnt lgkmcnt(0)
	v_and_b32_e32 v1, 15, v1
	v_cmp_eq_u32_e32 vcc, 0, v1
	s_and_b64 s[74:75], s[18:19], vcc
	s_andn2_b64 s[18:19], s[18:19], exec
	s_and_b64 s[74:75], s[74:75], exec
	s_or_b64 s[18:19], s[18:19], s[74:75]
.LBB2_1478:                             ;   in Loop: Header=BB2_1409 Depth=1
	s_or_b64 exec, exec, s[20:21]
	s_xor_b64 s[18:19], s[18:19], -1
	v_cmp_eq_u32_e32 vcc, 0, v0
	v_cndmask_b32_e64 v0, 0, 1, s[18:19]
	v_cndmask_b32_e32 v44, 0, v20, vcc
	s_mov_b64 s[74:75], -1
	v_cmp_ne_u32_e32 vcc, 0, v0
	v_mov_b32_e32 v10, 0
	v_mov_b32_e32 v1, v55
	buffer_store_dword v44, off, s[0:3], s33 offset:72 ; 4-byte Folded Spill
	s_cbranch_vccz .LBB2_1481
; %bb.1479:                             ;   in Loop: Header=BB2_1409 Depth=1
	s_and_saveexec_b64 s[20:21], s[74:75]
	s_cbranch_execnz .LBB2_2388
	s_branch .LBB2_2684
.LBB2_1480:                             ;   in Loop: Header=BB2_1409 Depth=1
	s_mov_b64 s[18:19], 0
	s_and_saveexec_b64 s[20:21], s[10:11]
	s_cbranch_execnz .LBB2_2685
	s_branch .LBB2_2703
.LBB2_1481:                             ;   in Loop: Header=BB2_1409 Depth=1
	buffer_load_dword v0, off, s[0:3], s33 offset:96 ; 4-byte Folded Reload
	buffer_load_dword v1, off, s[0:3], s33 offset:152 ; 4-byte Folded Reload
	v_and_b32_e32 v2, 0x3ff, v44
	v_cmp_lt_u32_e32 vcc, 15, v2
	s_waitcnt vmcnt(0)
	v_sub_u32_e32 v58, v44, v0
	v_lshrrev_b32_e32 v0, 10, v44
	s_waitcnt vmcnt(0)
	v_addc_co_u32_e64 v3, s[18:19], v0, v1, vcc
	v_cmp_lt_i32_e64 s[18:19], 15, v58
	s_and_saveexec_b64 s[74:75], s[18:19]
	s_cbranch_execz .LBB2_1933
; %bb.1482:                             ;   in Loop: Header=BB2_1409 Depth=1
	buffer_store_dword v2, off, s[0:3], s33 offset:72 ; 4-byte Folded Spill
	buffer_store_dword v44, off, s[0:3], s33 offset:104 ; 4-byte Folded Spill
	s_trap 2
	buffer_load_dword v2, off, s[0:3], s33 offset:96 ; 4-byte Folded Reload
	buffer_load_dword v10, off, s[0:3], s33 offset:164 ; 4-byte Folded Reload
	ds_read_b64 v[0:1], v0
	s_mov_b64 s[76:77], 0
	s_waitcnt vmcnt(1)
	v_add_co_u32_e64 v52, s[18:19], v16, v2
	buffer_store_dword v16, off, s[0:3], s33 offset:144 ; 4-byte Folded Spill
	s_nop 0
	buffer_store_dword v17, off, s[0:3], s33 offset:148 ; 4-byte Folded Spill
	s_waitcnt vmcnt(2)
	v_addc_co_u32_e64 v53, s[18:19], v17, v10, s[18:19]
	s_waitcnt lgkmcnt(0)
	v_add_co_u32_e64 v54, s[18:19], v0, v2
	v_addc_co_u32_e64 v55, s[18:19], v1, v10, s[18:19]
	v_add_co_u32_e64 v39, s[18:19], v14, v2
	buffer_store_dword v14, off, s[0:3], s33 offset:136 ; 4-byte Folded Spill
	s_nop 0
	buffer_store_dword v15, off, s[0:3], s33 offset:140 ; 4-byte Folded Spill
	v_addc_co_u32_e64 v40, s[18:19], v15, v10, s[18:19]
	s_branch .LBB2_1484
.LBB2_1483:                             ;   in Loop: Header=BB2_1484 Depth=2
	s_or_b64 exec, exec, s[18:19]
	v_lshl_or_b32 v2, v44, 8, v49
	v_lshlrev_b32_e32 v0, 16, v0
	v_lshlrev_b32_e32 v11, 24, v30
	v_or3_b32 v12, v2, v0, v11
	v_lshl_or_b32 v0, v21, 8, v31
	v_lshlrev_b32_e32 v1, 16, v1
	v_lshlrev_b32_e32 v2, 24, v48
	v_add_co_u32_e64 v52, s[18:19], v52, v46
	v_or3_b32 v11, v0, v1, v2
	v_lshl_or_b32 v0, v18, 8, v43
	v_lshlrev_b32_e32 v1, 16, v19
	v_lshlrev_b32_e32 v2, 24, v56
	v_addc_co_u32_e64 v53, s[18:19], 0, v53, s[18:19]
	v_or3_b32 v13, v0, v1, v2
	v_lshlrev_b32_e32 v0, 24, v10
	v_lshlrev_b32_e32 v1, 16, v14
	v_lshl_or_b32 v2, v42, 8, v41
	v_add_co_u32_e64 v54, s[18:19], v54, v46
	v_or3_b32 v14, v2, v1, v0
	v_addc_co_u32_e64 v55, s[18:19], 0, v55, s[18:19]
	global_store_dwordx4 v[39:40], v[11:14], off glc slc
	v_add_co_u32_e64 v39, s[18:19], v39, v46
	v_addc_co_u32_e64 v40, s[18:19], 0, v40, s[18:19]
	v_sub_u32_e32 v58, v58, v46
	v_cmp_gt_i32_e64 s[18:19], 16, v58
	s_or_b64 s[76:77], s[18:19], s[76:77]
	v_sub_u32_e32 v3, v3, v47
	s_andn2_b64 exec, exec, s[76:77]
	s_cbranch_execz .LBB2_1932
.LBB2_1484:                             ;   Parent Loop BB2_1409 Depth=1
                                        ; =>  This Inner Loop Header: Depth=2
	global_load_dwordx4 v[14:17], v[52:53], off glc slc
	global_load_dwordx4 v[10:13], v[54:55], off glc slc
	v_mov_b32_e32 v0, 0
	s_waitcnt vmcnt(1)
	v_cmp_ne_u16_sdwa s[18:19], v14, v35 src0_sel:BYTE_0 src1_sel:DWORD
	s_and_saveexec_b64 s[20:21], s[18:19]
	s_cbranch_execz .LBB2_1490
; %bb.1485:                             ;   in Loop: Header=BB2_1484 Depth=2
	v_cmp_ne_u16_sdwa s[18:19], v14, s49 src0_sel:BYTE_0 src1_sel:DWORD
	v_bfrev_b32_e32 v0, 1
	s_and_saveexec_b64 s[78:79], s[18:19]
	s_cbranch_execz .LBB2_1489
; %bb.1486:                             ;   in Loop: Header=BB2_1484 Depth=2
	v_and_b32_e32 v1, 0x7f, v14
	v_cmp_ne_u32_e64 s[18:19], s50, v1
	v_mov_b32_e32 v0, 0x7f800001
	s_and_saveexec_b64 s[88:89], s[18:19]
	s_cbranch_execz .LBB2_1488
; %bb.1487:                             ;   in Loop: Header=BB2_1484 Depth=2
	v_and_b32_e32 v0, 7, v14
	v_ffbh_u32_e32 v0, v0
	v_min_u32_e32 v0, 32, v0
	v_lshrrev_b32_e32 v2, 3, v1
	v_cmp_gt_u32_e64 s[18:19], 8, v1
	v_subrev_u32_e32 v1, 28, v0
	v_sub_u32_e32 v0, 29, v0
	v_cndmask_b32_e64 v2, v2, v0, s[18:19]
	v_cndmask_b32_e64 v0, 0, v1, s[18:19]
	v_lshlrev_b64 v[0:1], v0, v[14:15]
	v_lshlrev_b32_e32 v1, 24, v14
	v_lshlrev_b32_e32 v0, 20, v0
	v_and_b32_e32 v0, 0x700000, v0
	v_and_b32_e32 v1, 0x80000000, v1
	v_lshl_add_u32 v2, v2, 23, v60
	v_or3_b32 v0, v1, v2, v0
.LBB2_1488:                             ;   in Loop: Header=BB2_1484 Depth=2
	s_or_b64 exec, exec, s[88:89]
.LBB2_1489:                             ;   in Loop: Header=BB2_1484 Depth=2
	s_or_b64 exec, exec, s[78:79]
.LBB2_1490:                             ;   in Loop: Header=BB2_1484 Depth=2
	s_or_b64 exec, exec, s[20:21]
	s_waitcnt vmcnt(0)
	v_cmp_gt_i16_sdwa s[20:21], v10, s50 src0_sel:BYTE_0 src1_sel:DWORD
	s_mov_b64 s[18:19], 0
	s_and_saveexec_b64 s[78:79], s[20:21]
	s_xor_b64 s[20:21], exec, s[78:79]
	s_cbranch_execz .LBB2_1912
; %bb.1491:                             ;   in Loop: Header=BB2_1484 Depth=2
	v_cmp_eq_u16_sdwa s[88:89], v10, s49 src0_sel:BYTE_0 src1_sel:DWORD
	s_mov_b64 s[18:19], -1
	s_and_saveexec_b64 s[78:79], s[88:89]
; %bb.1492:                             ;   in Loop: Header=BB2_1484 Depth=2
	s_xor_b64 s[18:19], exec, -1
; %bb.1493:                             ;   in Loop: Header=BB2_1484 Depth=2
	s_or_b64 exec, exec, s[78:79]
	s_and_b64 s[18:19], s[18:19], exec
	s_or_saveexec_b64 s[20:21], s[20:21]
	v_bfrev_b32_e32 v1, 1
	s_xor_b64 exec, exec, s[20:21]
	s_cbranch_execnz .LBB2_1913
.LBB2_1494:                             ;   in Loop: Header=BB2_1484 Depth=2
	s_or_b64 exec, exec, s[20:21]
	s_and_saveexec_b64 s[20:21], s[18:19]
	s_cbranch_execz .LBB2_1496
.LBB2_1495:                             ;   in Loop: Header=BB2_1484 Depth=2
	v_and_b32_e32 v1, 7, v10
	v_ffbh_u32_e32 v1, v1
	v_and_b32_e32 v18, 0x7f, v10
	v_min_u32_e32 v1, 32, v1
	v_bfe_u32 v2, v10, 3, 4
	v_subrev_u32_e32 v19, 28, v1
	v_sub_u32_e32 v1, 29, v1
	v_cmp_gt_u32_e64 s[18:19], 8, v18
	v_cndmask_b32_e64 v21, v2, v1, s[18:19]
	v_cndmask_b32_e64 v1, 0, v19, s[18:19]
	v_lshlrev_b64 v[1:2], v1, v[10:11]
	v_lshlrev_b32_e32 v2, 24, v10
	v_lshlrev_b32_e32 v1, 20, v1
	v_and_b32_e32 v1, 0x700000, v1
	v_and_b32_e32 v2, 0x80000000, v2
	v_lshl_add_u32 v19, v21, 23, v60
	v_or3_b32 v1, v2, v19, v1
	v_cmp_ne_u32_e64 s[18:19], s50, v18
	v_cndmask_b32_e64 v1, v61, v1, s[18:19]
.LBB2_1496:                             ;   in Loop: Header=BB2_1484 Depth=2
	s_or_b64 exec, exec, s[20:21]
	v_add_f32_e32 v1, v0, v1
	v_and_b32_e32 v34, 0x7f800000, v1
	v_cmp_ne_u64_e64 s[18:19], s[46:47], v[34:35]
                                        ; implicit-def: $vgpr31
	s_and_saveexec_b64 s[20:21], s[18:19]
	s_xor_b64 s[78:79], exec, s[20:21]
	s_cbranch_execz .LBB2_1510
; %bb.1497:                             ;   in Loop: Header=BB2_1484 Depth=2
	v_and_b32_e32 v34, 0x7fffffff, v1
	v_cmp_gt_u64_e64 s[18:19], s[56:57], v[34:35]
	v_and_b32_sdwa v0, v1, s49 dst_sel:DWORD dst_unused:UNUSED_PAD src0_sel:BYTE_3 src1_sel:DWORD
                                        ; implicit-def: $vgpr31
	s_and_saveexec_b64 s[20:21], s[18:19]
	s_xor_b64 s[88:89], exec, s[20:21]
	s_cbranch_execz .LBB2_1507
; %bb.1498:                             ;   in Loop: Header=BB2_1484 Depth=2
	v_mov_b32_e32 v31, 0
	v_cmp_ne_u32_e64 s[18:19], 0, v1
	s_and_saveexec_b64 s[90:91], s[18:19]
	s_cbranch_execz .LBB2_1506
; %bb.1499:                             ;   in Loop: Header=BB2_1484 Depth=2
	v_and_b32_e32 v2, 0x7fffff, v1
	v_bfe_u32 v1, v1, 23, 8
	v_cmp_gt_u32_e64 s[20:21], s51, v1
	v_sub_u32_e32 v18, 0x79, v1
	v_cmp_eq_u32_e64 s[18:19], 0, v1
	v_cndmask_b32_e64 v18, 0, v18, s[20:21]
	v_or_b32_e32 v19, 0x800000, v2
	v_cndmask_b32_e64 v18, v18, v62, s[18:19]
	v_cndmask_b32_e64 v34, v19, v2, s[18:19]
	v_add_u32_e32 v2, 20, v18
	v_lshlrev_b64 v[30:31], v2, -1
	v_add_u32_e32 v2, 19, v18
	v_lshlrev_b64 v[48:49], v2, 1
	v_lshrrev_b64 v[41:42], v18, v[34:35]
	v_bfi_b32 v31, v31, 0, 0
	v_bfi_b32 v30, v30, 0, v34
	v_cmp_eq_u64_e64 s[20:21], v[30:31], v[48:49]
	v_mov_b32_e32 v43, v42
	v_mov_b32_e32 v42, v41
	s_and_saveexec_b64 s[92:93], s[20:21]
; %bb.1500:                             ;   in Loop: Header=BB2_1484 Depth=2
	v_bfe_u32 v2, v41, 20, 1
	v_add_co_u32_e64 v2, s[20:21], v41, v2
	v_add_co_u32_e64 v42, s[20:21], -1, v2
; %bb.1501:                             ;   in Loop: Header=BB2_1484 Depth=2
	s_or_b64 exec, exec, s[92:93]
	v_add_u32_e32 v1, 0xffffff81, v1
	v_cndmask_b32_e64 v1, v1, v59, s[18:19]
	v_lshrrev_b32_e32 v2, 23, v41
	v_add3_u32 v18, v18, v1, v2
	v_add_u32_e32 v2, 6, v18
	v_and_b32_e32 v1, 0xfffff, v42
	v_add_u32_e32 v34, v1, v41
	v_cmp_ne_u32_e64 s[18:19], 0, v2
                                        ; implicit-def: $vgpr41_vgpr42
                                        ; implicit-def: $vgpr1
	s_and_saveexec_b64 s[20:21], s[18:19]
	s_xor_b64 s[20:21], exec, s[20:21]
; %bb.1502:                             ;   in Loop: Header=BB2_1484 Depth=2
	v_cmp_lt_u64_e64 s[18:19], s[58:59], v[34:35]
	v_add_u32_e32 v1, 7, v18
	v_cndmask_b32_e64 v1, v2, v1, s[18:19]
	v_cndmask_b32_e64 v2, 0, 1, s[18:19]
	v_lshrrev_b64 v[41:42], v2, v[34:35]
; %bb.1503:                             ;   in Loop: Header=BB2_1484 Depth=2
	s_andn2_saveexec_b64 s[18:19], s[20:21]
; %bb.1504:                             ;   in Loop: Header=BB2_1484 Depth=2
	v_mov_b32_e32 v42, v35
	v_bfe_u32 v1, v34, 23, 1
	v_mov_b32_e32 v41, v34
; %bb.1505:                             ;   in Loop: Header=BB2_1484 Depth=2
	s_or_b64 exec, exec, s[18:19]
	v_lshrrev_b64 v[18:19], 20, v[41:42]
	v_cmp_gt_i32_e64 s[18:19], 16, v1
	v_cndmask_b32_e64 v19, 0, v19, s[18:19]
	v_cndmask_b32_e64 v18, 7, v18, s[18:19]
	v_cmp_eq_u32_e64 s[18:19], 0, v1
	v_min_i32_e32 v1, 15, v1
	v_cmp_eq_u64_e64 s[20:21], 0, v[18:19]
	v_lshlrev_b32_e32 v1, 3, v1
	v_and_b32_e32 v1, 0xf8, v1
	v_and_or_b32 v1, v18, 7, v1
	s_and_b64 s[18:19], s[18:19], s[20:21]
	v_cndmask_b32_e64 v1, v1, 0, s[18:19]
	v_or_b32_e32 v31, v1, v0
.LBB2_1506:                             ;   in Loop: Header=BB2_1484 Depth=2
	s_or_b64 exec, exec, s[90:91]
                                        ; implicit-def: $vgpr0
.LBB2_1507:                             ;   in Loop: Header=BB2_1484 Depth=2
	s_andn2_saveexec_b64 s[18:19], s[88:89]
; %bb.1508:                             ;   in Loop: Header=BB2_1484 Depth=2
	v_or_b32_e32 v31, 0x7e, v0
; %bb.1509:                             ;   in Loop: Header=BB2_1484 Depth=2
	s_or_b64 exec, exec, s[18:19]
                                        ; implicit-def: $vgpr1
.LBB2_1510:                             ;   in Loop: Header=BB2_1484 Depth=2
	s_andn2_saveexec_b64 s[18:19], s[78:79]
; %bb.1511:                             ;   in Loop: Header=BB2_1484 Depth=2
	v_or_b32_sdwa v31, v1, s50 dst_sel:DWORD dst_unused:UNUSED_PAD src0_sel:BYTE_3 src1_sel:DWORD
; %bb.1512:                             ;   in Loop: Header=BB2_1484 Depth=2
	s_or_b64 exec, exec, s[18:19]
	v_lshrrev_b16_e32 v30, 8, v14
	v_cmp_ne_u16_e64 s[18:19], 0, v30
	v_mov_b32_e32 v0, 0
	s_and_saveexec_b64 s[20:21], s[18:19]
	s_cbranch_execz .LBB2_1518
; %bb.1513:                             ;   in Loop: Header=BB2_1484 Depth=2
	v_cmp_ne_u16_e64 s[18:19], s49, v30
	v_bfrev_b32_e32 v0, 1
	s_and_saveexec_b64 s[78:79], s[18:19]
	s_cbranch_execz .LBB2_1517
; %bb.1514:                             ;   in Loop: Header=BB2_1484 Depth=2
	v_and_b32_e32 v1, 0x7f, v30
	v_cmp_ne_u32_e64 s[18:19], s50, v1
	v_mov_b32_e32 v0, 0x7f800001
	s_and_saveexec_b64 s[88:89], s[18:19]
	s_cbranch_execz .LBB2_1516
; %bb.1515:                             ;   in Loop: Header=BB2_1484 Depth=2
	v_and_b32_e32 v2, 7, v30
	v_ffbh_u32_e32 v0, v2
	v_min_u32_e32 v19, 32, v0
	v_subrev_u32_e32 v0, 28, v19
	v_lshrrev_b32_e32 v18, 3, v1
	v_cmp_gt_u32_e64 s[18:19], 8, v1
	v_lshlrev_b64 v[0:1], v0, v[30:31]
	v_sub_u32_e32 v1, 29, v19
	v_and_b32_e32 v0, 7, v0
	v_cndmask_b32_e64 v1, v18, v1, s[18:19]
	v_cndmask_b32_e64 v0, v2, v0, s[18:19]
	v_lshlrev_b32_e32 v2, 16, v14
	v_lshlrev_b32_e32 v0, 20, v0
	v_and_b32_e32 v2, 0x80000000, v2
	v_lshl_add_u32 v1, v1, 23, v60
	v_or3_b32 v0, v2, v1, v0
.LBB2_1516:                             ;   in Loop: Header=BB2_1484 Depth=2
	s_or_b64 exec, exec, s[88:89]
.LBB2_1517:                             ;   in Loop: Header=BB2_1484 Depth=2
	s_or_b64 exec, exec, s[78:79]
.LBB2_1518:                             ;   in Loop: Header=BB2_1484 Depth=2
	s_or_b64 exec, exec, s[20:21]
	v_lshrrev_b16_e32 v34, 8, v10
	v_cmp_lt_i16_e64 s[18:19], s50, v34
	s_mov_b64 s[20:21], 0
	s_and_saveexec_b64 s[78:79], s[18:19]
	s_xor_b64 s[78:79], exec, s[78:79]
	s_cbranch_execz .LBB2_1914
; %bb.1519:                             ;   in Loop: Header=BB2_1484 Depth=2
	v_cmp_eq_u16_e64 s[18:19], s49, v34
	s_mov_b64 s[20:21], -1
	s_and_saveexec_b64 s[88:89], s[18:19]
; %bb.1520:                             ;   in Loop: Header=BB2_1484 Depth=2
	s_xor_b64 s[20:21], exec, -1
; %bb.1521:                             ;   in Loop: Header=BB2_1484 Depth=2
	s_or_b64 exec, exec, s[88:89]
	s_and_b64 s[20:21], s[20:21], exec
	s_or_saveexec_b64 s[78:79], s[78:79]
	v_bfrev_b32_e32 v1, 1
	s_xor_b64 exec, exec, s[78:79]
	s_cbranch_execnz .LBB2_1915
.LBB2_1522:                             ;   in Loop: Header=BB2_1484 Depth=2
	s_or_b64 exec, exec, s[78:79]
	s_and_saveexec_b64 s[78:79], s[20:21]
	s_cbranch_execz .LBB2_1524
.LBB2_1523:                             ;   in Loop: Header=BB2_1484 Depth=2
	v_and_b32_e32 v18, 7, v34
	v_ffbh_u32_e32 v1, v18
	v_min_u32_e32 v24, 32, v1
	v_subrev_u32_e32 v1, 28, v24
	v_lshlrev_b64 v[1:2], v1, v[34:35]
	v_and_b32_e32 v19, 0x7f, v34
	v_bfe_u32 v21, v34, 3, 4
	v_sub_u32_e32 v2, 29, v24
	v_and_b32_e32 v1, 7, v1
	v_cmp_gt_u32_e64 s[18:19], 8, v19
	v_cndmask_b32_e64 v2, v21, v2, s[18:19]
	v_cndmask_b32_e64 v1, v18, v1, s[18:19]
	v_lshlrev_b32_e32 v18, 24, v34
	v_lshlrev_b32_e32 v1, 20, v1
	v_and_b32_e32 v18, 0x80000000, v18
	v_lshl_add_u32 v2, v2, 23, v60
	v_or3_b32 v1, v18, v2, v1
	v_cmp_ne_u32_e64 s[18:19], s50, v19
	v_cndmask_b32_e64 v1, v61, v1, s[18:19]
.LBB2_1524:                             ;   in Loop: Header=BB2_1484 Depth=2
	s_or_b64 exec, exec, s[78:79]
	v_add_f32_e32 v1, v0, v1
	v_and_b32_e32 v34, 0x7f800000, v1
	v_cmp_ne_u64_e64 s[18:19], s[46:47], v[34:35]
                                        ; implicit-def: $vgpr21
	s_and_saveexec_b64 s[20:21], s[18:19]
	s_xor_b64 s[78:79], exec, s[20:21]
	s_cbranch_execz .LBB2_1538
; %bb.1525:                             ;   in Loop: Header=BB2_1484 Depth=2
	v_and_b32_e32 v34, 0x7fffffff, v1
	v_cmp_gt_u64_e64 s[18:19], s[56:57], v[34:35]
	v_and_b32_sdwa v0, v1, s49 dst_sel:DWORD dst_unused:UNUSED_PAD src0_sel:BYTE_3 src1_sel:DWORD
                                        ; implicit-def: $vgpr21
	s_and_saveexec_b64 s[20:21], s[18:19]
	s_xor_b64 s[88:89], exec, s[20:21]
	s_cbranch_execz .LBB2_1535
; %bb.1526:                             ;   in Loop: Header=BB2_1484 Depth=2
	v_mov_b32_e32 v21, 0
	v_cmp_ne_u32_e64 s[18:19], 0, v1
	s_and_saveexec_b64 s[90:91], s[18:19]
	s_cbranch_execz .LBB2_1534
; %bb.1527:                             ;   in Loop: Header=BB2_1484 Depth=2
	v_and_b32_e32 v2, 0x7fffff, v1
	v_bfe_u32 v1, v1, 23, 8
	v_cmp_gt_u32_e64 s[20:21], s51, v1
	v_sub_u32_e32 v18, 0x79, v1
	v_cmp_eq_u32_e64 s[18:19], 0, v1
	v_cndmask_b32_e64 v18, 0, v18, s[20:21]
	v_or_b32_e32 v19, 0x800000, v2
	v_cndmask_b32_e64 v18, v18, v62, s[18:19]
	v_cndmask_b32_e64 v34, v19, v2, s[18:19]
	v_add_u32_e32 v2, 20, v18
	v_lshlrev_b64 v[48:49], v2, -1
	v_add_u32_e32 v2, 19, v18
	v_lshlrev_b64 v[50:51], v2, 1
	v_lshrrev_b64 v[41:42], v18, v[34:35]
	v_bfi_b32 v49, v49, 0, 0
	v_bfi_b32 v48, v48, 0, v34
	v_cmp_eq_u64_e64 s[20:21], v[48:49], v[50:51]
	v_mov_b32_e32 v43, v42
	v_mov_b32_e32 v42, v41
	s_and_saveexec_b64 s[92:93], s[20:21]
; %bb.1528:                             ;   in Loop: Header=BB2_1484 Depth=2
	v_bfe_u32 v2, v41, 20, 1
	v_add_co_u32_e64 v2, s[20:21], v41, v2
	v_add_co_u32_e64 v42, s[20:21], -1, v2
; %bb.1529:                             ;   in Loop: Header=BB2_1484 Depth=2
	s_or_b64 exec, exec, s[92:93]
	v_add_u32_e32 v1, 0xffffff81, v1
	v_cndmask_b32_e64 v1, v1, v59, s[18:19]
	v_lshrrev_b32_e32 v2, 23, v41
	v_add3_u32 v18, v18, v1, v2
	v_add_u32_e32 v2, 6, v18
	v_and_b32_e32 v1, 0xfffff, v42
	v_add_u32_e32 v34, v1, v41
	v_cmp_ne_u32_e64 s[18:19], 0, v2
                                        ; implicit-def: $vgpr41_vgpr42
                                        ; implicit-def: $vgpr1
	s_and_saveexec_b64 s[20:21], s[18:19]
	s_xor_b64 s[20:21], exec, s[20:21]
; %bb.1530:                             ;   in Loop: Header=BB2_1484 Depth=2
	v_cmp_lt_u64_e64 s[18:19], s[58:59], v[34:35]
	v_add_u32_e32 v1, 7, v18
	v_cndmask_b32_e64 v1, v2, v1, s[18:19]
	v_cndmask_b32_e64 v2, 0, 1, s[18:19]
	v_lshrrev_b64 v[41:42], v2, v[34:35]
; %bb.1531:                             ;   in Loop: Header=BB2_1484 Depth=2
	s_andn2_saveexec_b64 s[18:19], s[20:21]
; %bb.1532:                             ;   in Loop: Header=BB2_1484 Depth=2
	v_mov_b32_e32 v42, v35
	v_bfe_u32 v1, v34, 23, 1
	v_mov_b32_e32 v41, v34
; %bb.1533:                             ;   in Loop: Header=BB2_1484 Depth=2
	s_or_b64 exec, exec, s[18:19]
	v_lshrrev_b64 v[18:19], 20, v[41:42]
	v_cmp_gt_i32_e64 s[18:19], 16, v1
	v_cndmask_b32_e64 v19, 0, v19, s[18:19]
	v_cndmask_b32_e64 v18, 7, v18, s[18:19]
	v_cmp_eq_u32_e64 s[18:19], 0, v1
	v_min_i32_e32 v1, 15, v1
	v_cmp_eq_u64_e64 s[20:21], 0, v[18:19]
	v_lshlrev_b32_e32 v1, 3, v1
	v_and_b32_e32 v1, 0xf8, v1
	v_and_or_b32 v1, v18, 7, v1
	s_and_b64 s[18:19], s[18:19], s[20:21]
	v_cndmask_b32_e64 v1, v1, 0, s[18:19]
	v_or_b32_e32 v21, v1, v0
.LBB2_1534:                             ;   in Loop: Header=BB2_1484 Depth=2
	s_or_b64 exec, exec, s[90:91]
                                        ; implicit-def: $vgpr0
.LBB2_1535:                             ;   in Loop: Header=BB2_1484 Depth=2
	s_andn2_saveexec_b64 s[18:19], s[88:89]
; %bb.1536:                             ;   in Loop: Header=BB2_1484 Depth=2
	v_or_b32_e32 v21, 0x7e, v0
; %bb.1537:                             ;   in Loop: Header=BB2_1484 Depth=2
	s_or_b64 exec, exec, s[18:19]
                                        ; implicit-def: $vgpr1
.LBB2_1538:                             ;   in Loop: Header=BB2_1484 Depth=2
	s_andn2_saveexec_b64 s[18:19], s[78:79]
; %bb.1539:                             ;   in Loop: Header=BB2_1484 Depth=2
	v_or_b32_sdwa v21, v1, s50 dst_sel:DWORD dst_unused:UNUSED_PAD src0_sel:BYTE_3 src1_sel:DWORD
; %bb.1540:                             ;   in Loop: Header=BB2_1484 Depth=2
	s_or_b64 exec, exec, s[18:19]
	v_lshrrev_b32_e32 v30, 16, v14
	v_cmp_ne_u16_sdwa s[18:19], v30, v35 src0_sel:BYTE_0 src1_sel:DWORD
	v_mov_b32_e32 v0, 0
	s_and_saveexec_b64 s[20:21], s[18:19]
	s_cbranch_execz .LBB2_1546
; %bb.1541:                             ;   in Loop: Header=BB2_1484 Depth=2
	v_cmp_ne_u16_sdwa s[18:19], v30, s49 src0_sel:BYTE_0 src1_sel:DWORD
	v_bfrev_b32_e32 v0, 1
	s_and_saveexec_b64 s[78:79], s[18:19]
	s_cbranch_execz .LBB2_1545
; %bb.1542:                             ;   in Loop: Header=BB2_1484 Depth=2
	v_bfe_u32 v1, v14, 16, 7
	v_cmp_ne_u32_e64 s[18:19], s50, v1
	v_mov_b32_e32 v0, 0x7f800001
	s_and_saveexec_b64 s[88:89], s[18:19]
	s_cbranch_execz .LBB2_1544
; %bb.1543:                             ;   in Loop: Header=BB2_1484 Depth=2
	v_and_b32_e32 v2, 7, v30
	v_ffbh_u32_e32 v0, v2
	v_min_u32_e32 v19, 32, v0
	v_subrev_u32_e32 v0, 28, v19
	v_lshrrev_b32_e32 v18, 3, v1
	v_cmp_gt_u32_e64 s[18:19], 8, v1
	v_lshlrev_b64 v[0:1], v0, v[30:31]
	v_sub_u32_e32 v1, 29, v19
	v_and_b32_e32 v0, 7, v0
	v_cndmask_b32_e64 v1, v18, v1, s[18:19]
	v_cndmask_b32_e64 v0, v2, v0, s[18:19]
	v_lshlrev_b32_e32 v2, 24, v30
	v_lshlrev_b32_e32 v0, 20, v0
	v_and_b32_e32 v2, 0x80000000, v2
	v_lshl_add_u32 v1, v1, 23, v60
	v_or3_b32 v0, v2, v1, v0
.LBB2_1544:                             ;   in Loop: Header=BB2_1484 Depth=2
	s_or_b64 exec, exec, s[88:89]
.LBB2_1545:                             ;   in Loop: Header=BB2_1484 Depth=2
	s_or_b64 exec, exec, s[78:79]
.LBB2_1546:                             ;   in Loop: Header=BB2_1484 Depth=2
	s_or_b64 exec, exec, s[20:21]
	v_lshrrev_b32_e32 v30, 16, v10
	v_cmp_gt_i16_sdwa s[20:21], v30, s50 src0_sel:BYTE_0 src1_sel:DWORD
	s_mov_b64 s[18:19], 0
	s_and_saveexec_b64 s[78:79], s[20:21]
	s_xor_b64 s[20:21], exec, s[78:79]
	s_cbranch_execz .LBB2_1916
; %bb.1547:                             ;   in Loop: Header=BB2_1484 Depth=2
	v_cmp_eq_u16_sdwa s[88:89], v30, s49 src0_sel:BYTE_0 src1_sel:DWORD
	s_mov_b64 s[18:19], -1
	s_and_saveexec_b64 s[78:79], s[88:89]
; %bb.1548:                             ;   in Loop: Header=BB2_1484 Depth=2
	s_xor_b64 s[18:19], exec, -1
; %bb.1549:                             ;   in Loop: Header=BB2_1484 Depth=2
	s_or_b64 exec, exec, s[78:79]
	s_and_b64 s[18:19], s[18:19], exec
	s_or_saveexec_b64 s[20:21], s[20:21]
	v_bfrev_b32_e32 v1, 1
	s_xor_b64 exec, exec, s[20:21]
	s_cbranch_execnz .LBB2_1917
.LBB2_1550:                             ;   in Loop: Header=BB2_1484 Depth=2
	s_or_b64 exec, exec, s[20:21]
	s_and_saveexec_b64 s[20:21], s[18:19]
	s_cbranch_execz .LBB2_1552
.LBB2_1551:                             ;   in Loop: Header=BB2_1484 Depth=2
	v_and_b32_e32 v18, 7, v30
	v_ffbh_u32_e32 v1, v18
	v_min_u32_e32 v25, 32, v1
	v_subrev_u32_e32 v1, 28, v25
	v_lshlrev_b64 v[1:2], v1, v[30:31]
	v_and_b32_e32 v19, 0x7f, v30
	v_bfe_u32 v24, v30, 3, 4
	v_sub_u32_e32 v2, 29, v25
	v_and_b32_e32 v1, 7, v1
	v_cmp_gt_u32_e64 s[18:19], 8, v19
	v_cndmask_b32_e64 v2, v24, v2, s[18:19]
	v_cndmask_b32_e64 v1, v18, v1, s[18:19]
	v_lshlrev_b32_e32 v18, 24, v30
	v_lshlrev_b32_e32 v1, 20, v1
	v_and_b32_e32 v18, 0x80000000, v18
	v_lshl_add_u32 v2, v2, 23, v60
	v_or3_b32 v1, v18, v2, v1
	v_cmp_ne_u32_e64 s[18:19], s50, v19
	v_cndmask_b32_e64 v1, v61, v1, s[18:19]
.LBB2_1552:                             ;   in Loop: Header=BB2_1484 Depth=2
	s_or_b64 exec, exec, s[20:21]
	v_add_f32_e32 v18, v0, v1
	v_and_b32_e32 v34, 0x7f800000, v18
	v_cmp_ne_u64_e64 s[18:19], s[46:47], v[34:35]
                                        ; implicit-def: $vgpr1
	s_and_saveexec_b64 s[20:21], s[18:19]
	s_xor_b64 s[78:79], exec, s[20:21]
	s_cbranch_execz .LBB2_1566
; %bb.1553:                             ;   in Loop: Header=BB2_1484 Depth=2
	v_and_b32_e32 v34, 0x7fffffff, v18
	v_cmp_gt_u64_e64 s[18:19], s[56:57], v[34:35]
	v_and_b32_sdwa v0, v18, s49 dst_sel:DWORD dst_unused:UNUSED_PAD src0_sel:BYTE_3 src1_sel:DWORD
                                        ; implicit-def: $vgpr1
	s_and_saveexec_b64 s[20:21], s[18:19]
	s_xor_b64 s[88:89], exec, s[20:21]
	s_cbranch_execz .LBB2_1563
; %bb.1554:                             ;   in Loop: Header=BB2_1484 Depth=2
	v_mov_b32_e32 v1, 0
	v_cmp_ne_u32_e64 s[18:19], 0, v18
	s_and_saveexec_b64 s[90:91], s[18:19]
	s_cbranch_execz .LBB2_1562
; %bb.1555:                             ;   in Loop: Header=BB2_1484 Depth=2
	v_bfe_u32 v1, v18, 23, 8
	v_and_b32_e32 v2, 0x7fffff, v18
	v_cmp_gt_u32_e64 s[20:21], s51, v1
	v_sub_u32_e32 v18, 0x79, v1
	v_cmp_eq_u32_e64 s[18:19], 0, v1
	v_cndmask_b32_e64 v18, 0, v18, s[20:21]
	v_or_b32_e32 v19, 0x800000, v2
	v_cndmask_b32_e64 v18, v18, v62, s[18:19]
	v_cndmask_b32_e64 v34, v19, v2, s[18:19]
	v_add_u32_e32 v2, 20, v18
	v_lshlrev_b64 v[48:49], v2, -1
	v_add_u32_e32 v2, 19, v18
	v_lshlrev_b64 v[50:51], v2, 1
	v_lshrrev_b64 v[41:42], v18, v[34:35]
	v_bfi_b32 v49, v49, 0, 0
	v_bfi_b32 v48, v48, 0, v34
	v_cmp_eq_u64_e64 s[20:21], v[48:49], v[50:51]
	v_mov_b32_e32 v43, v42
	v_mov_b32_e32 v42, v41
	s_and_saveexec_b64 s[92:93], s[20:21]
; %bb.1556:                             ;   in Loop: Header=BB2_1484 Depth=2
	v_bfe_u32 v2, v41, 20, 1
	v_add_co_u32_e64 v2, s[20:21], v41, v2
	v_add_co_u32_e64 v42, s[20:21], -1, v2
; %bb.1557:                             ;   in Loop: Header=BB2_1484 Depth=2
	s_or_b64 exec, exec, s[92:93]
	v_add_u32_e32 v1, 0xffffff81, v1
	v_cndmask_b32_e64 v1, v1, v59, s[18:19]
	v_lshrrev_b32_e32 v2, 23, v41
	v_add3_u32 v18, v18, v1, v2
	v_add_u32_e32 v2, 6, v18
	v_and_b32_e32 v1, 0xfffff, v42
	v_add_u32_e32 v34, v1, v41
	v_cmp_ne_u32_e64 s[18:19], 0, v2
                                        ; implicit-def: $vgpr41_vgpr42
                                        ; implicit-def: $vgpr1
	s_and_saveexec_b64 s[20:21], s[18:19]
	s_xor_b64 s[20:21], exec, s[20:21]
; %bb.1558:                             ;   in Loop: Header=BB2_1484 Depth=2
	v_cmp_lt_u64_e64 s[18:19], s[58:59], v[34:35]
	v_add_u32_e32 v1, 7, v18
	v_cndmask_b32_e64 v1, v2, v1, s[18:19]
	v_cndmask_b32_e64 v2, 0, 1, s[18:19]
	v_lshrrev_b64 v[41:42], v2, v[34:35]
; %bb.1559:                             ;   in Loop: Header=BB2_1484 Depth=2
	s_andn2_saveexec_b64 s[18:19], s[20:21]
; %bb.1560:                             ;   in Loop: Header=BB2_1484 Depth=2
	v_mov_b32_e32 v42, v35
	v_bfe_u32 v1, v34, 23, 1
	v_mov_b32_e32 v41, v34
; %bb.1561:                             ;   in Loop: Header=BB2_1484 Depth=2
	s_or_b64 exec, exec, s[18:19]
	v_lshrrev_b64 v[18:19], 20, v[41:42]
	v_cmp_gt_i32_e64 s[18:19], 16, v1
	v_cndmask_b32_e64 v19, 0, v19, s[18:19]
	v_cndmask_b32_e64 v18, 7, v18, s[18:19]
	v_cmp_eq_u32_e64 s[18:19], 0, v1
	v_min_i32_e32 v1, 15, v1
	v_cmp_eq_u64_e64 s[20:21], 0, v[18:19]
	v_lshlrev_b32_e32 v1, 3, v1
	v_and_b32_e32 v1, 0xf8, v1
	v_and_or_b32 v1, v18, 7, v1
	s_and_b64 s[18:19], s[18:19], s[20:21]
	v_cndmask_b32_e64 v1, v1, 0, s[18:19]
	v_or_b32_e32 v1, v1, v0
.LBB2_1562:                             ;   in Loop: Header=BB2_1484 Depth=2
	s_or_b64 exec, exec, s[90:91]
                                        ; implicit-def: $vgpr0
.LBB2_1563:                             ;   in Loop: Header=BB2_1484 Depth=2
	s_andn2_saveexec_b64 s[18:19], s[88:89]
; %bb.1564:                             ;   in Loop: Header=BB2_1484 Depth=2
	v_or_b32_e32 v1, 0x7e, v0
; %bb.1565:                             ;   in Loop: Header=BB2_1484 Depth=2
	s_or_b64 exec, exec, s[18:19]
                                        ; implicit-def: $vgpr18
.LBB2_1566:                             ;   in Loop: Header=BB2_1484 Depth=2
	s_andn2_saveexec_b64 s[18:19], s[78:79]
; %bb.1567:                             ;   in Loop: Header=BB2_1484 Depth=2
	v_or_b32_sdwa v1, v18, s50 dst_sel:DWORD dst_unused:UNUSED_PAD src0_sel:BYTE_3 src1_sel:DWORD
; %bb.1568:                             ;   in Loop: Header=BB2_1484 Depth=2
	s_or_b64 exec, exec, s[18:19]
	v_cmp_lt_u32_e64 s[18:19], s61, v14
	v_mov_b32_e32 v0, 0
	s_and_saveexec_b64 s[20:21], s[18:19]
	s_cbranch_execz .LBB2_1574
; %bb.1569:                             ;   in Loop: Header=BB2_1484 Depth=2
	v_lshrrev_b32_e32 v30, 24, v14
	v_cmp_ne_u32_e64 s[18:19], s49, v30
	v_bfrev_b32_e32 v0, 1
	s_and_saveexec_b64 s[78:79], s[18:19]
	s_cbranch_execz .LBB2_1573
; %bb.1570:                             ;   in Loop: Header=BB2_1484 Depth=2
	v_bfe_u32 v2, v14, 24, 7
	v_cmp_ne_u32_e64 s[18:19], s50, v2
	v_mov_b32_e32 v0, 0x7f800001
	s_and_saveexec_b64 s[88:89], s[18:19]
	s_cbranch_execz .LBB2_1572
; %bb.1571:                             ;   in Loop: Header=BB2_1484 Depth=2
	v_and_b32_e32 v0, 7, v30
	v_lshrrev_b32_e32 v24, 3, v2
	v_cmp_gt_u32_e64 s[18:19], 8, v2
	v_ffbh_u32_e32 v2, v0
	v_min_u32_e32 v2, 32, v2
	v_subrev_u32_e32 v18, 28, v2
	v_lshlrev_b64 v[18:19], v18, v[30:31]
	v_sub_u32_e32 v2, 29, v2
	v_and_b32_e32 v18, 7, v18
	v_cndmask_b32_e64 v2, v24, v2, s[18:19]
	v_cndmask_b32_e64 v0, v0, v18, s[18:19]
	v_lshlrev_b32_e32 v18, 24, v30
	v_lshlrev_b32_e32 v0, 20, v0
	v_and_b32_e32 v18, 0x80000000, v18
	v_lshl_add_u32 v2, v2, 23, v60
	v_or3_b32 v0, v18, v2, v0
.LBB2_1572:                             ;   in Loop: Header=BB2_1484 Depth=2
	s_or_b64 exec, exec, s[88:89]
.LBB2_1573:                             ;   in Loop: Header=BB2_1484 Depth=2
	s_or_b64 exec, exec, s[78:79]
.LBB2_1574:                             ;   in Loop: Header=BB2_1484 Depth=2
	s_or_b64 exec, exec, s[20:21]
	v_bfe_u32 v24, v10, 24, 3
	v_ffbh_u32_e32 v18, v24
	v_min_u32_e32 v34, 32, v18
	v_lshrrev_b32_e32 v2, 24, v10
	v_subrev_u32_e32 v18, 28, v34
	v_lshlrev_b64 v[18:19], v18, v[2:3]
	v_bfe_u32 v25, v10, 24, 7
	v_bfe_u32 v30, v2, 3, 4
	v_sub_u32_e32 v19, 29, v34
	v_and_b32_e32 v18, 7, v18
	v_cmp_gt_u32_e64 s[18:19], 8, v25
	v_cndmask_b32_e64 v19, v30, v19, s[18:19]
	v_cndmask_b32_e64 v18, v24, v18, s[18:19]
	v_lshlrev_b32_e32 v18, 20, v18
	v_and_b32_e32 v24, 0x80000000, v10
	v_lshl_add_u32 v19, v19, 23, v60
	v_or3_b32 v18, v24, v19, v18
	v_cmp_ne_u32_e64 s[18:19], s50, v25
	v_cndmask_b32_e64 v18, v61, v18, s[18:19]
	v_cmp_ne_u32_e64 s[18:19], s49, v2
	v_cndmask_b32_e64 v2, v45, v18, s[18:19]
	v_cmp_lt_u32_e64 s[18:19], s61, v10
	v_cndmask_b32_e64 v2, 0, v2, s[18:19]
	v_add_f32_e32 v18, v2, v0
	v_and_b32_e32 v34, 0x7f800000, v18
	v_cmp_ne_u64_e64 s[18:19], s[46:47], v[34:35]
                                        ; implicit-def: $vgpr48
	s_and_saveexec_b64 s[20:21], s[18:19]
	s_xor_b64 s[78:79], exec, s[20:21]
	s_cbranch_execz .LBB2_1588
; %bb.1575:                             ;   in Loop: Header=BB2_1484 Depth=2
	v_and_b32_e32 v34, 0x7fffffff, v18
	v_cmp_gt_u64_e64 s[18:19], s[56:57], v[34:35]
	v_and_b32_sdwa v0, v18, s49 dst_sel:DWORD dst_unused:UNUSED_PAD src0_sel:BYTE_3 src1_sel:DWORD
                                        ; implicit-def: $vgpr48
	s_and_saveexec_b64 s[20:21], s[18:19]
	s_xor_b64 s[88:89], exec, s[20:21]
	s_cbranch_execz .LBB2_1585
; %bb.1576:                             ;   in Loop: Header=BB2_1484 Depth=2
	v_mov_b32_e32 v48, 0
	v_cmp_ne_u32_e64 s[18:19], 0, v18
	s_and_saveexec_b64 s[90:91], s[18:19]
	s_cbranch_execz .LBB2_1584
; %bb.1577:                             ;   in Loop: Header=BB2_1484 Depth=2
	v_and_b32_e32 v2, 0x7fffff, v18
	v_bfe_u32 v18, v18, 23, 8
	v_cmp_gt_u32_e64 s[20:21], s51, v18
	v_sub_u32_e32 v19, 0x79, v18
	v_cmp_eq_u32_e64 s[18:19], 0, v18
	v_cndmask_b32_e64 v19, 0, v19, s[20:21]
	v_or_b32_e32 v24, 0x800000, v2
	v_cndmask_b32_e64 v19, v19, v62, s[18:19]
	v_cndmask_b32_e64 v34, v24, v2, s[18:19]
	v_add_u32_e32 v2, 20, v19
	v_lshlrev_b64 v[48:49], v2, -1
	v_add_u32_e32 v2, 19, v19
	v_lshlrev_b64 v[50:51], v2, 1
	v_lshrrev_b64 v[41:42], v19, v[34:35]
	v_bfi_b32 v49, v49, 0, 0
	v_bfi_b32 v48, v48, 0, v34
	v_cmp_eq_u64_e64 s[20:21], v[48:49], v[50:51]
	v_mov_b32_e32 v43, v42
	v_mov_b32_e32 v42, v41
	s_and_saveexec_b64 s[92:93], s[20:21]
; %bb.1578:                             ;   in Loop: Header=BB2_1484 Depth=2
	v_bfe_u32 v2, v41, 20, 1
	v_add_co_u32_e64 v2, s[20:21], v41, v2
	v_add_co_u32_e64 v42, s[20:21], -1, v2
; %bb.1579:                             ;   in Loop: Header=BB2_1484 Depth=2
	s_or_b64 exec, exec, s[92:93]
	v_add_u32_e32 v2, 0xffffff81, v18
	v_cndmask_b32_e64 v2, v2, v59, s[18:19]
	v_lshrrev_b32_e32 v18, 23, v41
	v_add3_u32 v19, v19, v2, v18
	v_add_u32_e32 v2, 6, v19
	v_and_b32_e32 v18, 0xfffff, v42
	v_add_u32_e32 v34, v18, v41
	v_cmp_ne_u32_e64 s[18:19], 0, v2
                                        ; implicit-def: $vgpr41_vgpr42
                                        ; implicit-def: $vgpr18
	s_and_saveexec_b64 s[20:21], s[18:19]
	s_xor_b64 s[20:21], exec, s[20:21]
; %bb.1580:                             ;   in Loop: Header=BB2_1484 Depth=2
	v_cmp_lt_u64_e64 s[18:19], s[58:59], v[34:35]
	v_add_u32_e32 v18, 7, v19
	v_cndmask_b32_e64 v18, v2, v18, s[18:19]
	v_cndmask_b32_e64 v2, 0, 1, s[18:19]
	v_lshrrev_b64 v[41:42], v2, v[34:35]
; %bb.1581:                             ;   in Loop: Header=BB2_1484 Depth=2
	s_andn2_saveexec_b64 s[18:19], s[20:21]
; %bb.1582:                             ;   in Loop: Header=BB2_1484 Depth=2
	v_mov_b32_e32 v42, v35
	v_bfe_u32 v18, v34, 23, 1
	v_mov_b32_e32 v41, v34
; %bb.1583:                             ;   in Loop: Header=BB2_1484 Depth=2
	s_or_b64 exec, exec, s[18:19]
	v_lshrrev_b64 v[48:49], 20, v[41:42]
	v_cmp_gt_i32_e64 s[18:19], 16, v18
	v_cndmask_b32_e64 v49, 0, v49, s[18:19]
	v_cndmask_b32_e64 v48, 7, v48, s[18:19]
	v_min_i32_e32 v2, 15, v18
	v_cmp_eq_u64_e64 s[20:21], 0, v[48:49]
	v_lshlrev_b32_e32 v2, 3, v2
	v_cmp_eq_u32_e64 s[18:19], 0, v18
	v_and_b32_e32 v2, 0xf8, v2
	v_and_or_b32 v2, v48, 7, v2
	s_and_b64 s[18:19], s[18:19], s[20:21]
	v_cndmask_b32_e64 v2, v2, 0, s[18:19]
	v_or_b32_e32 v48, v2, v0
.LBB2_1584:                             ;   in Loop: Header=BB2_1484 Depth=2
	s_or_b64 exec, exec, s[90:91]
                                        ; implicit-def: $vgpr0
.LBB2_1585:                             ;   in Loop: Header=BB2_1484 Depth=2
	s_andn2_saveexec_b64 s[18:19], s[88:89]
; %bb.1586:                             ;   in Loop: Header=BB2_1484 Depth=2
	v_or_b32_e32 v48, 0x7e, v0
; %bb.1587:                             ;   in Loop: Header=BB2_1484 Depth=2
	s_or_b64 exec, exec, s[18:19]
                                        ; implicit-def: $vgpr18
.LBB2_1588:                             ;   in Loop: Header=BB2_1484 Depth=2
	s_andn2_saveexec_b64 s[18:19], s[78:79]
; %bb.1589:                             ;   in Loop: Header=BB2_1484 Depth=2
	v_or_b32_sdwa v48, v18, s50 dst_sel:DWORD dst_unused:UNUSED_PAD src0_sel:BYTE_3 src1_sel:DWORD
; %bb.1590:                             ;   in Loop: Header=BB2_1484 Depth=2
	s_or_b64 exec, exec, s[18:19]
	v_mov_b32_e32 v34, v15
	v_cmp_ne_u16_sdwa s[18:19], v15, v35 src0_sel:BYTE_0 src1_sel:DWORD
	v_mov_b32_e32 v0, 0
	s_and_saveexec_b64 s[20:21], s[18:19]
	s_cbranch_execz .LBB2_1596
; %bb.1591:                             ;   in Loop: Header=BB2_1484 Depth=2
	v_cmp_ne_u16_sdwa s[18:19], v15, s49 src0_sel:BYTE_0 src1_sel:DWORD
	v_bfrev_b32_e32 v0, 1
	s_and_saveexec_b64 s[78:79], s[18:19]
	s_cbranch_execz .LBB2_1595
; %bb.1592:                             ;   in Loop: Header=BB2_1484 Depth=2
	v_and_b32_e32 v2, 0x7f, v15
	v_cmp_ne_u32_e64 s[18:19], s50, v2
	v_mov_b32_e32 v0, 0x7f800001
	s_and_saveexec_b64 s[88:89], s[18:19]
	s_cbranch_execz .LBB2_1594
; %bb.1593:                             ;   in Loop: Header=BB2_1484 Depth=2
	v_and_b32_e32 v0, 7, v15
	v_ffbh_u32_e32 v0, v0
	v_min_u32_e32 v0, 32, v0
	v_lshrrev_b32_e32 v18, 3, v2
	v_cmp_gt_u32_e64 s[18:19], 8, v2
	v_subrev_u32_e32 v2, 28, v0
	v_sub_u32_e32 v0, 29, v0
	v_cndmask_b32_e64 v2, 0, v2, s[18:19]
	v_cndmask_b32_e64 v0, v18, v0, s[18:19]
	v_lshlrev_b64 v[18:19], v2, v[34:35]
	v_lshl_add_u32 v0, v0, 23, v60
	v_lshlrev_b32_e32 v2, 20, v18
	v_lshlrev_b32_e32 v18, 24, v34
	v_and_b32_e32 v2, 0x700000, v2
	v_and_b32_e32 v18, 0x80000000, v18
	v_or3_b32 v0, v18, v0, v2
.LBB2_1594:                             ;   in Loop: Header=BB2_1484 Depth=2
	s_or_b64 exec, exec, s[88:89]
.LBB2_1595:                             ;   in Loop: Header=BB2_1484 Depth=2
	s_or_b64 exec, exec, s[78:79]
.LBB2_1596:                             ;   in Loop: Header=BB2_1484 Depth=2
	s_or_b64 exec, exec, s[20:21]
	v_cmp_gt_i16_sdwa s[20:21], v11, s50 src0_sel:BYTE_0 src1_sel:DWORD
	s_mov_b64 s[18:19], 0
	s_and_saveexec_b64 s[78:79], s[20:21]
	s_xor_b64 s[20:21], exec, s[78:79]
	s_cbranch_execz .LBB2_1600
; %bb.1597:                             ;   in Loop: Header=BB2_1484 Depth=2
	v_cmp_eq_u16_sdwa s[88:89], v11, s49 src0_sel:BYTE_0 src1_sel:DWORD
	s_mov_b64 s[18:19], -1
	s_and_saveexec_b64 s[78:79], s[88:89]
; %bb.1598:                             ;   in Loop: Header=BB2_1484 Depth=2
	s_xor_b64 s[18:19], exec, -1
; %bb.1599:                             ;   in Loop: Header=BB2_1484 Depth=2
	s_or_b64 exec, exec, s[78:79]
	s_and_b64 s[18:19], s[18:19], exec
.LBB2_1600:                             ;   in Loop: Header=BB2_1484 Depth=2
	s_or_saveexec_b64 s[20:21], s[20:21]
	v_bfrev_b32_e32 v2, 1
	s_xor_b64 exec, exec, s[20:21]
; %bb.1601:                             ;   in Loop: Header=BB2_1484 Depth=2
	v_cmp_ne_u16_sdwa s[78:79], v11, v35 src0_sel:BYTE_0 src1_sel:DWORD
	s_andn2_b64 s[18:19], s[18:19], exec
	s_and_b64 s[78:79], s[78:79], exec
	v_mov_b32_e32 v2, 0
	s_or_b64 s[18:19], s[18:19], s[78:79]
; %bb.1602:                             ;   in Loop: Header=BB2_1484 Depth=2
	s_or_b64 exec, exec, s[20:21]
	v_mov_b32_e32 v41, v11
	v_mov_b32_e32 v42, v35
	s_and_saveexec_b64 s[20:21], s[18:19]
	s_cbranch_execz .LBB2_1604
; %bb.1603:                             ;   in Loop: Header=BB2_1484 Depth=2
	v_and_b32_e32 v2, 7, v11
	v_ffbh_u32_e32 v2, v2
	v_and_b32_e32 v24, 0x7f, v11
	v_min_u32_e32 v2, 32, v2
	v_bfe_u32 v18, v11, 3, 4
	v_subrev_u32_e32 v19, 28, v2
	v_sub_u32_e32 v2, 29, v2
	v_cmp_gt_u32_e64 s[18:19], 8, v24
	v_cndmask_b32_e64 v2, v18, v2, s[18:19]
	v_cndmask_b32_e64 v18, 0, v19, s[18:19]
	v_lshlrev_b64 v[18:19], v18, v[41:42]
	v_lshlrev_b32_e32 v19, 24, v41
	v_lshlrev_b32_e32 v18, 20, v18
	v_and_b32_e32 v18, 0x700000, v18
	v_and_b32_e32 v19, 0x80000000, v19
	v_lshl_add_u32 v2, v2, 23, v60
	v_or3_b32 v2, v19, v2, v18
	v_cmp_ne_u32_e64 s[18:19], s50, v24
	v_cndmask_b32_e64 v2, v61, v2, s[18:19]
.LBB2_1604:                             ;   in Loop: Header=BB2_1484 Depth=2
	s_or_b64 exec, exec, s[20:21]
	v_add_f32_e32 v18, v0, v2
	v_and_b32_e32 v49, 0x7f800000, v18
	v_mov_b32_e32 v50, v35
	v_cmp_ne_u64_e64 s[18:19], s[46:47], v[49:50]
                                        ; implicit-def: $vgpr49
	s_and_saveexec_b64 s[20:21], s[18:19]
	s_xor_b64 s[78:79], exec, s[20:21]
	s_cbranch_execz .LBB2_1618
; %bb.1605:                             ;   in Loop: Header=BB2_1484 Depth=2
	v_and_b32_e32 v49, 0x7fffffff, v18
	v_mov_b32_e32 v50, v35
	v_cmp_gt_u64_e64 s[18:19], s[56:57], v[49:50]
	v_and_b32_sdwa v0, v18, s49 dst_sel:DWORD dst_unused:UNUSED_PAD src0_sel:BYTE_3 src1_sel:DWORD
                                        ; implicit-def: $vgpr49
	s_and_saveexec_b64 s[20:21], s[18:19]
	s_xor_b64 s[88:89], exec, s[20:21]
	s_cbranch_execz .LBB2_1615
; %bb.1606:                             ;   in Loop: Header=BB2_1484 Depth=2
	v_mov_b32_e32 v49, 0
	v_cmp_ne_u32_e64 s[18:19], 0, v18
	s_and_saveexec_b64 s[90:91], s[18:19]
	s_cbranch_execz .LBB2_1614
; %bb.1607:                             ;   in Loop: Header=BB2_1484 Depth=2
	v_and_b32_e32 v2, 0x7fffff, v18
	v_bfe_u32 v18, v18, 23, 8
	v_cmp_gt_u32_e64 s[20:21], s51, v18
	v_sub_u32_e32 v19, 0x79, v18
	v_cmp_eq_u32_e64 s[18:19], 0, v18
	v_cndmask_b32_e64 v19, 0, v19, s[20:21]
	v_or_b32_e32 v24, 0x800000, v2
	v_cndmask_b32_e64 v19, v19, v62, s[18:19]
	v_cndmask_b32_e64 v49, v24, v2, s[18:19]
	v_add_u32_e32 v2, 20, v19
	v_lshlrev_b64 v[42:43], v2, -1
	v_add_u32_e32 v2, 19, v19
	v_lshlrev_b64 v[24:25], v2, 1
	v_mov_b32_e32 v50, v35
	v_bfi_b32 v43, v43, 0, 0
	v_bfi_b32 v42, v42, 0, v49
	v_cmp_eq_u64_e64 s[20:21], v[42:43], v[24:25]
	v_lshrrev_b64 v[42:43], v19, v[49:50]
	v_mov_b32_e32 v44, v43
	v_mov_b32_e32 v43, v42
	s_and_saveexec_b64 s[92:93], s[20:21]
; %bb.1608:                             ;   in Loop: Header=BB2_1484 Depth=2
	v_bfe_u32 v2, v42, 20, 1
	v_add_co_u32_e64 v2, s[20:21], v42, v2
	v_add_co_u32_e64 v43, s[20:21], -1, v2
; %bb.1609:                             ;   in Loop: Header=BB2_1484 Depth=2
	s_or_b64 exec, exec, s[92:93]
	v_add_u32_e32 v2, 0xffffff81, v18
	v_cndmask_b32_e64 v2, v2, v59, s[18:19]
	v_lshrrev_b32_e32 v18, 23, v42
	v_add3_u32 v19, v19, v2, v18
	v_add_u32_e32 v2, 6, v19
	v_and_b32_e32 v18, 0xfffff, v43
	v_add_u32_e32 v42, v18, v42
	v_mov_b32_e32 v43, v35
	v_cmp_ne_u32_e64 s[18:19], 0, v2
                                        ; implicit-def: $vgpr18
	s_and_saveexec_b64 s[20:21], s[18:19]
	s_xor_b64 s[20:21], exec, s[20:21]
; %bb.1610:                             ;   in Loop: Header=BB2_1484 Depth=2
	v_cmp_lt_u64_e64 s[18:19], s[58:59], v[42:43]
	v_add_u32_e32 v18, 7, v19
	v_cndmask_b32_e64 v18, v2, v18, s[18:19]
	v_cndmask_b32_e64 v2, 0, 1, s[18:19]
	v_lshrrev_b64 v[42:43], v2, v[42:43]
; %bb.1611:                             ;   in Loop: Header=BB2_1484 Depth=2
	s_andn2_saveexec_b64 s[18:19], s[20:21]
; %bb.1612:                             ;   in Loop: Header=BB2_1484 Depth=2
	v_bfe_u32 v18, v42, 23, 1
; %bb.1613:                             ;   in Loop: Header=BB2_1484 Depth=2
	s_or_b64 exec, exec, s[18:19]
	v_lshrrev_b64 v[24:25], 20, v[42:43]
	v_cmp_gt_i32_e64 s[18:19], 16, v18
	v_cndmask_b32_e64 v25, 0, v25, s[18:19]
	v_cndmask_b32_e64 v24, 7, v24, s[18:19]
	v_min_i32_e32 v2, 15, v18
	v_cmp_eq_u64_e64 s[20:21], 0, v[24:25]
	v_lshlrev_b32_e32 v2, 3, v2
	v_cmp_eq_u32_e64 s[18:19], 0, v18
	v_and_b32_e32 v2, 0xf8, v2
	v_and_or_b32 v2, v24, 7, v2
	s_and_b64 s[18:19], s[18:19], s[20:21]
	v_cndmask_b32_e64 v2, v2, 0, s[18:19]
	v_or_b32_e32 v49, v2, v0
.LBB2_1614:                             ;   in Loop: Header=BB2_1484 Depth=2
	s_or_b64 exec, exec, s[90:91]
                                        ; implicit-def: $vgpr0
.LBB2_1615:                             ;   in Loop: Header=BB2_1484 Depth=2
	s_andn2_saveexec_b64 s[18:19], s[88:89]
; %bb.1616:                             ;   in Loop: Header=BB2_1484 Depth=2
	v_or_b32_e32 v49, 0x7e, v0
; %bb.1617:                             ;   in Loop: Header=BB2_1484 Depth=2
	s_or_b64 exec, exec, s[18:19]
                                        ; implicit-def: $vgpr18
.LBB2_1618:                             ;   in Loop: Header=BB2_1484 Depth=2
	s_andn2_saveexec_b64 s[18:19], s[78:79]
; %bb.1619:                             ;   in Loop: Header=BB2_1484 Depth=2
	v_or_b32_sdwa v49, v18, s50 dst_sel:DWORD dst_unused:UNUSED_PAD src0_sel:BYTE_3 src1_sel:DWORD
; %bb.1620:                             ;   in Loop: Header=BB2_1484 Depth=2
	s_or_b64 exec, exec, s[18:19]
	v_lshrrev_b16_e32 v30, 8, v34
	v_cmp_ne_u16_e64 s[18:19], 0, v30
	v_mov_b32_e32 v0, 0
	s_and_saveexec_b64 s[20:21], s[18:19]
	s_cbranch_execz .LBB2_1626
; %bb.1621:                             ;   in Loop: Header=BB2_1484 Depth=2
	v_cmp_ne_u16_e64 s[18:19], s49, v30
	v_bfrev_b32_e32 v0, 1
	s_and_saveexec_b64 s[78:79], s[18:19]
	s_cbranch_execz .LBB2_1625
; %bb.1622:                             ;   in Loop: Header=BB2_1484 Depth=2
	v_and_b32_e32 v2, 0x7f, v30
	v_cmp_ne_u32_e64 s[18:19], s50, v2
	v_mov_b32_e32 v0, 0x7f800001
	s_and_saveexec_b64 s[88:89], s[18:19]
	s_cbranch_execz .LBB2_1624
; %bb.1623:                             ;   in Loop: Header=BB2_1484 Depth=2
	v_and_b32_e32 v0, 7, v30
	v_lshrrev_b32_e32 v24, 3, v2
	v_cmp_gt_u32_e64 s[18:19], 8, v2
	v_ffbh_u32_e32 v2, v0
	v_min_u32_e32 v2, 32, v2
	v_subrev_u32_e32 v18, 28, v2
	v_lshlrev_b64 v[18:19], v18, v[30:31]
	v_sub_u32_e32 v2, 29, v2
	v_and_b32_e32 v18, 7, v18
	v_cndmask_b32_e64 v2, v24, v2, s[18:19]
	v_cndmask_b32_e64 v0, v0, v18, s[18:19]
	v_lshlrev_b32_e32 v18, 16, v34
	v_lshlrev_b32_e32 v0, 20, v0
	v_and_b32_e32 v18, 0x80000000, v18
	v_lshl_add_u32 v2, v2, 23, v60
	v_or3_b32 v0, v18, v2, v0
.LBB2_1624:                             ;   in Loop: Header=BB2_1484 Depth=2
	s_or_b64 exec, exec, s[88:89]
.LBB2_1625:                             ;   in Loop: Header=BB2_1484 Depth=2
	s_or_b64 exec, exec, s[78:79]
.LBB2_1626:                             ;   in Loop: Header=BB2_1484 Depth=2
	s_or_b64 exec, exec, s[20:21]
	v_lshrrev_b16_e32 v34, 8, v41
	v_cmp_lt_i16_e64 s[18:19], s50, v34
	s_mov_b64 s[20:21], 0
	s_and_saveexec_b64 s[78:79], s[18:19]
	s_xor_b64 s[78:79], exec, s[78:79]
	s_cbranch_execz .LBB2_1918
; %bb.1627:                             ;   in Loop: Header=BB2_1484 Depth=2
	v_cmp_eq_u16_e64 s[18:19], s49, v34
	s_mov_b64 s[20:21], -1
	s_and_saveexec_b64 s[88:89], s[18:19]
; %bb.1628:                             ;   in Loop: Header=BB2_1484 Depth=2
	s_xor_b64 s[20:21], exec, -1
; %bb.1629:                             ;   in Loop: Header=BB2_1484 Depth=2
	s_or_b64 exec, exec, s[88:89]
	s_and_b64 s[20:21], s[20:21], exec
	s_or_saveexec_b64 s[78:79], s[78:79]
	v_bfrev_b32_e32 v2, 1
	s_xor_b64 exec, exec, s[78:79]
	s_cbranch_execnz .LBB2_1919
.LBB2_1630:                             ;   in Loop: Header=BB2_1484 Depth=2
	s_or_b64 exec, exec, s[78:79]
	s_and_saveexec_b64 s[78:79], s[20:21]
	s_cbranch_execz .LBB2_1632
.LBB2_1631:                             ;   in Loop: Header=BB2_1484 Depth=2
	v_and_b32_e32 v2, 7, v34
	v_ffbh_u32_e32 v18, v2
	v_min_u32_e32 v30, 32, v18
	v_subrev_u32_e32 v18, 28, v30
	v_lshlrev_b64 v[18:19], v18, v[34:35]
	v_and_b32_e32 v24, 0x7f, v34
	v_bfe_u32 v25, v34, 3, 4
	v_sub_u32_e32 v19, 29, v30
	v_and_b32_e32 v18, 7, v18
	v_cmp_gt_u32_e64 s[18:19], 8, v24
	v_cndmask_b32_e64 v19, v25, v19, s[18:19]
	v_cndmask_b32_e64 v2, v2, v18, s[18:19]
	v_lshlrev_b32_e32 v18, 24, v34
	v_lshlrev_b32_e32 v2, 20, v2
	v_and_b32_e32 v18, 0x80000000, v18
	v_lshl_add_u32 v19, v19, 23, v60
	v_or3_b32 v2, v18, v19, v2
	v_cmp_ne_u32_e64 s[18:19], s50, v24
	v_cndmask_b32_e64 v2, v61, v2, s[18:19]
.LBB2_1632:                             ;   in Loop: Header=BB2_1484 Depth=2
	s_or_b64 exec, exec, s[78:79]
	v_add_f32_e32 v18, v0, v2
	v_and_b32_e32 v34, 0x7f800000, v18
	v_cmp_ne_u64_e64 s[18:19], s[46:47], v[34:35]
                                        ; implicit-def: $vgpr44
	s_and_saveexec_b64 s[20:21], s[18:19]
	s_xor_b64 s[78:79], exec, s[20:21]
	s_cbranch_execz .LBB2_1646
; %bb.1633:                             ;   in Loop: Header=BB2_1484 Depth=2
	v_and_b32_e32 v34, 0x7fffffff, v18
	v_cmp_gt_u64_e64 s[18:19], s[56:57], v[34:35]
	v_and_b32_sdwa v0, v18, s49 dst_sel:DWORD dst_unused:UNUSED_PAD src0_sel:BYTE_3 src1_sel:DWORD
                                        ; implicit-def: $vgpr44
	s_and_saveexec_b64 s[20:21], s[18:19]
	s_xor_b64 s[88:89], exec, s[20:21]
	s_cbranch_execz .LBB2_1643
; %bb.1634:                             ;   in Loop: Header=BB2_1484 Depth=2
	v_mov_b32_e32 v44, 0
	v_cmp_ne_u32_e64 s[18:19], 0, v18
	s_and_saveexec_b64 s[90:91], s[18:19]
	s_cbranch_execz .LBB2_1642
; %bb.1635:                             ;   in Loop: Header=BB2_1484 Depth=2
	v_and_b32_e32 v2, 0x7fffff, v18
	v_bfe_u32 v18, v18, 23, 8
	v_cmp_gt_u32_e64 s[20:21], s51, v18
	v_sub_u32_e32 v19, 0x79, v18
	v_cmp_eq_u32_e64 s[18:19], 0, v18
	v_cndmask_b32_e64 v19, 0, v19, s[20:21]
	v_or_b32_e32 v24, 0x800000, v2
	v_cndmask_b32_e64 v19, v19, v62, s[18:19]
	v_cndmask_b32_e64 v34, v24, v2, s[18:19]
	v_add_u32_e32 v2, 20, v19
	v_lshlrev_b64 v[24:25], v2, -1
	v_add_u32_e32 v2, 19, v19
	v_lshlrev_b64 v[50:51], v2, 1
	v_lshrrev_b64 v[41:42], v19, v[34:35]
	v_bfi_b32 v25, v25, 0, 0
	v_bfi_b32 v24, v24, 0, v34
	v_cmp_eq_u64_e64 s[20:21], v[24:25], v[50:51]
	v_mov_b32_e32 v43, v42
	v_mov_b32_e32 v42, v41
	s_and_saveexec_b64 s[92:93], s[20:21]
; %bb.1636:                             ;   in Loop: Header=BB2_1484 Depth=2
	v_bfe_u32 v2, v41, 20, 1
	v_add_co_u32_e64 v2, s[20:21], v41, v2
	v_add_co_u32_e64 v42, s[20:21], -1, v2
; %bb.1637:                             ;   in Loop: Header=BB2_1484 Depth=2
	s_or_b64 exec, exec, s[92:93]
	v_add_u32_e32 v2, 0xffffff81, v18
	v_cndmask_b32_e64 v2, v2, v59, s[18:19]
	v_lshrrev_b32_e32 v18, 23, v41
	v_add3_u32 v19, v19, v2, v18
	v_add_u32_e32 v2, 6, v19
	v_and_b32_e32 v18, 0xfffff, v42
	v_add_u32_e32 v34, v18, v41
	v_cmp_ne_u32_e64 s[18:19], 0, v2
                                        ; implicit-def: $vgpr41_vgpr42
                                        ; implicit-def: $vgpr18
	s_and_saveexec_b64 s[20:21], s[18:19]
	s_xor_b64 s[20:21], exec, s[20:21]
; %bb.1638:                             ;   in Loop: Header=BB2_1484 Depth=2
	v_cmp_lt_u64_e64 s[18:19], s[58:59], v[34:35]
	v_add_u32_e32 v18, 7, v19
	v_cndmask_b32_e64 v18, v2, v18, s[18:19]
	v_cndmask_b32_e64 v2, 0, 1, s[18:19]
	v_lshrrev_b64 v[41:42], v2, v[34:35]
; %bb.1639:                             ;   in Loop: Header=BB2_1484 Depth=2
	s_andn2_saveexec_b64 s[18:19], s[20:21]
; %bb.1640:                             ;   in Loop: Header=BB2_1484 Depth=2
	v_mov_b32_e32 v42, v35
	v_bfe_u32 v18, v34, 23, 1
	v_mov_b32_e32 v41, v34
; %bb.1641:                             ;   in Loop: Header=BB2_1484 Depth=2
	s_or_b64 exec, exec, s[18:19]
	v_lshrrev_b64 v[24:25], 20, v[41:42]
	v_cmp_gt_i32_e64 s[18:19], 16, v18
	v_cndmask_b32_e64 v25, 0, v25, s[18:19]
	v_cndmask_b32_e64 v24, 7, v24, s[18:19]
	v_min_i32_e32 v2, 15, v18
	v_cmp_eq_u64_e64 s[20:21], 0, v[24:25]
	v_lshlrev_b32_e32 v2, 3, v2
	v_cmp_eq_u32_e64 s[18:19], 0, v18
	v_and_b32_e32 v2, 0xf8, v2
	v_and_or_b32 v2, v24, 7, v2
	s_and_b64 s[18:19], s[18:19], s[20:21]
	v_cndmask_b32_e64 v2, v2, 0, s[18:19]
	v_or_b32_e32 v44, v2, v0
.LBB2_1642:                             ;   in Loop: Header=BB2_1484 Depth=2
	s_or_b64 exec, exec, s[90:91]
                                        ; implicit-def: $vgpr0
.LBB2_1643:                             ;   in Loop: Header=BB2_1484 Depth=2
	s_andn2_saveexec_b64 s[18:19], s[88:89]
; %bb.1644:                             ;   in Loop: Header=BB2_1484 Depth=2
	v_or_b32_e32 v44, 0x7e, v0
; %bb.1645:                             ;   in Loop: Header=BB2_1484 Depth=2
	s_or_b64 exec, exec, s[18:19]
                                        ; implicit-def: $vgpr18
.LBB2_1646:                             ;   in Loop: Header=BB2_1484 Depth=2
	s_andn2_saveexec_b64 s[18:19], s[78:79]
; %bb.1647:                             ;   in Loop: Header=BB2_1484 Depth=2
	v_or_b32_sdwa v44, v18, s50 dst_sel:DWORD dst_unused:UNUSED_PAD src0_sel:BYTE_3 src1_sel:DWORD
; %bb.1648:                             ;   in Loop: Header=BB2_1484 Depth=2
	s_or_b64 exec, exec, s[18:19]
	v_lshrrev_b32_e32 v30, 16, v15
	v_cmp_ne_u16_sdwa s[18:19], v30, v35 src0_sel:BYTE_0 src1_sel:DWORD
	v_mov_b32_e32 v0, 0
	s_and_saveexec_b64 s[20:21], s[18:19]
	s_cbranch_execz .LBB2_1654
; %bb.1649:                             ;   in Loop: Header=BB2_1484 Depth=2
	v_cmp_ne_u16_sdwa s[18:19], v30, s49 src0_sel:BYTE_0 src1_sel:DWORD
	v_bfrev_b32_e32 v0, 1
	s_and_saveexec_b64 s[78:79], s[18:19]
	s_cbranch_execz .LBB2_1653
; %bb.1650:                             ;   in Loop: Header=BB2_1484 Depth=2
	v_bfe_u32 v2, v15, 16, 7
	v_cmp_ne_u32_e64 s[18:19], s50, v2
	v_mov_b32_e32 v0, 0x7f800001
	s_and_saveexec_b64 s[88:89], s[18:19]
	s_cbranch_execz .LBB2_1652
; %bb.1651:                             ;   in Loop: Header=BB2_1484 Depth=2
	v_and_b32_e32 v0, 7, v30
	v_lshrrev_b32_e32 v24, 3, v2
	v_cmp_gt_u32_e64 s[18:19], 8, v2
	v_ffbh_u32_e32 v2, v0
	v_min_u32_e32 v2, 32, v2
	v_subrev_u32_e32 v18, 28, v2
	v_lshlrev_b64 v[18:19], v18, v[30:31]
	v_sub_u32_e32 v2, 29, v2
	v_and_b32_e32 v18, 7, v18
	v_cndmask_b32_e64 v2, v24, v2, s[18:19]
	v_cndmask_b32_e64 v0, v0, v18, s[18:19]
	v_lshlrev_b32_e32 v18, 24, v30
	v_lshlrev_b32_e32 v0, 20, v0
	v_and_b32_e32 v18, 0x80000000, v18
	v_lshl_add_u32 v2, v2, 23, v60
	v_or3_b32 v0, v18, v2, v0
.LBB2_1652:                             ;   in Loop: Header=BB2_1484 Depth=2
	s_or_b64 exec, exec, s[88:89]
.LBB2_1653:                             ;   in Loop: Header=BB2_1484 Depth=2
	s_or_b64 exec, exec, s[78:79]
.LBB2_1654:                             ;   in Loop: Header=BB2_1484 Depth=2
	s_or_b64 exec, exec, s[20:21]
	v_lshrrev_b32_e32 v30, 16, v11
	v_cmp_gt_i16_sdwa s[20:21], v30, s50 src0_sel:BYTE_0 src1_sel:DWORD
	s_mov_b64 s[18:19], 0
	s_and_saveexec_b64 s[78:79], s[20:21]
	s_xor_b64 s[20:21], exec, s[78:79]
	s_cbranch_execz .LBB2_1920
; %bb.1655:                             ;   in Loop: Header=BB2_1484 Depth=2
	v_cmp_eq_u16_sdwa s[88:89], v30, s49 src0_sel:BYTE_0 src1_sel:DWORD
	s_mov_b64 s[18:19], -1
	s_and_saveexec_b64 s[78:79], s[88:89]
; %bb.1656:                             ;   in Loop: Header=BB2_1484 Depth=2
	s_xor_b64 s[18:19], exec, -1
; %bb.1657:                             ;   in Loop: Header=BB2_1484 Depth=2
	s_or_b64 exec, exec, s[78:79]
	s_and_b64 s[18:19], s[18:19], exec
	s_or_saveexec_b64 s[20:21], s[20:21]
	v_bfrev_b32_e32 v2, 1
	s_xor_b64 exec, exec, s[20:21]
	s_cbranch_execnz .LBB2_1921
.LBB2_1658:                             ;   in Loop: Header=BB2_1484 Depth=2
	s_or_b64 exec, exec, s[20:21]
	s_and_saveexec_b64 s[20:21], s[18:19]
	s_cbranch_execz .LBB2_1660
.LBB2_1659:                             ;   in Loop: Header=BB2_1484 Depth=2
	v_and_b32_e32 v2, 7, v30
	v_ffbh_u32_e32 v18, v2
	v_min_u32_e32 v34, 32, v18
	v_subrev_u32_e32 v18, 28, v34
	v_lshlrev_b64 v[18:19], v18, v[30:31]
	v_and_b32_e32 v24, 0x7f, v30
	v_bfe_u32 v25, v30, 3, 4
	v_sub_u32_e32 v19, 29, v34
	v_and_b32_e32 v18, 7, v18
	v_cmp_gt_u32_e64 s[18:19], 8, v24
	v_cndmask_b32_e64 v19, v25, v19, s[18:19]
	v_cndmask_b32_e64 v2, v2, v18, s[18:19]
	v_lshlrev_b32_e32 v18, 24, v30
	v_lshlrev_b32_e32 v2, 20, v2
	v_and_b32_e32 v18, 0x80000000, v18
	v_lshl_add_u32 v19, v19, 23, v60
	v_or3_b32 v2, v18, v19, v2
	v_cmp_ne_u32_e64 s[18:19], s50, v24
	v_cndmask_b32_e64 v2, v61, v2, s[18:19]
.LBB2_1660:                             ;   in Loop: Header=BB2_1484 Depth=2
	s_or_b64 exec, exec, s[20:21]
	v_add_f32_e32 v19, v0, v2
	v_and_b32_e32 v34, 0x7f800000, v19
	v_cmp_ne_u64_e64 s[18:19], s[46:47], v[34:35]
                                        ; implicit-def: $vgpr0
	s_and_saveexec_b64 s[20:21], s[18:19]
	s_xor_b64 s[78:79], exec, s[20:21]
	s_cbranch_execz .LBB2_1674
; %bb.1661:                             ;   in Loop: Header=BB2_1484 Depth=2
	v_and_b32_e32 v34, 0x7fffffff, v19
	v_cmp_gt_u64_e64 s[18:19], s[56:57], v[34:35]
	v_and_b32_sdwa v18, v19, s49 dst_sel:DWORD dst_unused:UNUSED_PAD src0_sel:BYTE_3 src1_sel:DWORD
                                        ; implicit-def: $vgpr0
	s_and_saveexec_b64 s[20:21], s[18:19]
	s_xor_b64 s[88:89], exec, s[20:21]
	s_cbranch_execz .LBB2_1671
; %bb.1662:                             ;   in Loop: Header=BB2_1484 Depth=2
	v_mov_b32_e32 v0, 0
	v_cmp_ne_u32_e64 s[18:19], 0, v19
	s_and_saveexec_b64 s[90:91], s[18:19]
	s_cbranch_execz .LBB2_1670
; %bb.1663:                             ;   in Loop: Header=BB2_1484 Depth=2
	v_bfe_u32 v0, v19, 23, 8
	v_and_b32_e32 v2, 0x7fffff, v19
	v_cmp_gt_u32_e64 s[20:21], s51, v0
	v_sub_u32_e32 v19, 0x79, v0
	v_cmp_eq_u32_e64 s[18:19], 0, v0
	v_cndmask_b32_e64 v19, 0, v19, s[20:21]
	v_or_b32_e32 v24, 0x800000, v2
	v_cndmask_b32_e64 v19, v19, v62, s[18:19]
	v_cndmask_b32_e64 v34, v24, v2, s[18:19]
	v_add_u32_e32 v2, 20, v19
	v_lshlrev_b64 v[24:25], v2, -1
	v_add_u32_e32 v2, 19, v19
	v_lshlrev_b64 v[50:51], v2, 1
	v_lshrrev_b64 v[41:42], v19, v[34:35]
	v_bfi_b32 v25, v25, 0, 0
	v_bfi_b32 v24, v24, 0, v34
	v_cmp_eq_u64_e64 s[20:21], v[24:25], v[50:51]
	v_mov_b32_e32 v43, v42
	v_mov_b32_e32 v42, v41
	s_and_saveexec_b64 s[92:93], s[20:21]
; %bb.1664:                             ;   in Loop: Header=BB2_1484 Depth=2
	v_bfe_u32 v2, v41, 20, 1
	v_add_co_u32_e64 v2, s[20:21], v41, v2
	v_add_co_u32_e64 v42, s[20:21], -1, v2
; %bb.1665:                             ;   in Loop: Header=BB2_1484 Depth=2
	s_or_b64 exec, exec, s[92:93]
	v_add_u32_e32 v0, 0xffffff81, v0
	v_cndmask_b32_e64 v0, v0, v59, s[18:19]
	v_lshrrev_b32_e32 v2, 23, v41
	v_add3_u32 v19, v19, v0, v2
	v_add_u32_e32 v2, 6, v19
	v_and_b32_e32 v0, 0xfffff, v42
	v_add_u32_e32 v34, v0, v41
	v_cmp_ne_u32_e64 s[18:19], 0, v2
                                        ; implicit-def: $vgpr41_vgpr42
                                        ; implicit-def: $vgpr0
	s_and_saveexec_b64 s[20:21], s[18:19]
	s_xor_b64 s[20:21], exec, s[20:21]
; %bb.1666:                             ;   in Loop: Header=BB2_1484 Depth=2
	v_cmp_lt_u64_e64 s[18:19], s[58:59], v[34:35]
	v_add_u32_e32 v0, 7, v19
	v_cndmask_b32_e64 v0, v2, v0, s[18:19]
	v_cndmask_b32_e64 v2, 0, 1, s[18:19]
	v_lshrrev_b64 v[41:42], v2, v[34:35]
; %bb.1667:                             ;   in Loop: Header=BB2_1484 Depth=2
	s_andn2_saveexec_b64 s[18:19], s[20:21]
; %bb.1668:                             ;   in Loop: Header=BB2_1484 Depth=2
	v_mov_b32_e32 v42, v35
	v_bfe_u32 v0, v34, 23, 1
	v_mov_b32_e32 v41, v34
; %bb.1669:                             ;   in Loop: Header=BB2_1484 Depth=2
	s_or_b64 exec, exec, s[18:19]
	v_lshrrev_b64 v[24:25], 20, v[41:42]
	v_cmp_gt_i32_e64 s[18:19], 16, v0
	v_cndmask_b32_e64 v25, 0, v25, s[18:19]
	v_cndmask_b32_e64 v24, 7, v24, s[18:19]
	v_cmp_eq_u32_e64 s[18:19], 0, v0
	v_min_i32_e32 v0, 15, v0
	v_cmp_eq_u64_e64 s[20:21], 0, v[24:25]
	v_lshlrev_b32_e32 v0, 3, v0
	v_and_b32_e32 v0, 0xf8, v0
	v_and_or_b32 v0, v24, 7, v0
	s_and_b64 s[18:19], s[18:19], s[20:21]
	v_cndmask_b32_e64 v0, v0, 0, s[18:19]
	v_or_b32_e32 v0, v0, v18
.LBB2_1670:                             ;   in Loop: Header=BB2_1484 Depth=2
	s_or_b64 exec, exec, s[90:91]
                                        ; implicit-def: $vgpr18
.LBB2_1671:                             ;   in Loop: Header=BB2_1484 Depth=2
	s_andn2_saveexec_b64 s[18:19], s[88:89]
; %bb.1672:                             ;   in Loop: Header=BB2_1484 Depth=2
	v_or_b32_e32 v0, 0x7e, v18
; %bb.1673:                             ;   in Loop: Header=BB2_1484 Depth=2
	s_or_b64 exec, exec, s[18:19]
                                        ; implicit-def: $vgpr19
.LBB2_1674:                             ;   in Loop: Header=BB2_1484 Depth=2
	s_andn2_saveexec_b64 s[18:19], s[78:79]
; %bb.1675:                             ;   in Loop: Header=BB2_1484 Depth=2
	v_or_b32_sdwa v0, v19, s50 dst_sel:DWORD dst_unused:UNUSED_PAD src0_sel:BYTE_3 src1_sel:DWORD
; %bb.1676:                             ;   in Loop: Header=BB2_1484 Depth=2
	s_or_b64 exec, exec, s[18:19]
	v_cmp_lt_u64_e64 s[18:19], s[60:61], v[14:15]
	v_mov_b32_e32 v18, 0
	s_and_saveexec_b64 s[20:21], s[18:19]
	s_cbranch_execz .LBB2_1682
; %bb.1677:                             ;   in Loop: Header=BB2_1484 Depth=2
	v_lshrrev_b32_e32 v14, 24, v15
	v_cmp_ne_u32_e64 s[18:19], s49, v14
	v_bfrev_b32_e32 v18, 1
	s_and_saveexec_b64 s[78:79], s[18:19]
	s_cbranch_execz .LBB2_1681
; %bb.1678:                             ;   in Loop: Header=BB2_1484 Depth=2
	v_bfe_u32 v2, v15, 24, 7
	v_cmp_ne_u32_e64 s[18:19], s50, v2
	v_mov_b32_e32 v18, 0x7f800001
	s_and_saveexec_b64 s[88:89], s[18:19]
	s_cbranch_execz .LBB2_1680
; %bb.1679:                             ;   in Loop: Header=BB2_1484 Depth=2
	v_and_b32_e32 v15, 7, v14
	v_lshrrev_b32_e32 v24, 3, v2
	v_cmp_gt_u32_e64 s[18:19], 8, v2
	v_ffbh_u32_e32 v2, v15
	v_min_u32_e32 v2, 32, v2
	v_subrev_u32_e32 v18, 28, v2
	v_lshlrev_b64 v[18:19], v18, v[14:15]
	v_sub_u32_e32 v2, 29, v2
	v_and_b32_e32 v18, 7, v18
	v_cndmask_b32_e64 v2, v24, v2, s[18:19]
	v_cndmask_b32_e64 v15, v15, v18, s[18:19]
	v_lshlrev_b32_e32 v14, 24, v14
	v_lshlrev_b32_e32 v15, 20, v15
	v_and_b32_e32 v14, 0x80000000, v14
	v_lshl_add_u32 v2, v2, 23, v60
	v_or3_b32 v18, v14, v2, v15
.LBB2_1680:                             ;   in Loop: Header=BB2_1484 Depth=2
	s_or_b64 exec, exec, s[88:89]
.LBB2_1681:                             ;   in Loop: Header=BB2_1484 Depth=2
	s_or_b64 exec, exec, s[78:79]
.LBB2_1682:                             ;   in Loop: Header=BB2_1484 Depth=2
	s_or_b64 exec, exec, s[20:21]
	v_bfe_u32 v19, v11, 24, 3
	v_ffbh_u32_e32 v14, v19
	v_min_u32_e32 v30, 32, v14
	v_lshrrev_b32_e32 v2, 24, v11
	v_subrev_u32_e32 v14, 28, v30
	v_lshlrev_b64 v[14:15], v14, v[2:3]
	v_bfe_u32 v24, v11, 24, 7
	v_bfe_u32 v25, v2, 3, 4
	v_sub_u32_e32 v15, 29, v30
	v_and_b32_e32 v14, 7, v14
	v_cmp_gt_u32_e64 s[18:19], 8, v24
	v_cndmask_b32_e64 v15, v25, v15, s[18:19]
	v_cndmask_b32_e64 v14, v19, v14, s[18:19]
	v_lshlrev_b32_e32 v14, 20, v14
	v_and_b32_e32 v19, 0x80000000, v11
	v_lshl_add_u32 v15, v15, 23, v60
	v_or3_b32 v14, v19, v15, v14
	v_cmp_ne_u32_e64 s[18:19], s50, v24
	v_cndmask_b32_e64 v14, v61, v14, s[18:19]
	v_cmp_ne_u32_e64 s[18:19], s49, v2
	v_cndmask_b32_e64 v2, v45, v14, s[18:19]
	v_cmp_lt_u64_e64 s[18:19], s[60:61], v[10:11]
                                        ; implicit-def: $vgpr30
	v_cndmask_b32_e64 v2, 0, v2, s[18:19]
	v_add_f32_e32 v10, v2, v18
	v_and_b32_e32 v34, 0x7f800000, v10
	v_cmp_ne_u64_e64 s[18:19], s[46:47], v[34:35]
	s_and_saveexec_b64 s[20:21], s[18:19]
	s_xor_b64 s[78:79], exec, s[20:21]
	s_cbranch_execz .LBB2_1696
; %bb.1683:                             ;   in Loop: Header=BB2_1484 Depth=2
	v_and_b32_e32 v34, 0x7fffffff, v10
	v_cmp_gt_u64_e64 s[18:19], s[56:57], v[34:35]
	v_and_b32_sdwa v18, v10, s49 dst_sel:DWORD dst_unused:UNUSED_PAD src0_sel:BYTE_3 src1_sel:DWORD
                                        ; implicit-def: $vgpr30
	s_and_saveexec_b64 s[20:21], s[18:19]
	s_xor_b64 s[88:89], exec, s[20:21]
	s_cbranch_execz .LBB2_1693
; %bb.1684:                             ;   in Loop: Header=BB2_1484 Depth=2
	v_mov_b32_e32 v30, 0
	v_cmp_ne_u32_e64 s[18:19], 0, v10
	s_and_saveexec_b64 s[90:91], s[18:19]
	s_cbranch_execz .LBB2_1692
; %bb.1685:                             ;   in Loop: Header=BB2_1484 Depth=2
	v_bfe_u32 v19, v10, 23, 8
	v_and_b32_e32 v2, 0x7fffff, v10
	v_cmp_gt_u32_e64 s[20:21], s51, v19
	v_sub_u32_e32 v10, 0x79, v19
	v_cmp_eq_u32_e64 s[18:19], 0, v19
	v_cndmask_b32_e64 v10, 0, v10, s[20:21]
	v_or_b32_e32 v11, 0x800000, v2
	v_cndmask_b32_e64 v30, v10, v62, s[18:19]
	v_cndmask_b32_e64 v34, v11, v2, s[18:19]
	v_add_u32_e32 v2, 20, v30
	v_lshlrev_b64 v[10:11], v2, -1
	v_add_u32_e32 v2, 19, v30
	v_lshlrev_b64 v[14:15], v2, 1
	v_bfi_b32 v11, v11, 0, 0
	v_bfi_b32 v10, v10, 0, v34
	v_cmp_eq_u64_e64 s[20:21], v[10:11], v[14:15]
	v_lshrrev_b64 v[10:11], v30, v[34:35]
	v_mov_b32_e32 v15, v11
	v_mov_b32_e32 v14, v10
	s_and_saveexec_b64 s[92:93], s[20:21]
; %bb.1686:                             ;   in Loop: Header=BB2_1484 Depth=2
	v_bfe_u32 v2, v10, 20, 1
	v_add_co_u32_e64 v2, s[20:21], v10, v2
	v_add_co_u32_e64 v14, s[20:21], -1, v2
; %bb.1687:                             ;   in Loop: Header=BB2_1484 Depth=2
	s_or_b64 exec, exec, s[92:93]
	v_add_u32_e32 v2, 0xffffff81, v19
	v_cndmask_b32_e64 v2, v2, v59, s[18:19]
	v_lshrrev_b32_e32 v11, 23, v10
	v_add3_u32 v15, v30, v2, v11
	v_add_u32_e32 v2, 6, v15
	v_and_b32_e32 v11, 0xfffff, v14
	v_add_u32_e32 v34, v11, v10
	v_cmp_ne_u32_e64 s[18:19], 0, v2
                                        ; implicit-def: $vgpr10_vgpr11
                                        ; implicit-def: $vgpr14
	s_and_saveexec_b64 s[20:21], s[18:19]
	s_xor_b64 s[20:21], exec, s[20:21]
; %bb.1688:                             ;   in Loop: Header=BB2_1484 Depth=2
	v_cmp_lt_u64_e64 s[18:19], s[58:59], v[34:35]
	v_add_u32_e32 v10, 7, v15
	v_cndmask_b32_e64 v14, v2, v10, s[18:19]
	v_cndmask_b32_e64 v2, 0, 1, s[18:19]
	v_lshrrev_b64 v[10:11], v2, v[34:35]
; %bb.1689:                             ;   in Loop: Header=BB2_1484 Depth=2
	s_andn2_saveexec_b64 s[18:19], s[20:21]
; %bb.1690:                             ;   in Loop: Header=BB2_1484 Depth=2
	v_mov_b32_e32 v10, v34
	v_bfe_u32 v14, v34, 23, 1
	v_mov_b32_e32 v11, v35
; %bb.1691:                             ;   in Loop: Header=BB2_1484 Depth=2
	s_or_b64 exec, exec, s[18:19]
	v_lshrrev_b64 v[10:11], 20, v[10:11]
	v_cmp_gt_i32_e64 s[18:19], 16, v14
	v_cndmask_b32_e64 v11, 0, v11, s[18:19]
	v_cndmask_b32_e64 v10, 7, v10, s[18:19]
	v_min_i32_e32 v2, 15, v14
	v_cmp_eq_u64_e64 s[20:21], 0, v[10:11]
	v_lshlrev_b32_e32 v2, 3, v2
	v_cmp_eq_u32_e64 s[18:19], 0, v14
	v_and_b32_e32 v2, 0xf8, v2
	v_and_or_b32 v2, v10, 7, v2
	s_and_b64 s[18:19], s[18:19], s[20:21]
	v_cndmask_b32_e64 v2, v2, 0, s[18:19]
	v_or_b32_e32 v30, v2, v18
.LBB2_1692:                             ;   in Loop: Header=BB2_1484 Depth=2
	s_or_b64 exec, exec, s[90:91]
                                        ; implicit-def: $vgpr18
.LBB2_1693:                             ;   in Loop: Header=BB2_1484 Depth=2
	s_andn2_saveexec_b64 s[18:19], s[88:89]
; %bb.1694:                             ;   in Loop: Header=BB2_1484 Depth=2
	v_or_b32_e32 v30, 0x7e, v18
; %bb.1695:                             ;   in Loop: Header=BB2_1484 Depth=2
	s_or_b64 exec, exec, s[18:19]
                                        ; implicit-def: $vgpr10
.LBB2_1696:                             ;   in Loop: Header=BB2_1484 Depth=2
	s_andn2_saveexec_b64 s[18:19], s[78:79]
; %bb.1697:                             ;   in Loop: Header=BB2_1484 Depth=2
	v_or_b32_sdwa v30, v10, s50 dst_sel:DWORD dst_unused:UNUSED_PAD src0_sel:BYTE_3 src1_sel:DWORD
; %bb.1698:                             ;   in Loop: Header=BB2_1484 Depth=2
	s_or_b64 exec, exec, s[18:19]
	v_cmp_ne_u16_sdwa s[18:19], v16, v35 src0_sel:BYTE_0 src1_sel:DWORD
	v_mov_b32_e32 v10, 0
	s_and_saveexec_b64 s[20:21], s[18:19]
	s_cbranch_execz .LBB2_1704
; %bb.1699:                             ;   in Loop: Header=BB2_1484 Depth=2
	v_cmp_ne_u16_sdwa s[18:19], v16, s49 src0_sel:BYTE_0 src1_sel:DWORD
	v_bfrev_b32_e32 v10, 1
	s_and_saveexec_b64 s[78:79], s[18:19]
	s_cbranch_execz .LBB2_1703
; %bb.1700:                             ;   in Loop: Header=BB2_1484 Depth=2
	v_and_b32_e32 v2, 0x7f, v16
	v_cmp_ne_u32_e64 s[18:19], s50, v2
	v_mov_b32_e32 v10, 0x7f800001
	s_and_saveexec_b64 s[88:89], s[18:19]
	s_cbranch_execz .LBB2_1702
; %bb.1701:                             ;   in Loop: Header=BB2_1484 Depth=2
	v_and_b32_e32 v10, 7, v16
	v_lshrrev_b32_e32 v11, 3, v2
	v_cmp_gt_u32_e64 s[18:19], 8, v2
	v_ffbh_u32_e32 v2, v10
	v_min_u32_e32 v2, 32, v2
	v_subrev_u32_e32 v10, 28, v2
	v_sub_u32_e32 v2, 29, v2
	v_cndmask_b32_e64 v10, 0, v10, s[18:19]
	v_cndmask_b32_e64 v2, v11, v2, s[18:19]
	v_lshlrev_b64 v[10:11], v10, v[16:17]
	v_lshlrev_b32_e32 v11, 24, v16
	v_lshlrev_b32_e32 v10, 20, v10
	v_and_b32_e32 v10, 0x700000, v10
	v_and_b32_e32 v11, 0x80000000, v11
	v_lshl_add_u32 v2, v2, 23, v60
	v_or3_b32 v10, v11, v2, v10
.LBB2_1702:                             ;   in Loop: Header=BB2_1484 Depth=2
	s_or_b64 exec, exec, s[88:89]
.LBB2_1703:                             ;   in Loop: Header=BB2_1484 Depth=2
	s_or_b64 exec, exec, s[78:79]
.LBB2_1704:                             ;   in Loop: Header=BB2_1484 Depth=2
	s_or_b64 exec, exec, s[20:21]
	v_cmp_gt_i16_sdwa s[20:21], v12, s50 src0_sel:BYTE_0 src1_sel:DWORD
	s_mov_b64 s[18:19], 0
	s_and_saveexec_b64 s[78:79], s[20:21]
	s_xor_b64 s[20:21], exec, s[78:79]
	s_cbranch_execz .LBB2_1922
; %bb.1705:                             ;   in Loop: Header=BB2_1484 Depth=2
	v_cmp_eq_u16_sdwa s[88:89], v12, s49 src0_sel:BYTE_0 src1_sel:DWORD
	s_mov_b64 s[18:19], -1
	s_and_saveexec_b64 s[78:79], s[88:89]
; %bb.1706:                             ;   in Loop: Header=BB2_1484 Depth=2
	s_xor_b64 s[18:19], exec, -1
; %bb.1707:                             ;   in Loop: Header=BB2_1484 Depth=2
	s_or_b64 exec, exec, s[78:79]
	s_and_b64 s[18:19], s[18:19], exec
	s_or_saveexec_b64 s[20:21], s[20:21]
	v_bfrev_b32_e32 v2, 1
	s_xor_b64 exec, exec, s[20:21]
	s_cbranch_execnz .LBB2_1923
.LBB2_1708:                             ;   in Loop: Header=BB2_1484 Depth=2
	s_or_b64 exec, exec, s[20:21]
	s_and_saveexec_b64 s[20:21], s[18:19]
	s_cbranch_execz .LBB2_1710
.LBB2_1709:                             ;   in Loop: Header=BB2_1484 Depth=2
	v_and_b32_e32 v2, 7, v12
	v_ffbh_u32_e32 v2, v2
	v_and_b32_e32 v11, 0x7f, v12
	v_min_u32_e32 v2, 32, v2
	v_bfe_u32 v14, v12, 3, 4
	v_subrev_u32_e32 v15, 28, v2
	v_sub_u32_e32 v2, 29, v2
	v_cmp_gt_u32_e64 s[18:19], 8, v11
	v_cndmask_b32_e64 v2, v14, v2, s[18:19]
	v_cndmask_b32_e64 v14, 0, v15, s[18:19]
	v_lshlrev_b64 v[14:15], v14, v[12:13]
	v_lshlrev_b32_e32 v15, 24, v12
	v_lshlrev_b32_e32 v14, 20, v14
	v_and_b32_e32 v14, 0x700000, v14
	v_and_b32_e32 v15, 0x80000000, v15
	v_lshl_add_u32 v2, v2, 23, v60
	v_or3_b32 v2, v15, v2, v14
	v_cmp_ne_u32_e64 s[18:19], s50, v11
	v_cndmask_b32_e64 v2, v61, v2, s[18:19]
.LBB2_1710:                             ;   in Loop: Header=BB2_1484 Depth=2
	s_or_b64 exec, exec, s[20:21]
	v_add_f32_e32 v10, v10, v2
	v_and_b32_e32 v34, 0x7f800000, v10
	v_cmp_ne_u64_e64 s[18:19], s[46:47], v[34:35]
                                        ; implicit-def: $vgpr43
	s_and_saveexec_b64 s[20:21], s[18:19]
	s_xor_b64 s[78:79], exec, s[20:21]
	s_cbranch_execz .LBB2_1724
; %bb.1711:                             ;   in Loop: Header=BB2_1484 Depth=2
	v_and_b32_e32 v34, 0x7fffffff, v10
	v_cmp_gt_u64_e64 s[18:19], s[56:57], v[34:35]
	v_and_b32_sdwa v18, v10, s49 dst_sel:DWORD dst_unused:UNUSED_PAD src0_sel:BYTE_3 src1_sel:DWORD
                                        ; implicit-def: $vgpr43
	s_and_saveexec_b64 s[20:21], s[18:19]
	s_xor_b64 s[88:89], exec, s[20:21]
	s_cbranch_execz .LBB2_1721
; %bb.1712:                             ;   in Loop: Header=BB2_1484 Depth=2
	v_mov_b32_e32 v43, 0
	v_cmp_ne_u32_e64 s[18:19], 0, v10
	s_and_saveexec_b64 s[90:91], s[18:19]
	s_cbranch_execz .LBB2_1720
; %bb.1713:                             ;   in Loop: Header=BB2_1484 Depth=2
	v_bfe_u32 v19, v10, 23, 8
	v_and_b32_e32 v2, 0x7fffff, v10
	v_cmp_gt_u32_e64 s[20:21], s51, v19
	v_sub_u32_e32 v10, 0x79, v19
	v_cmp_eq_u32_e64 s[18:19], 0, v19
	v_cndmask_b32_e64 v10, 0, v10, s[20:21]
	v_or_b32_e32 v11, 0x800000, v2
	v_cndmask_b32_e64 v50, v10, v62, s[18:19]
	v_cndmask_b32_e64 v34, v11, v2, s[18:19]
	v_add_u32_e32 v2, 20, v50
	v_lshlrev_b64 v[10:11], v2, -1
	v_add_u32_e32 v2, 19, v50
	v_lshlrev_b64 v[14:15], v2, 1
	v_bfi_b32 v11, v11, 0, 0
	v_bfi_b32 v10, v10, 0, v34
	v_cmp_eq_u64_e64 s[20:21], v[10:11], v[14:15]
	v_lshrrev_b64 v[10:11], v50, v[34:35]
	v_mov_b32_e32 v15, v11
	v_mov_b32_e32 v14, v10
	s_and_saveexec_b64 s[92:93], s[20:21]
; %bb.1714:                             ;   in Loop: Header=BB2_1484 Depth=2
	v_bfe_u32 v2, v10, 20, 1
	v_add_co_u32_e64 v2, s[20:21], v10, v2
	v_add_co_u32_e64 v14, s[20:21], -1, v2
; %bb.1715:                             ;   in Loop: Header=BB2_1484 Depth=2
	s_or_b64 exec, exec, s[92:93]
	v_add_u32_e32 v2, 0xffffff81, v19
	v_cndmask_b32_e64 v2, v2, v59, s[18:19]
	v_lshrrev_b32_e32 v11, 23, v10
	v_add3_u32 v15, v50, v2, v11
	v_add_u32_e32 v2, 6, v15
	v_and_b32_e32 v11, 0xfffff, v14
	v_add_u32_e32 v34, v11, v10
	v_cmp_ne_u32_e64 s[18:19], 0, v2
                                        ; implicit-def: $vgpr10_vgpr11
                                        ; implicit-def: $vgpr14
	s_and_saveexec_b64 s[20:21], s[18:19]
	s_xor_b64 s[20:21], exec, s[20:21]
; %bb.1716:                             ;   in Loop: Header=BB2_1484 Depth=2
	v_cmp_lt_u64_e64 s[18:19], s[58:59], v[34:35]
	v_add_u32_e32 v10, 7, v15
	v_cndmask_b32_e64 v14, v2, v10, s[18:19]
	v_cndmask_b32_e64 v2, 0, 1, s[18:19]
	v_lshrrev_b64 v[10:11], v2, v[34:35]
; %bb.1717:                             ;   in Loop: Header=BB2_1484 Depth=2
	s_andn2_saveexec_b64 s[18:19], s[20:21]
; %bb.1718:                             ;   in Loop: Header=BB2_1484 Depth=2
	v_mov_b32_e32 v10, v34
	v_bfe_u32 v14, v34, 23, 1
	v_mov_b32_e32 v11, v35
; %bb.1719:                             ;   in Loop: Header=BB2_1484 Depth=2
	s_or_b64 exec, exec, s[18:19]
	v_lshrrev_b64 v[10:11], 20, v[10:11]
	v_cmp_gt_i32_e64 s[18:19], 16, v14
	v_cndmask_b32_e64 v11, 0, v11, s[18:19]
	v_cndmask_b32_e64 v10, 7, v10, s[18:19]
	v_min_i32_e32 v2, 15, v14
	v_cmp_eq_u64_e64 s[20:21], 0, v[10:11]
	v_lshlrev_b32_e32 v2, 3, v2
	v_cmp_eq_u32_e64 s[18:19], 0, v14
	v_and_b32_e32 v2, 0xf8, v2
	v_and_or_b32 v2, v10, 7, v2
	s_and_b64 s[18:19], s[18:19], s[20:21]
	v_cndmask_b32_e64 v2, v2, 0, s[18:19]
	v_or_b32_e32 v43, v2, v18
.LBB2_1720:                             ;   in Loop: Header=BB2_1484 Depth=2
	s_or_b64 exec, exec, s[90:91]
                                        ; implicit-def: $vgpr18
.LBB2_1721:                             ;   in Loop: Header=BB2_1484 Depth=2
	s_andn2_saveexec_b64 s[18:19], s[88:89]
; %bb.1722:                             ;   in Loop: Header=BB2_1484 Depth=2
	v_or_b32_e32 v43, 0x7e, v18
; %bb.1723:                             ;   in Loop: Header=BB2_1484 Depth=2
	s_or_b64 exec, exec, s[18:19]
                                        ; implicit-def: $vgpr10
.LBB2_1724:                             ;   in Loop: Header=BB2_1484 Depth=2
	s_andn2_saveexec_b64 s[18:19], s[78:79]
; %bb.1725:                             ;   in Loop: Header=BB2_1484 Depth=2
	v_or_b32_sdwa v43, v10, s50 dst_sel:DWORD dst_unused:UNUSED_PAD src0_sel:BYTE_3 src1_sel:DWORD
; %bb.1726:                             ;   in Loop: Header=BB2_1484 Depth=2
	s_or_b64 exec, exec, s[18:19]
	v_lshrrev_b16_e32 v10, 8, v16
	v_cmp_ne_u16_e64 s[18:19], 0, v10
	v_mov_b32_e32 v11, 0
	s_and_saveexec_b64 s[20:21], s[18:19]
	s_cbranch_execz .LBB2_1732
; %bb.1727:                             ;   in Loop: Header=BB2_1484 Depth=2
	v_cmp_ne_u16_e64 s[18:19], s49, v10
	v_bfrev_b32_e32 v11, 1
	s_and_saveexec_b64 s[78:79], s[18:19]
	s_cbranch_execz .LBB2_1731
; %bb.1728:                             ;   in Loop: Header=BB2_1484 Depth=2
	v_and_b32_e32 v2, 0x7f, v10
	v_cmp_ne_u32_e64 s[18:19], s50, v2
	v_mov_b32_e32 v11, 0x7f800001
	s_and_saveexec_b64 s[88:89], s[18:19]
	s_cbranch_execz .LBB2_1730
; %bb.1729:                             ;   in Loop: Header=BB2_1484 Depth=2
	v_and_b32_e32 v14, 7, v10
	v_lshrrev_b32_e32 v15, 3, v2
	v_cmp_gt_u32_e64 s[18:19], 8, v2
	v_ffbh_u32_e32 v2, v14
	v_min_u32_e32 v2, 32, v2
	v_subrev_u32_e32 v11, 28, v2
	v_lshlrev_b64 v[10:11], v11, v[10:11]
	v_sub_u32_e32 v2, 29, v2
	v_and_b32_e32 v10, 7, v10
	v_cndmask_b32_e64 v2, v15, v2, s[18:19]
	v_cndmask_b32_e64 v10, v14, v10, s[18:19]
	v_lshlrev_b32_e32 v11, 16, v16
	v_lshlrev_b32_e32 v10, 20, v10
	v_and_b32_e32 v11, 0x80000000, v11
	v_lshl_add_u32 v2, v2, 23, v60
	v_or3_b32 v11, v11, v2, v10
.LBB2_1730:                             ;   in Loop: Header=BB2_1484 Depth=2
	s_or_b64 exec, exec, s[88:89]
.LBB2_1731:                             ;   in Loop: Header=BB2_1484 Depth=2
	s_or_b64 exec, exec, s[78:79]
.LBB2_1732:                             ;   in Loop: Header=BB2_1484 Depth=2
	s_or_b64 exec, exec, s[20:21]
	v_lshrrev_b16_e32 v34, 8, v12
	v_cmp_lt_i16_e64 s[18:19], s50, v34
	s_mov_b64 s[20:21], 0
	s_and_saveexec_b64 s[78:79], s[18:19]
	s_xor_b64 s[78:79], exec, s[78:79]
	s_cbranch_execz .LBB2_1924
; %bb.1733:                             ;   in Loop: Header=BB2_1484 Depth=2
	v_cmp_eq_u16_e64 s[18:19], s49, v34
	s_mov_b64 s[20:21], -1
	s_and_saveexec_b64 s[88:89], s[18:19]
; %bb.1734:                             ;   in Loop: Header=BB2_1484 Depth=2
	s_xor_b64 s[20:21], exec, -1
; %bb.1735:                             ;   in Loop: Header=BB2_1484 Depth=2
	s_or_b64 exec, exec, s[88:89]
	s_and_b64 s[20:21], s[20:21], exec
	s_or_saveexec_b64 s[78:79], s[78:79]
	v_bfrev_b32_e32 v2, 1
	s_xor_b64 exec, exec, s[78:79]
	s_cbranch_execnz .LBB2_1925
.LBB2_1736:                             ;   in Loop: Header=BB2_1484 Depth=2
	s_or_b64 exec, exec, s[78:79]
	s_and_saveexec_b64 s[78:79], s[20:21]
	s_cbranch_execz .LBB2_1738
.LBB2_1737:                             ;   in Loop: Header=BB2_1484 Depth=2
	v_and_b32_e32 v2, 7, v34
	v_ffbh_u32_e32 v14, v2
	v_min_u32_e32 v19, 32, v14
	v_subrev_u32_e32 v14, 28, v19
	v_lshlrev_b64 v[14:15], v14, v[34:35]
	v_and_b32_e32 v10, 0x7f, v34
	v_bfe_u32 v18, v34, 3, 4
	v_sub_u32_e32 v15, 29, v19
	v_and_b32_e32 v14, 7, v14
	v_cmp_gt_u32_e64 s[18:19], 8, v10
	v_cndmask_b32_e64 v15, v18, v15, s[18:19]
	v_cndmask_b32_e64 v2, v2, v14, s[18:19]
	v_lshlrev_b32_e32 v14, 24, v34
	v_lshlrev_b32_e32 v2, 20, v2
	v_and_b32_e32 v14, 0x80000000, v14
	v_lshl_add_u32 v15, v15, 23, v60
	v_or3_b32 v2, v14, v15, v2
	v_cmp_ne_u32_e64 s[18:19], s50, v10
	v_cndmask_b32_e64 v2, v61, v2, s[18:19]
.LBB2_1738:                             ;   in Loop: Header=BB2_1484 Depth=2
	s_or_b64 exec, exec, s[78:79]
	v_add_f32_e32 v10, v11, v2
	v_and_b32_e32 v34, 0x7f800000, v10
	v_cmp_ne_u64_e64 s[18:19], s[46:47], v[34:35]
                                        ; implicit-def: $vgpr18
	s_and_saveexec_b64 s[20:21], s[18:19]
	s_xor_b64 s[78:79], exec, s[20:21]
	s_cbranch_execz .LBB2_1752
; %bb.1739:                             ;   in Loop: Header=BB2_1484 Depth=2
	v_and_b32_e32 v34, 0x7fffffff, v10
	v_cmp_gt_u64_e64 s[18:19], s[56:57], v[34:35]
	v_and_b32_sdwa v19, v10, s49 dst_sel:DWORD dst_unused:UNUSED_PAD src0_sel:BYTE_3 src1_sel:DWORD
                                        ; implicit-def: $vgpr18
	s_and_saveexec_b64 s[20:21], s[18:19]
	s_xor_b64 s[88:89], exec, s[20:21]
	s_cbranch_execz .LBB2_1749
; %bb.1740:                             ;   in Loop: Header=BB2_1484 Depth=2
	v_mov_b32_e32 v18, 0
	v_cmp_ne_u32_e64 s[18:19], 0, v10
	s_and_saveexec_b64 s[90:91], s[18:19]
	s_cbranch_execz .LBB2_1748
; %bb.1741:                             ;   in Loop: Header=BB2_1484 Depth=2
	v_bfe_u32 v18, v10, 23, 8
	v_and_b32_e32 v2, 0x7fffff, v10
	v_cmp_gt_u32_e64 s[20:21], s51, v18
	v_sub_u32_e32 v10, 0x79, v18
	v_cmp_eq_u32_e64 s[18:19], 0, v18
	v_cndmask_b32_e64 v10, 0, v10, s[20:21]
	v_or_b32_e32 v11, 0x800000, v2
	v_cndmask_b32_e64 v50, v10, v62, s[18:19]
	v_cndmask_b32_e64 v34, v11, v2, s[18:19]
	v_add_u32_e32 v2, 20, v50
	v_lshlrev_b64 v[10:11], v2, -1
	v_add_u32_e32 v2, 19, v50
	v_lshlrev_b64 v[14:15], v2, 1
	v_bfi_b32 v11, v11, 0, 0
	v_bfi_b32 v10, v10, 0, v34
	v_cmp_eq_u64_e64 s[20:21], v[10:11], v[14:15]
	v_lshrrev_b64 v[10:11], v50, v[34:35]
	v_mov_b32_e32 v15, v11
	v_mov_b32_e32 v14, v10
	s_and_saveexec_b64 s[92:93], s[20:21]
; %bb.1742:                             ;   in Loop: Header=BB2_1484 Depth=2
	v_bfe_u32 v2, v10, 20, 1
	v_add_co_u32_e64 v2, s[20:21], v10, v2
	v_add_co_u32_e64 v14, s[20:21], -1, v2
; %bb.1743:                             ;   in Loop: Header=BB2_1484 Depth=2
	s_or_b64 exec, exec, s[92:93]
	v_add_u32_e32 v2, 0xffffff81, v18
	v_cndmask_b32_e64 v2, v2, v59, s[18:19]
	v_lshrrev_b32_e32 v11, 23, v10
	v_add3_u32 v15, v50, v2, v11
	v_add_u32_e32 v2, 6, v15
	v_and_b32_e32 v11, 0xfffff, v14
	v_add_u32_e32 v34, v11, v10
	v_cmp_ne_u32_e64 s[18:19], 0, v2
                                        ; implicit-def: $vgpr10_vgpr11
                                        ; implicit-def: $vgpr14
	s_and_saveexec_b64 s[20:21], s[18:19]
	s_xor_b64 s[20:21], exec, s[20:21]
; %bb.1744:                             ;   in Loop: Header=BB2_1484 Depth=2
	v_cmp_lt_u64_e64 s[18:19], s[58:59], v[34:35]
	v_add_u32_e32 v10, 7, v15
	v_cndmask_b32_e64 v14, v2, v10, s[18:19]
	v_cndmask_b32_e64 v2, 0, 1, s[18:19]
	v_lshrrev_b64 v[10:11], v2, v[34:35]
; %bb.1745:                             ;   in Loop: Header=BB2_1484 Depth=2
	s_andn2_saveexec_b64 s[18:19], s[20:21]
; %bb.1746:                             ;   in Loop: Header=BB2_1484 Depth=2
	v_mov_b32_e32 v10, v34
	v_bfe_u32 v14, v34, 23, 1
	v_mov_b32_e32 v11, v35
; %bb.1747:                             ;   in Loop: Header=BB2_1484 Depth=2
	s_or_b64 exec, exec, s[18:19]
	v_lshrrev_b64 v[10:11], 20, v[10:11]
	v_cmp_gt_i32_e64 s[18:19], 16, v14
	v_cndmask_b32_e64 v11, 0, v11, s[18:19]
	v_cndmask_b32_e64 v10, 7, v10, s[18:19]
	v_min_i32_e32 v2, 15, v14
	v_cmp_eq_u64_e64 s[20:21], 0, v[10:11]
	v_lshlrev_b32_e32 v2, 3, v2
	v_cmp_eq_u32_e64 s[18:19], 0, v14
	v_and_b32_e32 v2, 0xf8, v2
	v_and_or_b32 v2, v10, 7, v2
	s_and_b64 s[18:19], s[18:19], s[20:21]
	v_cndmask_b32_e64 v2, v2, 0, s[18:19]
	v_or_b32_e32 v18, v2, v19
.LBB2_1748:                             ;   in Loop: Header=BB2_1484 Depth=2
	s_or_b64 exec, exec, s[90:91]
                                        ; implicit-def: $vgpr19
.LBB2_1749:                             ;   in Loop: Header=BB2_1484 Depth=2
	s_andn2_saveexec_b64 s[18:19], s[88:89]
; %bb.1750:                             ;   in Loop: Header=BB2_1484 Depth=2
	v_or_b32_e32 v18, 0x7e, v19
; %bb.1751:                             ;   in Loop: Header=BB2_1484 Depth=2
	s_or_b64 exec, exec, s[18:19]
                                        ; implicit-def: $vgpr10
.LBB2_1752:                             ;   in Loop: Header=BB2_1484 Depth=2
	s_andn2_saveexec_b64 s[18:19], s[78:79]
; %bb.1753:                             ;   in Loop: Header=BB2_1484 Depth=2
	v_or_b32_sdwa v18, v10, s50 dst_sel:DWORD dst_unused:UNUSED_PAD src0_sel:BYTE_3 src1_sel:DWORD
; %bb.1754:                             ;   in Loop: Header=BB2_1484 Depth=2
	s_or_b64 exec, exec, s[18:19]
	v_lshrrev_b32_e32 v10, 16, v16
	v_cmp_ne_u16_sdwa s[18:19], v10, v35 src0_sel:BYTE_0 src1_sel:DWORD
	v_mov_b32_e32 v11, 0
	s_and_saveexec_b64 s[20:21], s[18:19]
	s_cbranch_execz .LBB2_1760
; %bb.1755:                             ;   in Loop: Header=BB2_1484 Depth=2
	v_cmp_ne_u16_sdwa s[18:19], v10, s49 src0_sel:BYTE_0 src1_sel:DWORD
	v_bfrev_b32_e32 v11, 1
	s_and_saveexec_b64 s[78:79], s[18:19]
	s_cbranch_execz .LBB2_1759
; %bb.1756:                             ;   in Loop: Header=BB2_1484 Depth=2
	v_bfe_u32 v2, v16, 16, 7
	v_cmp_ne_u32_e64 s[18:19], s50, v2
	v_mov_b32_e32 v11, 0x7f800001
	s_and_saveexec_b64 s[88:89], s[18:19]
	s_cbranch_execz .LBB2_1758
; %bb.1757:                             ;   in Loop: Header=BB2_1484 Depth=2
	v_and_b32_e32 v11, 7, v10
	v_lshrrev_b32_e32 v19, 3, v2
	v_cmp_gt_u32_e64 s[18:19], 8, v2
	v_ffbh_u32_e32 v2, v11
	v_min_u32_e32 v2, 32, v2
	v_subrev_u32_e32 v14, 28, v2
	v_lshlrev_b64 v[14:15], v14, v[10:11]
	v_sub_u32_e32 v2, 29, v2
	v_and_b32_e32 v14, 7, v14
	v_cndmask_b32_e64 v2, v19, v2, s[18:19]
	v_cndmask_b32_e64 v11, v11, v14, s[18:19]
	v_lshlrev_b32_e32 v10, 24, v10
	v_lshlrev_b32_e32 v11, 20, v11
	v_and_b32_e32 v10, 0x80000000, v10
	v_lshl_add_u32 v2, v2, 23, v60
	v_or3_b32 v11, v10, v2, v11
.LBB2_1758:                             ;   in Loop: Header=BB2_1484 Depth=2
	s_or_b64 exec, exec, s[88:89]
.LBB2_1759:                             ;   in Loop: Header=BB2_1484 Depth=2
	s_or_b64 exec, exec, s[78:79]
.LBB2_1760:                             ;   in Loop: Header=BB2_1484 Depth=2
	s_or_b64 exec, exec, s[20:21]
	v_lshrrev_b32_e32 v10, 16, v12
	v_cmp_gt_i16_sdwa s[20:21], v10, s50 src0_sel:BYTE_0 src1_sel:DWORD
	s_mov_b64 s[18:19], 0
	s_and_saveexec_b64 s[78:79], s[20:21]
	s_xor_b64 s[20:21], exec, s[78:79]
	s_cbranch_execz .LBB2_1926
; %bb.1761:                             ;   in Loop: Header=BB2_1484 Depth=2
	v_cmp_eq_u16_sdwa s[88:89], v10, s49 src0_sel:BYTE_0 src1_sel:DWORD
	s_mov_b64 s[18:19], -1
	s_and_saveexec_b64 s[78:79], s[88:89]
; %bb.1762:                             ;   in Loop: Header=BB2_1484 Depth=2
	s_xor_b64 s[18:19], exec, -1
; %bb.1763:                             ;   in Loop: Header=BB2_1484 Depth=2
	s_or_b64 exec, exec, s[78:79]
	s_and_b64 s[18:19], s[18:19], exec
	s_or_saveexec_b64 s[20:21], s[20:21]
	v_bfrev_b32_e32 v2, 1
	s_xor_b64 exec, exec, s[20:21]
	s_cbranch_execnz .LBB2_1927
.LBB2_1764:                             ;   in Loop: Header=BB2_1484 Depth=2
	s_or_b64 exec, exec, s[20:21]
	s_and_saveexec_b64 s[20:21], s[18:19]
	s_cbranch_execz .LBB2_1766
.LBB2_1765:                             ;   in Loop: Header=BB2_1484 Depth=2
	v_and_b32_e32 v2, 7, v10
	v_ffbh_u32_e32 v14, v2
	v_min_u32_e32 v25, 32, v14
	v_subrev_u32_e32 v14, 28, v25
	v_lshlrev_b64 v[14:15], v14, v[10:11]
	v_and_b32_e32 v19, 0x7f, v10
	v_bfe_u32 v24, v10, 3, 4
	v_sub_u32_e32 v15, 29, v25
	v_and_b32_e32 v14, 7, v14
	v_cmp_gt_u32_e64 s[18:19], 8, v19
	v_cndmask_b32_e64 v15, v24, v15, s[18:19]
	v_cndmask_b32_e64 v2, v2, v14, s[18:19]
	v_lshlrev_b32_e32 v10, 24, v10
	v_lshlrev_b32_e32 v2, 20, v2
	v_and_b32_e32 v10, 0x80000000, v10
	v_lshl_add_u32 v14, v15, 23, v60
	v_or3_b32 v2, v10, v14, v2
	v_cmp_ne_u32_e64 s[18:19], s50, v19
	v_cndmask_b32_e64 v2, v61, v2, s[18:19]
.LBB2_1766:                             ;   in Loop: Header=BB2_1484 Depth=2
	s_or_b64 exec, exec, s[20:21]
	v_add_f32_e32 v10, v11, v2
	v_and_b32_e32 v34, 0x7f800000, v10
	v_cmp_ne_u64_e64 s[18:19], s[46:47], v[34:35]
                                        ; implicit-def: $vgpr19
	s_and_saveexec_b64 s[20:21], s[18:19]
	s_xor_b64 s[78:79], exec, s[20:21]
	s_cbranch_execz .LBB2_1780
; %bb.1767:                             ;   in Loop: Header=BB2_1484 Depth=2
	v_and_b32_e32 v34, 0x7fffffff, v10
	v_cmp_gt_u64_e64 s[18:19], s[56:57], v[34:35]
	v_and_b32_sdwa v41, v10, s49 dst_sel:DWORD dst_unused:UNUSED_PAD src0_sel:BYTE_3 src1_sel:DWORD
                                        ; implicit-def: $vgpr19
	s_and_saveexec_b64 s[20:21], s[18:19]
	s_xor_b64 s[88:89], exec, s[20:21]
	s_cbranch_execz .LBB2_1777
; %bb.1768:                             ;   in Loop: Header=BB2_1484 Depth=2
	v_mov_b32_e32 v19, 0
	v_cmp_ne_u32_e64 s[18:19], 0, v10
	s_and_saveexec_b64 s[90:91], s[18:19]
	s_cbranch_execz .LBB2_1776
; %bb.1769:                             ;   in Loop: Header=BB2_1484 Depth=2
	v_bfe_u32 v19, v10, 23, 8
	v_and_b32_e32 v2, 0x7fffff, v10
	v_cmp_gt_u32_e64 s[20:21], s51, v19
	v_sub_u32_e32 v10, 0x79, v19
	v_cmp_eq_u32_e64 s[18:19], 0, v19
	v_cndmask_b32_e64 v10, 0, v10, s[20:21]
	v_or_b32_e32 v11, 0x800000, v2
	v_cndmask_b32_e64 v50, v10, v62, s[18:19]
	v_cndmask_b32_e64 v34, v11, v2, s[18:19]
	v_add_u32_e32 v2, 20, v50
	v_lshlrev_b64 v[10:11], v2, -1
	v_add_u32_e32 v2, 19, v50
	v_lshlrev_b64 v[14:15], v2, 1
	v_bfi_b32 v11, v11, 0, 0
	v_bfi_b32 v10, v10, 0, v34
	v_cmp_eq_u64_e64 s[20:21], v[10:11], v[14:15]
	v_lshrrev_b64 v[10:11], v50, v[34:35]
	v_mov_b32_e32 v15, v11
	v_mov_b32_e32 v14, v10
	s_and_saveexec_b64 s[92:93], s[20:21]
; %bb.1770:                             ;   in Loop: Header=BB2_1484 Depth=2
	v_bfe_u32 v2, v10, 20, 1
	v_add_co_u32_e64 v2, s[20:21], v10, v2
	v_add_co_u32_e64 v14, s[20:21], -1, v2
; %bb.1771:                             ;   in Loop: Header=BB2_1484 Depth=2
	s_or_b64 exec, exec, s[92:93]
	v_add_u32_e32 v2, 0xffffff81, v19
	v_cndmask_b32_e64 v2, v2, v59, s[18:19]
	v_lshrrev_b32_e32 v11, 23, v10
	v_add3_u32 v15, v50, v2, v11
	v_add_u32_e32 v2, 6, v15
	v_and_b32_e32 v11, 0xfffff, v14
	v_add_u32_e32 v34, v11, v10
	v_cmp_ne_u32_e64 s[18:19], 0, v2
                                        ; implicit-def: $vgpr10_vgpr11
                                        ; implicit-def: $vgpr14
	s_and_saveexec_b64 s[20:21], s[18:19]
	s_xor_b64 s[20:21], exec, s[20:21]
; %bb.1772:                             ;   in Loop: Header=BB2_1484 Depth=2
	v_cmp_lt_u64_e64 s[18:19], s[58:59], v[34:35]
	v_add_u32_e32 v10, 7, v15
	v_cndmask_b32_e64 v14, v2, v10, s[18:19]
	v_cndmask_b32_e64 v2, 0, 1, s[18:19]
	v_lshrrev_b64 v[10:11], v2, v[34:35]
; %bb.1773:                             ;   in Loop: Header=BB2_1484 Depth=2
	s_andn2_saveexec_b64 s[18:19], s[20:21]
; %bb.1774:                             ;   in Loop: Header=BB2_1484 Depth=2
	v_mov_b32_e32 v10, v34
	v_bfe_u32 v14, v34, 23, 1
	v_mov_b32_e32 v11, v35
; %bb.1775:                             ;   in Loop: Header=BB2_1484 Depth=2
	s_or_b64 exec, exec, s[18:19]
	v_lshrrev_b64 v[10:11], 20, v[10:11]
	v_cmp_gt_i32_e64 s[18:19], 16, v14
	v_cndmask_b32_e64 v11, 0, v11, s[18:19]
	v_cndmask_b32_e64 v10, 7, v10, s[18:19]
	v_min_i32_e32 v2, 15, v14
	v_cmp_eq_u64_e64 s[20:21], 0, v[10:11]
	v_lshlrev_b32_e32 v2, 3, v2
	v_cmp_eq_u32_e64 s[18:19], 0, v14
	v_and_b32_e32 v2, 0xf8, v2
	v_and_or_b32 v2, v10, 7, v2
	s_and_b64 s[18:19], s[18:19], s[20:21]
	v_cndmask_b32_e64 v2, v2, 0, s[18:19]
	v_or_b32_e32 v19, v2, v41
.LBB2_1776:                             ;   in Loop: Header=BB2_1484 Depth=2
	s_or_b64 exec, exec, s[90:91]
                                        ; implicit-def: $vgpr41
.LBB2_1777:                             ;   in Loop: Header=BB2_1484 Depth=2
	s_andn2_saveexec_b64 s[18:19], s[88:89]
; %bb.1778:                             ;   in Loop: Header=BB2_1484 Depth=2
	v_or_b32_e32 v19, 0x7e, v41
; %bb.1779:                             ;   in Loop: Header=BB2_1484 Depth=2
	s_or_b64 exec, exec, s[18:19]
                                        ; implicit-def: $vgpr10
.LBB2_1780:                             ;   in Loop: Header=BB2_1484 Depth=2
	s_andn2_saveexec_b64 s[18:19], s[78:79]
; %bb.1781:                             ;   in Loop: Header=BB2_1484 Depth=2
	v_or_b32_sdwa v19, v10, s50 dst_sel:DWORD dst_unused:UNUSED_PAD src0_sel:BYTE_3 src1_sel:DWORD
; %bb.1782:                             ;   in Loop: Header=BB2_1484 Depth=2
	s_or_b64 exec, exec, s[18:19]
	v_cmp_lt_u32_e64 s[18:19], s61, v16
	v_mov_b32_e32 v11, 0
	s_and_saveexec_b64 s[20:21], s[18:19]
	s_cbranch_execz .LBB2_1788
; %bb.1783:                             ;   in Loop: Header=BB2_1484 Depth=2
	v_lshrrev_b32_e32 v10, 24, v16
	v_cmp_ne_u32_e64 s[18:19], s49, v10
	v_bfrev_b32_e32 v11, 1
	s_and_saveexec_b64 s[78:79], s[18:19]
	s_cbranch_execz .LBB2_1787
; %bb.1784:                             ;   in Loop: Header=BB2_1484 Depth=2
	v_bfe_u32 v2, v16, 24, 7
	v_cmp_ne_u32_e64 s[18:19], s50, v2
	v_mov_b32_e32 v11, 0x7f800001
	s_and_saveexec_b64 s[88:89], s[18:19]
	s_cbranch_execz .LBB2_1786
; %bb.1785:                             ;   in Loop: Header=BB2_1484 Depth=2
	v_and_b32_e32 v11, 7, v10
	v_lshrrev_b32_e32 v24, 3, v2
	v_cmp_gt_u32_e64 s[18:19], 8, v2
	v_ffbh_u32_e32 v2, v11
	v_min_u32_e32 v2, 32, v2
	v_subrev_u32_e32 v14, 28, v2
	v_lshlrev_b64 v[14:15], v14, v[10:11]
	v_sub_u32_e32 v2, 29, v2
	v_and_b32_e32 v14, 7, v14
	v_cndmask_b32_e64 v2, v24, v2, s[18:19]
	v_cndmask_b32_e64 v11, v11, v14, s[18:19]
	v_lshlrev_b32_e32 v10, 24, v10
	v_lshlrev_b32_e32 v11, 20, v11
	v_and_b32_e32 v10, 0x80000000, v10
	v_lshl_add_u32 v2, v2, 23, v60
	v_or3_b32 v11, v10, v2, v11
.LBB2_1786:                             ;   in Loop: Header=BB2_1484 Depth=2
	s_or_b64 exec, exec, s[88:89]
.LBB2_1787:                             ;   in Loop: Header=BB2_1484 Depth=2
	s_or_b64 exec, exec, s[78:79]
.LBB2_1788:                             ;   in Loop: Header=BB2_1484 Depth=2
	s_or_b64 exec, exec, s[20:21]
	v_bfe_u32 v10, v12, 24, 3
	v_ffbh_u32_e32 v14, v10
	v_min_u32_e32 v34, 32, v14
	v_lshrrev_b32_e32 v2, 24, v12
	v_subrev_u32_e32 v14, 28, v34
	v_lshlrev_b64 v[14:15], v14, v[2:3]
	v_bfe_u32 v24, v12, 24, 7
	v_bfe_u32 v25, v2, 3, 4
	v_sub_u32_e32 v15, 29, v34
	v_and_b32_e32 v14, 7, v14
	v_cmp_gt_u32_e64 s[18:19], 8, v24
	v_cndmask_b32_e64 v15, v25, v15, s[18:19]
	v_cndmask_b32_e64 v10, v10, v14, s[18:19]
	v_lshlrev_b32_e32 v10, 20, v10
	v_and_b32_e32 v14, 0x80000000, v12
	v_lshl_add_u32 v15, v15, 23, v60
	v_or3_b32 v10, v14, v15, v10
	v_cmp_ne_u32_e64 s[18:19], s50, v24
	v_cndmask_b32_e64 v10, v61, v10, s[18:19]
	v_cmp_ne_u32_e64 s[18:19], s49, v2
	v_cndmask_b32_e64 v2, v45, v10, s[18:19]
	v_cmp_lt_u32_e64 s[18:19], s61, v12
	v_cndmask_b32_e64 v2, 0, v2, s[18:19]
	v_add_f32_e32 v10, v2, v11
	v_and_b32_e32 v34, 0x7f800000, v10
	v_cmp_ne_u64_e64 s[18:19], s[46:47], v[34:35]
                                        ; implicit-def: $vgpr56
	s_and_saveexec_b64 s[20:21], s[18:19]
	s_xor_b64 s[78:79], exec, s[20:21]
	s_cbranch_execz .LBB2_1802
; %bb.1789:                             ;   in Loop: Header=BB2_1484 Depth=2
	v_and_b32_e32 v34, 0x7fffffff, v10
	v_cmp_gt_u64_e64 s[18:19], s[56:57], v[34:35]
	v_and_b32_sdwa v41, v10, s49 dst_sel:DWORD dst_unused:UNUSED_PAD src0_sel:BYTE_3 src1_sel:DWORD
                                        ; implicit-def: $vgpr56
	s_and_saveexec_b64 s[20:21], s[18:19]
	s_xor_b64 s[88:89], exec, s[20:21]
	s_cbranch_execz .LBB2_1799
; %bb.1790:                             ;   in Loop: Header=BB2_1484 Depth=2
	v_mov_b32_e32 v56, 0
	v_cmp_ne_u32_e64 s[18:19], 0, v10
	s_and_saveexec_b64 s[90:91], s[18:19]
	s_cbranch_execz .LBB2_1798
; %bb.1791:                             ;   in Loop: Header=BB2_1484 Depth=2
	v_bfe_u32 v50, v10, 23, 8
	v_and_b32_e32 v2, 0x7fffff, v10
	v_cmp_gt_u32_e64 s[20:21], s51, v50
	v_sub_u32_e32 v10, 0x79, v50
	v_cmp_eq_u32_e64 s[18:19], 0, v50
	v_cndmask_b32_e64 v10, 0, v10, s[20:21]
	v_or_b32_e32 v11, 0x800000, v2
	v_cndmask_b32_e64 v51, v10, v62, s[18:19]
	v_cndmask_b32_e64 v34, v11, v2, s[18:19]
	v_add_u32_e32 v2, 20, v51
	v_lshlrev_b64 v[10:11], v2, -1
	v_add_u32_e32 v2, 19, v51
	v_lshlrev_b64 v[14:15], v2, 1
	v_bfi_b32 v11, v11, 0, 0
	v_bfi_b32 v10, v10, 0, v34
	v_cmp_eq_u64_e64 s[20:21], v[10:11], v[14:15]
	v_lshrrev_b64 v[10:11], v51, v[34:35]
	v_mov_b32_e32 v15, v11
	v_mov_b32_e32 v14, v10
	s_and_saveexec_b64 s[92:93], s[20:21]
; %bb.1792:                             ;   in Loop: Header=BB2_1484 Depth=2
	v_bfe_u32 v2, v10, 20, 1
	v_add_co_u32_e64 v2, s[20:21], v10, v2
	v_add_co_u32_e64 v14, s[20:21], -1, v2
; %bb.1793:                             ;   in Loop: Header=BB2_1484 Depth=2
	s_or_b64 exec, exec, s[92:93]
	v_add_u32_e32 v2, 0xffffff81, v50
	v_cndmask_b32_e64 v2, v2, v59, s[18:19]
	v_lshrrev_b32_e32 v11, 23, v10
	v_add3_u32 v15, v51, v2, v11
	v_add_u32_e32 v2, 6, v15
	v_and_b32_e32 v11, 0xfffff, v14
	v_add_u32_e32 v34, v11, v10
	v_cmp_ne_u32_e64 s[18:19], 0, v2
                                        ; implicit-def: $vgpr10_vgpr11
                                        ; implicit-def: $vgpr14
	s_and_saveexec_b64 s[20:21], s[18:19]
	s_xor_b64 s[20:21], exec, s[20:21]
; %bb.1794:                             ;   in Loop: Header=BB2_1484 Depth=2
	v_cmp_lt_u64_e64 s[18:19], s[58:59], v[34:35]
	v_add_u32_e32 v10, 7, v15
	v_cndmask_b32_e64 v14, v2, v10, s[18:19]
	v_cndmask_b32_e64 v2, 0, 1, s[18:19]
	v_lshrrev_b64 v[10:11], v2, v[34:35]
; %bb.1795:                             ;   in Loop: Header=BB2_1484 Depth=2
	s_andn2_saveexec_b64 s[18:19], s[20:21]
; %bb.1796:                             ;   in Loop: Header=BB2_1484 Depth=2
	v_mov_b32_e32 v10, v34
	v_bfe_u32 v14, v34, 23, 1
	v_mov_b32_e32 v11, v35
; %bb.1797:                             ;   in Loop: Header=BB2_1484 Depth=2
	s_or_b64 exec, exec, s[18:19]
	v_lshrrev_b64 v[10:11], 20, v[10:11]
	v_cmp_gt_i32_e64 s[18:19], 16, v14
	v_cndmask_b32_e64 v11, 0, v11, s[18:19]
	v_cndmask_b32_e64 v10, 7, v10, s[18:19]
	v_min_i32_e32 v2, 15, v14
	v_cmp_eq_u64_e64 s[20:21], 0, v[10:11]
	v_lshlrev_b32_e32 v2, 3, v2
	v_cmp_eq_u32_e64 s[18:19], 0, v14
	v_and_b32_e32 v2, 0xf8, v2
	v_and_or_b32 v2, v10, 7, v2
	s_and_b64 s[18:19], s[18:19], s[20:21]
	v_cndmask_b32_e64 v2, v2, 0, s[18:19]
	v_or_b32_e32 v56, v2, v41
.LBB2_1798:                             ;   in Loop: Header=BB2_1484 Depth=2
	s_or_b64 exec, exec, s[90:91]
                                        ; implicit-def: $vgpr41
.LBB2_1799:                             ;   in Loop: Header=BB2_1484 Depth=2
	s_andn2_saveexec_b64 s[18:19], s[88:89]
; %bb.1800:                             ;   in Loop: Header=BB2_1484 Depth=2
	v_or_b32_e32 v56, 0x7e, v41
; %bb.1801:                             ;   in Loop: Header=BB2_1484 Depth=2
	s_or_b64 exec, exec, s[18:19]
                                        ; implicit-def: $vgpr10
.LBB2_1802:                             ;   in Loop: Header=BB2_1484 Depth=2
	s_andn2_saveexec_b64 s[18:19], s[78:79]
; %bb.1803:                             ;   in Loop: Header=BB2_1484 Depth=2
	v_or_b32_sdwa v56, v10, s50 dst_sel:DWORD dst_unused:UNUSED_PAD src0_sel:BYTE_3 src1_sel:DWORD
; %bb.1804:                             ;   in Loop: Header=BB2_1484 Depth=2
	s_or_b64 exec, exec, s[18:19]
	v_mov_b32_e32 v34, v17
	v_cmp_ne_u16_sdwa s[18:19], v17, v35 src0_sel:BYTE_0 src1_sel:DWORD
	v_mov_b32_e32 v14, 0
	s_and_saveexec_b64 s[20:21], s[18:19]
	s_cbranch_execz .LBB2_1810
; %bb.1805:                             ;   in Loop: Header=BB2_1484 Depth=2
	v_cmp_ne_u16_sdwa s[18:19], v17, s49 src0_sel:BYTE_0 src1_sel:DWORD
	v_bfrev_b32_e32 v14, 1
	s_and_saveexec_b64 s[78:79], s[18:19]
	s_cbranch_execz .LBB2_1809
; %bb.1806:                             ;   in Loop: Header=BB2_1484 Depth=2
	v_and_b32_e32 v2, 0x7f, v17
	v_cmp_ne_u32_e64 s[18:19], s50, v2
	v_mov_b32_e32 v14, 0x7f800001
	s_and_saveexec_b64 s[88:89], s[18:19]
	s_cbranch_execz .LBB2_1808
; %bb.1807:                             ;   in Loop: Header=BB2_1484 Depth=2
	v_and_b32_e32 v10, 7, v17
	v_lshrrev_b32_e32 v11, 3, v2
	v_cmp_gt_u32_e64 s[18:19], 8, v2
	v_ffbh_u32_e32 v2, v10
	v_min_u32_e32 v2, 32, v2
	v_subrev_u32_e32 v10, 28, v2
	v_sub_u32_e32 v2, 29, v2
	v_cndmask_b32_e64 v10, 0, v10, s[18:19]
	v_cndmask_b32_e64 v2, v11, v2, s[18:19]
	v_lshlrev_b64 v[10:11], v10, v[34:35]
	v_lshlrev_b32_e32 v11, 24, v34
	v_lshlrev_b32_e32 v10, 20, v10
	v_and_b32_e32 v10, 0x700000, v10
	v_and_b32_e32 v11, 0x80000000, v11
	v_lshl_add_u32 v2, v2, 23, v60
	v_or3_b32 v14, v11, v2, v10
.LBB2_1808:                             ;   in Loop: Header=BB2_1484 Depth=2
	s_or_b64 exec, exec, s[88:89]
.LBB2_1809:                             ;   in Loop: Header=BB2_1484 Depth=2
	s_or_b64 exec, exec, s[78:79]
.LBB2_1810:                             ;   in Loop: Header=BB2_1484 Depth=2
	s_or_b64 exec, exec, s[20:21]
	v_cmp_gt_i16_sdwa s[20:21], v13, s50 src0_sel:BYTE_0 src1_sel:DWORD
	s_mov_b64 s[18:19], 0
	s_and_saveexec_b64 s[78:79], s[20:21]
	s_xor_b64 s[20:21], exec, s[78:79]
	s_cbranch_execz .LBB2_1814
; %bb.1811:                             ;   in Loop: Header=BB2_1484 Depth=2
	v_cmp_eq_u16_sdwa s[88:89], v13, s49 src0_sel:BYTE_0 src1_sel:DWORD
	s_mov_b64 s[18:19], -1
	s_and_saveexec_b64 s[78:79], s[88:89]
; %bb.1812:                             ;   in Loop: Header=BB2_1484 Depth=2
	s_xor_b64 s[18:19], exec, -1
; %bb.1813:                             ;   in Loop: Header=BB2_1484 Depth=2
	s_or_b64 exec, exec, s[78:79]
	s_and_b64 s[18:19], s[18:19], exec
.LBB2_1814:                             ;   in Loop: Header=BB2_1484 Depth=2
	s_or_saveexec_b64 s[20:21], s[20:21]
	v_bfrev_b32_e32 v2, 1
	s_xor_b64 exec, exec, s[20:21]
; %bb.1815:                             ;   in Loop: Header=BB2_1484 Depth=2
	v_cmp_ne_u16_sdwa s[78:79], v13, v35 src0_sel:BYTE_0 src1_sel:DWORD
	s_andn2_b64 s[18:19], s[18:19], exec
	s_and_b64 s[78:79], s[78:79], exec
	v_mov_b32_e32 v2, 0
	s_or_b64 s[18:19], s[18:19], s[78:79]
; %bb.1816:                             ;   in Loop: Header=BB2_1484 Depth=2
	s_or_b64 exec, exec, s[20:21]
	v_mov_b32_e32 v10, v13
	v_mov_b32_e32 v11, v35
	s_and_saveexec_b64 s[20:21], s[18:19]
	s_cbranch_execz .LBB2_1818
; %bb.1817:                             ;   in Loop: Header=BB2_1484 Depth=2
	v_and_b32_e32 v2, 7, v13
	v_ffbh_u32_e32 v2, v2
	v_and_b32_e32 v15, 0x7f, v13
	v_min_u32_e32 v2, 32, v2
	v_bfe_u32 v24, v13, 3, 4
	v_subrev_u32_e32 v25, 28, v2
	v_sub_u32_e32 v2, 29, v2
	v_cmp_gt_u32_e64 s[18:19], 8, v15
	v_cndmask_b32_e64 v2, v24, v2, s[18:19]
	v_cndmask_b32_e64 v24, 0, v25, s[18:19]
	v_lshlrev_b64 v[24:25], v24, v[10:11]
	v_lshl_add_u32 v2, v2, 23, v60
	v_lshlrev_b32_e32 v11, 20, v24
	v_lshlrev_b32_e32 v24, 24, v10
	v_and_b32_e32 v11, 0x700000, v11
	v_and_b32_e32 v24, 0x80000000, v24
	v_or3_b32 v2, v24, v2, v11
	v_cmp_ne_u32_e64 s[18:19], s50, v15
	v_cndmask_b32_e64 v2, v61, v2, s[18:19]
.LBB2_1818:                             ;   in Loop: Header=BB2_1484 Depth=2
	s_or_b64 exec, exec, s[20:21]
	v_add_f32_e32 v14, v14, v2
	v_and_b32_e32 v24, 0x7f800000, v14
	v_mov_b32_e32 v25, v35
	v_cmp_ne_u64_e64 s[18:19], s[46:47], v[24:25]
                                        ; implicit-def: $vgpr41
	s_and_saveexec_b64 s[20:21], s[18:19]
	s_xor_b64 s[78:79], exec, s[20:21]
	s_cbranch_execz .LBB2_1832
; %bb.1819:                             ;   in Loop: Header=BB2_1484 Depth=2
	v_and_b32_e32 v24, 0x7fffffff, v14
	v_mov_b32_e32 v25, v35
	v_cmp_gt_u64_e64 s[18:19], s[56:57], v[24:25]
	v_and_b32_sdwa v11, v14, s49 dst_sel:DWORD dst_unused:UNUSED_PAD src0_sel:BYTE_3 src1_sel:DWORD
                                        ; implicit-def: $vgpr41
	s_and_saveexec_b64 s[20:21], s[18:19]
	s_xor_b64 s[88:89], exec, s[20:21]
	s_cbranch_execz .LBB2_1829
; %bb.1820:                             ;   in Loop: Header=BB2_1484 Depth=2
	v_mov_b32_e32 v41, 0
	v_cmp_ne_u32_e64 s[18:19], 0, v14
	s_and_saveexec_b64 s[90:91], s[18:19]
	s_cbranch_execz .LBB2_1828
; %bb.1821:                             ;   in Loop: Header=BB2_1484 Depth=2
	v_bfe_u32 v50, v14, 23, 8
	v_and_b32_e32 v2, 0x7fffff, v14
	v_cmp_gt_u32_e64 s[20:21], s51, v50
	v_sub_u32_e32 v14, 0x79, v50
	v_cmp_eq_u32_e64 s[18:19], 0, v50
	v_cndmask_b32_e64 v14, 0, v14, s[20:21]
	v_or_b32_e32 v15, 0x800000, v2
	v_cndmask_b32_e64 v51, v14, v62, s[18:19]
	v_cndmask_b32_e64 v14, v15, v2, s[18:19]
	v_add_u32_e32 v2, 20, v51
	v_lshlrev_b64 v[24:25], v2, -1
	v_mov_b32_e32 v15, v35
	v_add_u32_e32 v2, 19, v51
	v_bfi_b32 v24, v24, 0, v14
	v_lshlrev_b64 v[41:42], v2, 1
	v_lshrrev_b64 v[14:15], v51, v[14:15]
	v_bfi_b32 v25, v25, 0, 0
	v_cmp_eq_u64_e64 s[20:21], v[24:25], v[41:42]
	v_mov_b32_e32 v42, v15
	v_mov_b32_e32 v41, v14
	s_and_saveexec_b64 s[92:93], s[20:21]
; %bb.1822:                             ;   in Loop: Header=BB2_1484 Depth=2
	v_bfe_u32 v2, v14, 20, 1
	v_add_co_u32_e64 v2, s[20:21], v14, v2
	v_add_co_u32_e64 v41, s[20:21], -1, v2
; %bb.1823:                             ;   in Loop: Header=BB2_1484 Depth=2
	s_or_b64 exec, exec, s[92:93]
	v_add_u32_e32 v2, 0xffffff81, v50
	v_cndmask_b32_e64 v2, v2, v59, s[18:19]
	v_lshrrev_b32_e32 v15, 23, v14
	v_add3_u32 v51, v51, v2, v15
	v_add_u32_e32 v2, 6, v51
	v_and_b32_e32 v15, 0xfffff, v41
	v_add_u32_e32 v14, v15, v14
	v_mov_b32_e32 v15, v35
	v_cmp_ne_u32_e64 s[18:19], 0, v2
                                        ; implicit-def: $vgpr50
	s_and_saveexec_b64 s[20:21], s[18:19]
	s_xor_b64 s[20:21], exec, s[20:21]
; %bb.1824:                             ;   in Loop: Header=BB2_1484 Depth=2
	v_cmp_lt_u64_e64 s[18:19], s[58:59], v[14:15]
	v_add_u32_e32 v24, 7, v51
	v_cndmask_b32_e64 v50, v2, v24, s[18:19]
	v_cndmask_b32_e64 v2, 0, 1, s[18:19]
	v_lshrrev_b64 v[14:15], v2, v[14:15]
; %bb.1825:                             ;   in Loop: Header=BB2_1484 Depth=2
	s_andn2_saveexec_b64 s[18:19], s[20:21]
; %bb.1826:                             ;   in Loop: Header=BB2_1484 Depth=2
	v_bfe_u32 v50, v14, 23, 1
; %bb.1827:                             ;   in Loop: Header=BB2_1484 Depth=2
	s_or_b64 exec, exec, s[18:19]
	v_lshrrev_b64 v[14:15], 20, v[14:15]
	v_cmp_gt_i32_e64 s[18:19], 16, v50
	v_cndmask_b32_e64 v15, 0, v15, s[18:19]
	v_cndmask_b32_e64 v14, 7, v14, s[18:19]
	v_min_i32_e32 v2, 15, v50
	v_cmp_eq_u64_e64 s[20:21], 0, v[14:15]
	v_lshlrev_b32_e32 v2, 3, v2
	v_cmp_eq_u32_e64 s[18:19], 0, v50
	v_and_b32_e32 v2, 0xf8, v2
	v_and_or_b32 v2, v14, 7, v2
	s_and_b64 s[18:19], s[18:19], s[20:21]
	v_cndmask_b32_e64 v2, v2, 0, s[18:19]
	v_or_b32_e32 v41, v2, v11
.LBB2_1828:                             ;   in Loop: Header=BB2_1484 Depth=2
	s_or_b64 exec, exec, s[90:91]
                                        ; implicit-def: $vgpr11
.LBB2_1829:                             ;   in Loop: Header=BB2_1484 Depth=2
	s_andn2_saveexec_b64 s[18:19], s[88:89]
; %bb.1830:                             ;   in Loop: Header=BB2_1484 Depth=2
	v_or_b32_e32 v41, 0x7e, v11
; %bb.1831:                             ;   in Loop: Header=BB2_1484 Depth=2
	s_or_b64 exec, exec, s[18:19]
                                        ; implicit-def: $vgpr14
.LBB2_1832:                             ;   in Loop: Header=BB2_1484 Depth=2
	s_andn2_saveexec_b64 s[18:19], s[78:79]
; %bb.1833:                             ;   in Loop: Header=BB2_1484 Depth=2
	v_or_b32_sdwa v41, v14, s50 dst_sel:DWORD dst_unused:UNUSED_PAD src0_sel:BYTE_3 src1_sel:DWORD
; %bb.1834:                             ;   in Loop: Header=BB2_1484 Depth=2
	s_or_b64 exec, exec, s[18:19]
	v_lshrrev_b16_e32 v11, 8, v34
	v_cmp_ne_u16_e64 s[18:19], 0, v11
	v_mov_b32_e32 v14, 0
	s_and_saveexec_b64 s[20:21], s[18:19]
	s_cbranch_execz .LBB2_1840
; %bb.1835:                             ;   in Loop: Header=BB2_1484 Depth=2
	v_cmp_ne_u16_e64 s[18:19], s49, v11
	v_bfrev_b32_e32 v14, 1
	s_and_saveexec_b64 s[78:79], s[18:19]
	s_cbranch_execz .LBB2_1839
; %bb.1836:                             ;   in Loop: Header=BB2_1484 Depth=2
	v_and_b32_e32 v2, 0x7f, v11
	v_cmp_ne_u32_e64 s[18:19], s50, v2
	v_mov_b32_e32 v14, 0x7f800001
	s_and_saveexec_b64 s[88:89], s[18:19]
	s_cbranch_execz .LBB2_1838
; %bb.1837:                             ;   in Loop: Header=BB2_1484 Depth=2
	v_and_b32_e32 v24, 7, v11
	v_lshrrev_b32_e32 v25, 3, v2
	v_cmp_gt_u32_e64 s[18:19], 8, v2
	v_ffbh_u32_e32 v2, v24
	v_min_u32_e32 v2, 32, v2
	v_subrev_u32_e32 v14, 28, v2
	v_lshlrev_b64 v[14:15], v14, v[11:12]
	v_sub_u32_e32 v2, 29, v2
	v_and_b32_e32 v11, 7, v14
	v_cndmask_b32_e64 v2, v25, v2, s[18:19]
	v_cndmask_b32_e64 v11, v24, v11, s[18:19]
	v_lshlrev_b32_e32 v14, 16, v34
	v_lshlrev_b32_e32 v11, 20, v11
	v_and_b32_e32 v14, 0x80000000, v14
	v_lshl_add_u32 v2, v2, 23, v60
	v_or3_b32 v14, v14, v2, v11
.LBB2_1838:                             ;   in Loop: Header=BB2_1484 Depth=2
	s_or_b64 exec, exec, s[88:89]
.LBB2_1839:                             ;   in Loop: Header=BB2_1484 Depth=2
	s_or_b64 exec, exec, s[78:79]
.LBB2_1840:                             ;   in Loop: Header=BB2_1484 Depth=2
	s_or_b64 exec, exec, s[20:21]
	v_lshrrev_b16_e32 v34, 8, v10
	v_cmp_lt_i16_e64 s[18:19], s50, v34
	s_mov_b64 s[20:21], 0
	s_and_saveexec_b64 s[78:79], s[18:19]
	s_xor_b64 s[78:79], exec, s[78:79]
	s_cbranch_execz .LBB2_1928
; %bb.1841:                             ;   in Loop: Header=BB2_1484 Depth=2
	v_cmp_eq_u16_e64 s[18:19], s49, v34
	s_mov_b64 s[20:21], -1
	s_and_saveexec_b64 s[88:89], s[18:19]
; %bb.1842:                             ;   in Loop: Header=BB2_1484 Depth=2
	s_xor_b64 s[20:21], exec, -1
; %bb.1843:                             ;   in Loop: Header=BB2_1484 Depth=2
	s_or_b64 exec, exec, s[88:89]
	s_and_b64 s[20:21], s[20:21], exec
	s_or_saveexec_b64 s[78:79], s[78:79]
	v_bfrev_b32_e32 v2, 1
	s_xor_b64 exec, exec, s[78:79]
	s_cbranch_execnz .LBB2_1929
.LBB2_1844:                             ;   in Loop: Header=BB2_1484 Depth=2
	s_or_b64 exec, exec, s[78:79]
	s_and_saveexec_b64 s[78:79], s[20:21]
	s_cbranch_execz .LBB2_1846
.LBB2_1845:                             ;   in Loop: Header=BB2_1484 Depth=2
	v_and_b32_e32 v2, 7, v34
	v_ffbh_u32_e32 v10, v2
	v_min_u32_e32 v25, 32, v10
	v_subrev_u32_e32 v10, 28, v25
	v_lshlrev_b64 v[10:11], v10, v[34:35]
	v_and_b32_e32 v15, 0x7f, v34
	v_bfe_u32 v24, v34, 3, 4
	v_sub_u32_e32 v11, 29, v25
	v_and_b32_e32 v10, 7, v10
	v_cmp_gt_u32_e64 s[18:19], 8, v15
	v_cndmask_b32_e64 v11, v24, v11, s[18:19]
	v_cndmask_b32_e64 v2, v2, v10, s[18:19]
	v_lshlrev_b32_e32 v10, 24, v34
	v_lshlrev_b32_e32 v2, 20, v2
	v_and_b32_e32 v10, 0x80000000, v10
	v_lshl_add_u32 v11, v11, 23, v60
	v_or3_b32 v2, v10, v11, v2
	v_cmp_ne_u32_e64 s[18:19], s50, v15
	v_cndmask_b32_e64 v2, v61, v2, s[18:19]
.LBB2_1846:                             ;   in Loop: Header=BB2_1484 Depth=2
	s_or_b64 exec, exec, s[78:79]
	v_add_f32_e32 v10, v14, v2
	v_and_b32_e32 v34, 0x7f800000, v10
	v_cmp_ne_u64_e64 s[18:19], s[46:47], v[34:35]
                                        ; implicit-def: $vgpr42
	s_and_saveexec_b64 s[20:21], s[18:19]
	s_xor_b64 s[78:79], exec, s[20:21]
	s_cbranch_execz .LBB2_1860
; %bb.1847:                             ;   in Loop: Header=BB2_1484 Depth=2
	v_and_b32_e32 v34, 0x7fffffff, v10
	v_cmp_gt_u64_e64 s[18:19], s[56:57], v[34:35]
	v_and_b32_sdwa v50, v10, s49 dst_sel:DWORD dst_unused:UNUSED_PAD src0_sel:BYTE_3 src1_sel:DWORD
                                        ; implicit-def: $vgpr42
	s_and_saveexec_b64 s[20:21], s[18:19]
	s_xor_b64 s[88:89], exec, s[20:21]
	s_cbranch_execz .LBB2_1857
; %bb.1848:                             ;   in Loop: Header=BB2_1484 Depth=2
	v_mov_b32_e32 v42, 0
	v_cmp_ne_u32_e64 s[18:19], 0, v10
	s_and_saveexec_b64 s[90:91], s[18:19]
	s_cbranch_execz .LBB2_1856
; %bb.1849:                             ;   in Loop: Header=BB2_1484 Depth=2
	v_bfe_u32 v51, v10, 23, 8
	v_and_b32_e32 v2, 0x7fffff, v10
	v_cmp_gt_u32_e64 s[20:21], s51, v51
	v_sub_u32_e32 v10, 0x79, v51
	v_cmp_eq_u32_e64 s[18:19], 0, v51
	v_cndmask_b32_e64 v10, 0, v10, s[20:21]
	v_or_b32_e32 v11, 0x800000, v2
	v_cndmask_b32_e64 v42, v10, v62, s[18:19]
	v_cndmask_b32_e64 v34, v11, v2, s[18:19]
	v_add_u32_e32 v2, 20, v42
	v_lshlrev_b64 v[10:11], v2, -1
	v_add_u32_e32 v2, 19, v42
	v_lshlrev_b64 v[14:15], v2, 1
	v_bfi_b32 v11, v11, 0, 0
	v_bfi_b32 v10, v10, 0, v34
	v_cmp_eq_u64_e64 s[20:21], v[10:11], v[14:15]
	v_lshrrev_b64 v[10:11], v42, v[34:35]
	v_mov_b32_e32 v15, v11
	v_mov_b32_e32 v14, v10
	s_and_saveexec_b64 s[92:93], s[20:21]
; %bb.1850:                             ;   in Loop: Header=BB2_1484 Depth=2
	v_bfe_u32 v2, v10, 20, 1
	v_add_co_u32_e64 v2, s[20:21], v10, v2
	v_add_co_u32_e64 v14, s[20:21], -1, v2
; %bb.1851:                             ;   in Loop: Header=BB2_1484 Depth=2
	s_or_b64 exec, exec, s[92:93]
	v_add_u32_e32 v2, 0xffffff81, v51
	v_cndmask_b32_e64 v2, v2, v59, s[18:19]
	v_lshrrev_b32_e32 v11, 23, v10
	v_add3_u32 v15, v42, v2, v11
	v_add_u32_e32 v2, 6, v15
	v_and_b32_e32 v11, 0xfffff, v14
	v_add_u32_e32 v34, v11, v10
	v_cmp_ne_u32_e64 s[18:19], 0, v2
                                        ; implicit-def: $vgpr10_vgpr11
                                        ; implicit-def: $vgpr14
	s_and_saveexec_b64 s[20:21], s[18:19]
	s_xor_b64 s[20:21], exec, s[20:21]
; %bb.1852:                             ;   in Loop: Header=BB2_1484 Depth=2
	v_cmp_lt_u64_e64 s[18:19], s[58:59], v[34:35]
	v_add_u32_e32 v10, 7, v15
	v_cndmask_b32_e64 v14, v2, v10, s[18:19]
	v_cndmask_b32_e64 v2, 0, 1, s[18:19]
	v_lshrrev_b64 v[10:11], v2, v[34:35]
; %bb.1853:                             ;   in Loop: Header=BB2_1484 Depth=2
	s_andn2_saveexec_b64 s[18:19], s[20:21]
; %bb.1854:                             ;   in Loop: Header=BB2_1484 Depth=2
	v_mov_b32_e32 v10, v34
	v_bfe_u32 v14, v34, 23, 1
	v_mov_b32_e32 v11, v35
; %bb.1855:                             ;   in Loop: Header=BB2_1484 Depth=2
	s_or_b64 exec, exec, s[18:19]
	v_lshrrev_b64 v[10:11], 20, v[10:11]
	v_cmp_gt_i32_e64 s[18:19], 16, v14
	v_cndmask_b32_e64 v11, 0, v11, s[18:19]
	v_cndmask_b32_e64 v10, 7, v10, s[18:19]
	v_min_i32_e32 v2, 15, v14
	v_cmp_eq_u64_e64 s[20:21], 0, v[10:11]
	v_lshlrev_b32_e32 v2, 3, v2
	v_cmp_eq_u32_e64 s[18:19], 0, v14
	v_and_b32_e32 v2, 0xf8, v2
	v_and_or_b32 v2, v10, 7, v2
	s_and_b64 s[18:19], s[18:19], s[20:21]
	v_cndmask_b32_e64 v2, v2, 0, s[18:19]
	v_or_b32_e32 v42, v2, v50
.LBB2_1856:                             ;   in Loop: Header=BB2_1484 Depth=2
	s_or_b64 exec, exec, s[90:91]
                                        ; implicit-def: $vgpr50
.LBB2_1857:                             ;   in Loop: Header=BB2_1484 Depth=2
	s_andn2_saveexec_b64 s[18:19], s[88:89]
; %bb.1858:                             ;   in Loop: Header=BB2_1484 Depth=2
	v_or_b32_e32 v42, 0x7e, v50
; %bb.1859:                             ;   in Loop: Header=BB2_1484 Depth=2
	s_or_b64 exec, exec, s[18:19]
                                        ; implicit-def: $vgpr10
.LBB2_1860:                             ;   in Loop: Header=BB2_1484 Depth=2
	s_andn2_saveexec_b64 s[18:19], s[78:79]
; %bb.1861:                             ;   in Loop: Header=BB2_1484 Depth=2
	v_or_b32_sdwa v42, v10, s50 dst_sel:DWORD dst_unused:UNUSED_PAD src0_sel:BYTE_3 src1_sel:DWORD
; %bb.1862:                             ;   in Loop: Header=BB2_1484 Depth=2
	s_or_b64 exec, exec, s[18:19]
	v_lshrrev_b32_e32 v10, 16, v17
	v_cmp_ne_u16_sdwa s[18:19], v10, v35 src0_sel:BYTE_0 src1_sel:DWORD
	v_mov_b32_e32 v11, 0
	s_and_saveexec_b64 s[20:21], s[18:19]
	s_cbranch_execz .LBB2_1868
; %bb.1863:                             ;   in Loop: Header=BB2_1484 Depth=2
	v_cmp_ne_u16_sdwa s[18:19], v10, s49 src0_sel:BYTE_0 src1_sel:DWORD
	v_bfrev_b32_e32 v11, 1
	s_and_saveexec_b64 s[78:79], s[18:19]
	s_cbranch_execz .LBB2_1867
; %bb.1864:                             ;   in Loop: Header=BB2_1484 Depth=2
	v_bfe_u32 v2, v17, 16, 7
	v_cmp_ne_u32_e64 s[18:19], s50, v2
	v_mov_b32_e32 v11, 0x7f800001
	s_and_saveexec_b64 s[88:89], s[18:19]
	s_cbranch_execz .LBB2_1866
; %bb.1865:                             ;   in Loop: Header=BB2_1484 Depth=2
	v_and_b32_e32 v11, 7, v10
	v_lshrrev_b32_e32 v24, 3, v2
	v_cmp_gt_u32_e64 s[18:19], 8, v2
	v_ffbh_u32_e32 v2, v11
	v_min_u32_e32 v2, 32, v2
	v_subrev_u32_e32 v14, 28, v2
	v_lshlrev_b64 v[14:15], v14, v[10:11]
	v_sub_u32_e32 v2, 29, v2
	v_and_b32_e32 v14, 7, v14
	v_cndmask_b32_e64 v2, v24, v2, s[18:19]
	v_cndmask_b32_e64 v11, v11, v14, s[18:19]
	v_lshlrev_b32_e32 v10, 24, v10
	v_lshlrev_b32_e32 v11, 20, v11
	v_and_b32_e32 v10, 0x80000000, v10
	v_lshl_add_u32 v2, v2, 23, v60
	v_or3_b32 v11, v10, v2, v11
.LBB2_1866:                             ;   in Loop: Header=BB2_1484 Depth=2
	s_or_b64 exec, exec, s[88:89]
.LBB2_1867:                             ;   in Loop: Header=BB2_1484 Depth=2
	s_or_b64 exec, exec, s[78:79]
.LBB2_1868:                             ;   in Loop: Header=BB2_1484 Depth=2
	s_or_b64 exec, exec, s[20:21]
	v_lshrrev_b32_e32 v10, 16, v13
	v_cmp_gt_i16_sdwa s[20:21], v10, s50 src0_sel:BYTE_0 src1_sel:DWORD
	s_mov_b64 s[18:19], 0
	s_and_saveexec_b64 s[78:79], s[20:21]
	s_xor_b64 s[20:21], exec, s[78:79]
	s_cbranch_execz .LBB2_1930
; %bb.1869:                             ;   in Loop: Header=BB2_1484 Depth=2
	v_cmp_eq_u16_sdwa s[88:89], v10, s49 src0_sel:BYTE_0 src1_sel:DWORD
	s_mov_b64 s[18:19], -1
	s_and_saveexec_b64 s[78:79], s[88:89]
; %bb.1870:                             ;   in Loop: Header=BB2_1484 Depth=2
	s_xor_b64 s[18:19], exec, -1
; %bb.1871:                             ;   in Loop: Header=BB2_1484 Depth=2
	s_or_b64 exec, exec, s[78:79]
	s_and_b64 s[18:19], s[18:19], exec
	s_or_saveexec_b64 s[20:21], s[20:21]
	v_bfrev_b32_e32 v2, 1
	s_xor_b64 exec, exec, s[20:21]
	s_cbranch_execnz .LBB2_1931
.LBB2_1872:                             ;   in Loop: Header=BB2_1484 Depth=2
	s_or_b64 exec, exec, s[20:21]
	s_and_saveexec_b64 s[20:21], s[18:19]
	s_cbranch_execz .LBB2_1874
.LBB2_1873:                             ;   in Loop: Header=BB2_1484 Depth=2
	v_and_b32_e32 v2, 7, v10
	v_ffbh_u32_e32 v14, v2
	v_min_u32_e32 v34, 32, v14
	v_subrev_u32_e32 v14, 28, v34
	v_lshlrev_b64 v[14:15], v14, v[10:11]
	v_and_b32_e32 v24, 0x7f, v10
	v_bfe_u32 v25, v10, 3, 4
	v_sub_u32_e32 v15, 29, v34
	v_and_b32_e32 v14, 7, v14
	v_cmp_gt_u32_e64 s[18:19], 8, v24
	v_cndmask_b32_e64 v15, v25, v15, s[18:19]
	v_cndmask_b32_e64 v2, v2, v14, s[18:19]
	v_lshlrev_b32_e32 v10, 24, v10
	v_lshlrev_b32_e32 v2, 20, v2
	v_and_b32_e32 v10, 0x80000000, v10
	v_lshl_add_u32 v14, v15, 23, v60
	v_or3_b32 v2, v10, v14, v2
	v_cmp_ne_u32_e64 s[18:19], s50, v24
	v_cndmask_b32_e64 v2, v61, v2, s[18:19]
.LBB2_1874:                             ;   in Loop: Header=BB2_1484 Depth=2
	s_or_b64 exec, exec, s[20:21]
	v_add_f32_e32 v10, v11, v2
	v_and_b32_e32 v34, 0x7f800000, v10
	v_cmp_ne_u64_e64 s[18:19], s[46:47], v[34:35]
                                        ; implicit-def: $vgpr14
	s_and_saveexec_b64 s[20:21], s[18:19]
	s_xor_b64 s[78:79], exec, s[20:21]
	s_cbranch_execz .LBB2_1888
; %bb.1875:                             ;   in Loop: Header=BB2_1484 Depth=2
	v_and_b32_e32 v34, 0x7fffffff, v10
	v_cmp_gt_u64_e64 s[18:19], s[56:57], v[34:35]
	v_and_b32_sdwa v50, v10, s49 dst_sel:DWORD dst_unused:UNUSED_PAD src0_sel:BYTE_3 src1_sel:DWORD
                                        ; implicit-def: $vgpr14
	s_and_saveexec_b64 s[20:21], s[18:19]
	s_xor_b64 s[88:89], exec, s[20:21]
	s_cbranch_execz .LBB2_1885
; %bb.1876:                             ;   in Loop: Header=BB2_1484 Depth=2
	v_mov_b32_e32 v14, 0
	v_cmp_ne_u32_e64 s[18:19], 0, v10
	s_and_saveexec_b64 s[90:91], s[18:19]
	s_cbranch_execz .LBB2_1884
; %bb.1877:                             ;   in Loop: Header=BB2_1484 Depth=2
	v_bfe_u32 v51, v10, 23, 8
	v_cmp_gt_u32_e64 s[20:21], s51, v51
	v_sub_u32_e32 v2, 0x79, v51
	v_and_b32_e32 v11, 0x7fffff, v10
	v_cmp_eq_u32_e64 s[18:19], 0, v51
	v_cndmask_b32_e64 v2, 0, v2, s[20:21]
	v_or_b32_e32 v10, 0x800000, v11
	v_cndmask_b32_e64 v2, v2, v62, s[18:19]
	v_cndmask_b32_e64 v34, v10, v11, s[18:19]
	v_add_u32_e32 v10, 20, v2
	v_lshlrev_b64 v[10:11], v10, -1
	v_add_u32_e32 v14, 19, v2
	v_lshlrev_b64 v[14:15], v14, 1
	v_bfi_b32 v11, v11, 0, 0
	v_bfi_b32 v10, v10, 0, v34
	v_cmp_eq_u64_e64 s[20:21], v[10:11], v[14:15]
	v_lshrrev_b64 v[10:11], v2, v[34:35]
	v_mov_b32_e32 v15, v11
	v_mov_b32_e32 v14, v10
	s_and_saveexec_b64 s[92:93], s[20:21]
; %bb.1878:                             ;   in Loop: Header=BB2_1484 Depth=2
	v_bfe_u32 v11, v10, 20, 1
	v_add_co_u32_e64 v11, s[20:21], v10, v11
	v_add_co_u32_e64 v14, s[20:21], -1, v11
; %bb.1879:                             ;   in Loop: Header=BB2_1484 Depth=2
	s_or_b64 exec, exec, s[92:93]
	v_add_u32_e32 v11, 0xffffff81, v51
	v_cndmask_b32_e64 v11, v11, v59, s[18:19]
	v_lshrrev_b32_e32 v15, 23, v10
	v_add3_u32 v15, v2, v11, v15
	v_add_u32_e32 v2, 6, v15
	v_and_b32_e32 v11, 0xfffff, v14
	v_add_u32_e32 v34, v11, v10
	v_cmp_ne_u32_e64 s[18:19], 0, v2
                                        ; implicit-def: $vgpr10_vgpr11
                                        ; implicit-def: $vgpr14
	s_and_saveexec_b64 s[20:21], s[18:19]
	s_xor_b64 s[20:21], exec, s[20:21]
; %bb.1880:                             ;   in Loop: Header=BB2_1484 Depth=2
	v_cmp_lt_u64_e64 s[18:19], s[58:59], v[34:35]
	v_add_u32_e32 v10, 7, v15
	v_cndmask_b32_e64 v14, v2, v10, s[18:19]
	v_cndmask_b32_e64 v2, 0, 1, s[18:19]
	v_lshrrev_b64 v[10:11], v2, v[34:35]
; %bb.1881:                             ;   in Loop: Header=BB2_1484 Depth=2
	s_andn2_saveexec_b64 s[18:19], s[20:21]
; %bb.1882:                             ;   in Loop: Header=BB2_1484 Depth=2
	v_mov_b32_e32 v10, v34
	v_bfe_u32 v14, v34, 23, 1
	v_mov_b32_e32 v11, v35
; %bb.1883:                             ;   in Loop: Header=BB2_1484 Depth=2
	s_or_b64 exec, exec, s[18:19]
	v_lshrrev_b64 v[10:11], 20, v[10:11]
	v_cmp_gt_i32_e64 s[18:19], 16, v14
	v_cndmask_b32_e64 v11, 0, v11, s[18:19]
	v_cndmask_b32_e64 v10, 7, v10, s[18:19]
	v_min_i32_e32 v2, 15, v14
	v_cmp_eq_u64_e64 s[20:21], 0, v[10:11]
	v_lshlrev_b32_e32 v2, 3, v2
	v_cmp_eq_u32_e64 s[18:19], 0, v14
	v_and_b32_e32 v2, 0xf8, v2
	v_and_or_b32 v2, v10, 7, v2
	s_and_b64 s[18:19], s[18:19], s[20:21]
	v_cndmask_b32_e64 v2, v2, 0, s[18:19]
	v_or_b32_e32 v14, v2, v50
.LBB2_1884:                             ;   in Loop: Header=BB2_1484 Depth=2
	s_or_b64 exec, exec, s[90:91]
                                        ; implicit-def: $vgpr50
.LBB2_1885:                             ;   in Loop: Header=BB2_1484 Depth=2
	s_andn2_saveexec_b64 s[18:19], s[88:89]
; %bb.1886:                             ;   in Loop: Header=BB2_1484 Depth=2
	v_or_b32_e32 v14, 0x7e, v50
; %bb.1887:                             ;   in Loop: Header=BB2_1484 Depth=2
	s_or_b64 exec, exec, s[18:19]
                                        ; implicit-def: $vgpr10
.LBB2_1888:                             ;   in Loop: Header=BB2_1484 Depth=2
	s_andn2_saveexec_b64 s[18:19], s[78:79]
; %bb.1889:                             ;   in Loop: Header=BB2_1484 Depth=2
	v_or_b32_sdwa v14, v10, s50 dst_sel:DWORD dst_unused:UNUSED_PAD src0_sel:BYTE_3 src1_sel:DWORD
; %bb.1890:                             ;   in Loop: Header=BB2_1484 Depth=2
	s_or_b64 exec, exec, s[18:19]
	v_cmp_lt_u64_e64 s[18:19], s[60:61], v[16:17]
	v_mov_b32_e32 v11, 0
	s_and_saveexec_b64 s[20:21], s[18:19]
	s_cbranch_execz .LBB2_1896
; %bb.1891:                             ;   in Loop: Header=BB2_1484 Depth=2
	v_lshrrev_b32_e32 v10, 24, v17
	v_cmp_ne_u32_e64 s[18:19], s49, v10
	v_bfrev_b32_e32 v11, 1
	s_and_saveexec_b64 s[78:79], s[18:19]
	s_cbranch_execz .LBB2_1895
; %bb.1892:                             ;   in Loop: Header=BB2_1484 Depth=2
	v_bfe_u32 v2, v17, 24, 7
	v_cmp_ne_u32_e64 s[18:19], s50, v2
	v_mov_b32_e32 v11, 0x7f800001
	s_and_saveexec_b64 s[88:89], s[18:19]
	s_cbranch_execz .LBB2_1894
; %bb.1893:                             ;   in Loop: Header=BB2_1484 Depth=2
	v_and_b32_e32 v11, 7, v10
	v_lshrrev_b32_e32 v17, 3, v2
	v_cmp_gt_u32_e64 s[18:19], 8, v2
	v_ffbh_u32_e32 v2, v11
	v_min_u32_e32 v2, 32, v2
	v_subrev_u32_e32 v15, 28, v2
	v_lshlrev_b64 v[15:16], v15, v[10:11]
	v_sub_u32_e32 v2, 29, v2
	v_and_b32_e32 v15, 7, v15
	v_cndmask_b32_e64 v2, v17, v2, s[18:19]
	v_cndmask_b32_e64 v11, v11, v15, s[18:19]
	v_lshlrev_b32_e32 v10, 24, v10
	v_lshlrev_b32_e32 v11, 20, v11
	v_and_b32_e32 v10, 0x80000000, v10
	v_lshl_add_u32 v2, v2, 23, v60
	v_or3_b32 v11, v10, v2, v11
.LBB2_1894:                             ;   in Loop: Header=BB2_1484 Depth=2
	s_or_b64 exec, exec, s[88:89]
.LBB2_1895:                             ;   in Loop: Header=BB2_1484 Depth=2
	s_or_b64 exec, exec, s[78:79]
.LBB2_1896:                             ;   in Loop: Header=BB2_1484 Depth=2
	s_or_b64 exec, exec, s[20:21]
	v_bfe_u32 v10, v13, 24, 3
	v_ffbh_u32_e32 v15, v10
	v_min_u32_e32 v25, 32, v15
	v_lshrrev_b32_e32 v2, 24, v13
	v_subrev_u32_e32 v15, 28, v25
	v_lshlrev_b64 v[15:16], v15, v[2:3]
	v_bfe_u32 v17, v13, 24, 7
	v_bfe_u32 v24, v2, 3, 4
	v_sub_u32_e32 v16, 29, v25
	v_and_b32_e32 v15, 7, v15
	v_cmp_gt_u32_e64 s[18:19], 8, v17
	v_cndmask_b32_e64 v16, v24, v16, s[18:19]
	v_cndmask_b32_e64 v10, v10, v15, s[18:19]
	v_lshlrev_b32_e32 v10, 20, v10
	v_and_b32_e32 v15, 0x80000000, v13
	v_lshl_add_u32 v16, v16, 23, v60
	v_or3_b32 v10, v15, v16, v10
	v_cmp_ne_u32_e64 s[18:19], s50, v17
	v_cndmask_b32_e64 v10, v61, v10, s[18:19]
	v_cmp_ne_u32_e64 s[18:19], s49, v2
	v_cndmask_b32_e64 v2, v45, v10, s[18:19]
	v_cmp_lt_u64_e64 s[18:19], s[60:61], v[12:13]
                                        ; implicit-def: $vgpr10
	v_cndmask_b32_e64 v2, 0, v2, s[18:19]
	v_add_f32_e32 v11, v2, v11
	v_and_b32_e32 v34, 0x7f800000, v11
	v_cmp_ne_u64_e64 s[18:19], s[46:47], v[34:35]
	s_and_saveexec_b64 s[20:21], s[18:19]
	s_xor_b64 s[78:79], exec, s[20:21]
	s_cbranch_execz .LBB2_1910
; %bb.1897:                             ;   in Loop: Header=BB2_1484 Depth=2
	v_and_b32_e32 v34, 0x7fffffff, v11
	v_cmp_gt_u64_e64 s[18:19], s[56:57], v[34:35]
	v_and_b32_sdwa v13, v11, s49 dst_sel:DWORD dst_unused:UNUSED_PAD src0_sel:BYTE_3 src1_sel:DWORD
                                        ; implicit-def: $vgpr10
	s_and_saveexec_b64 s[20:21], s[18:19]
	s_xor_b64 s[88:89], exec, s[20:21]
	s_cbranch_execz .LBB2_1907
; %bb.1898:                             ;   in Loop: Header=BB2_1484 Depth=2
	v_mov_b32_e32 v10, 0
	v_cmp_ne_u32_e64 s[18:19], 0, v11
	s_and_saveexec_b64 s[90:91], s[18:19]
	s_cbranch_execz .LBB2_1906
; %bb.1899:                             ;   in Loop: Header=BB2_1484 Depth=2
	v_bfe_u32 v15, v11, 23, 8
	v_cmp_gt_u32_e64 s[20:21], s51, v15
	v_sub_u32_e32 v2, 0x79, v15
	v_and_b32_e32 v10, 0x7fffff, v11
	v_cmp_eq_u32_e64 s[18:19], 0, v15
	v_cndmask_b32_e64 v2, 0, v2, s[20:21]
	v_or_b32_e32 v11, 0x800000, v10
	v_cndmask_b32_e64 v2, v2, v62, s[18:19]
	v_cndmask_b32_e64 v34, v11, v10, s[18:19]
	v_add_u32_e32 v10, 20, v2
	v_lshlrev_b64 v[10:11], v10, -1
	v_add_u32_e32 v12, 19, v2
	v_lshlrev_b64 v[16:17], v12, 1
	v_bfi_b32 v11, v11, 0, 0
	v_bfi_b32 v10, v10, 0, v34
	v_cmp_eq_u64_e64 s[20:21], v[10:11], v[16:17]
	v_lshrrev_b64 v[10:11], v2, v[34:35]
	v_mov_b32_e32 v12, v11
	v_mov_b32_e32 v11, v10
	s_and_saveexec_b64 s[92:93], s[20:21]
; %bb.1900:                             ;   in Loop: Header=BB2_1484 Depth=2
	v_bfe_u32 v11, v10, 20, 1
	v_add_co_u32_e64 v11, s[20:21], v10, v11
	v_add_co_u32_e64 v11, s[20:21], -1, v11
; %bb.1901:                             ;   in Loop: Header=BB2_1484 Depth=2
	s_or_b64 exec, exec, s[92:93]
	v_add_u32_e32 v12, 0xffffff81, v15
	v_cndmask_b32_e64 v12, v12, v59, s[18:19]
	v_lshrrev_b32_e32 v15, 23, v10
	v_add3_u32 v15, v2, v12, v15
	v_add_u32_e32 v2, 6, v15
	v_and_b32_e32 v11, 0xfffff, v11
	v_add_u32_e32 v34, v11, v10
	v_cmp_ne_u32_e64 s[18:19], 0, v2
                                        ; implicit-def: $vgpr10_vgpr11
                                        ; implicit-def: $vgpr12
	s_and_saveexec_b64 s[20:21], s[18:19]
	s_xor_b64 s[20:21], exec, s[20:21]
; %bb.1902:                             ;   in Loop: Header=BB2_1484 Depth=2
	v_cmp_lt_u64_e64 s[18:19], s[58:59], v[34:35]
	v_add_u32_e32 v10, 7, v15
	v_cndmask_b32_e64 v12, v2, v10, s[18:19]
	v_cndmask_b32_e64 v2, 0, 1, s[18:19]
	v_lshrrev_b64 v[10:11], v2, v[34:35]
; %bb.1903:                             ;   in Loop: Header=BB2_1484 Depth=2
	s_andn2_saveexec_b64 s[18:19], s[20:21]
; %bb.1904:                             ;   in Loop: Header=BB2_1484 Depth=2
	v_mov_b32_e32 v10, v34
	v_bfe_u32 v12, v34, 23, 1
	v_mov_b32_e32 v11, v35
; %bb.1905:                             ;   in Loop: Header=BB2_1484 Depth=2
	s_or_b64 exec, exec, s[18:19]
	v_lshrrev_b64 v[10:11], 20, v[10:11]
	v_cmp_gt_i32_e64 s[18:19], 16, v12
	v_cndmask_b32_e64 v11, 0, v11, s[18:19]
	v_cndmask_b32_e64 v10, 7, v10, s[18:19]
	v_min_i32_e32 v2, 15, v12
	v_cmp_eq_u64_e64 s[20:21], 0, v[10:11]
	v_lshlrev_b32_e32 v2, 3, v2
	v_cmp_eq_u32_e64 s[18:19], 0, v12
	v_and_b32_e32 v2, 0xf8, v2
	v_and_or_b32 v2, v10, 7, v2
	s_and_b64 s[18:19], s[18:19], s[20:21]
	v_cndmask_b32_e64 v2, v2, 0, s[18:19]
	v_or_b32_e32 v10, v2, v13
.LBB2_1906:                             ;   in Loop: Header=BB2_1484 Depth=2
	s_or_b64 exec, exec, s[90:91]
                                        ; implicit-def: $vgpr13
.LBB2_1907:                             ;   in Loop: Header=BB2_1484 Depth=2
	s_andn2_saveexec_b64 s[18:19], s[88:89]
; %bb.1908:                             ;   in Loop: Header=BB2_1484 Depth=2
	v_or_b32_e32 v10, 0x7e, v13
; %bb.1909:                             ;   in Loop: Header=BB2_1484 Depth=2
	s_or_b64 exec, exec, s[18:19]
                                        ; implicit-def: $vgpr11
.LBB2_1910:                             ;   in Loop: Header=BB2_1484 Depth=2
	s_andn2_saveexec_b64 s[18:19], s[78:79]
	s_cbranch_execz .LBB2_1483
; %bb.1911:                             ;   in Loop: Header=BB2_1484 Depth=2
	v_or_b32_sdwa v10, v11, s50 dst_sel:DWORD dst_unused:UNUSED_PAD src0_sel:BYTE_3 src1_sel:DWORD
	s_branch .LBB2_1483
.LBB2_1912:                             ;   in Loop: Header=BB2_1484 Depth=2
	s_or_saveexec_b64 s[20:21], s[20:21]
	v_bfrev_b32_e32 v1, 1
	s_xor_b64 exec, exec, s[20:21]
	s_cbranch_execz .LBB2_1494
.LBB2_1913:                             ;   in Loop: Header=BB2_1484 Depth=2
	v_cmp_ne_u16_sdwa s[78:79], v10, v35 src0_sel:BYTE_0 src1_sel:DWORD
	s_andn2_b64 s[18:19], s[18:19], exec
	s_and_b64 s[78:79], s[78:79], exec
	v_mov_b32_e32 v1, 0
	s_or_b64 s[18:19], s[18:19], s[78:79]
	s_or_b64 exec, exec, s[20:21]
	s_and_saveexec_b64 s[20:21], s[18:19]
	s_cbranch_execnz .LBB2_1495
	s_branch .LBB2_1496
.LBB2_1914:                             ;   in Loop: Header=BB2_1484 Depth=2
	s_or_saveexec_b64 s[78:79], s[78:79]
	v_bfrev_b32_e32 v1, 1
	s_xor_b64 exec, exec, s[78:79]
	s_cbranch_execz .LBB2_1522
.LBB2_1915:                             ;   in Loop: Header=BB2_1484 Depth=2
	v_cmp_ne_u16_e64 s[18:19], 0, v34
	s_andn2_b64 s[20:21], s[20:21], exec
	s_and_b64 s[18:19], s[18:19], exec
	v_mov_b32_e32 v1, 0
	s_or_b64 s[20:21], s[20:21], s[18:19]
	s_or_b64 exec, exec, s[78:79]
	s_and_saveexec_b64 s[78:79], s[20:21]
	s_cbranch_execnz .LBB2_1523
	s_branch .LBB2_1524
.LBB2_1916:                             ;   in Loop: Header=BB2_1484 Depth=2
	s_or_saveexec_b64 s[20:21], s[20:21]
	v_bfrev_b32_e32 v1, 1
	s_xor_b64 exec, exec, s[20:21]
	s_cbranch_execz .LBB2_1550
.LBB2_1917:                             ;   in Loop: Header=BB2_1484 Depth=2
	v_cmp_ne_u16_sdwa s[78:79], v30, v35 src0_sel:BYTE_0 src1_sel:DWORD
	s_andn2_b64 s[18:19], s[18:19], exec
	s_and_b64 s[78:79], s[78:79], exec
	v_mov_b32_e32 v1, 0
	s_or_b64 s[18:19], s[18:19], s[78:79]
	s_or_b64 exec, exec, s[20:21]
	s_and_saveexec_b64 s[20:21], s[18:19]
	s_cbranch_execnz .LBB2_1551
	s_branch .LBB2_1552
.LBB2_1918:                             ;   in Loop: Header=BB2_1484 Depth=2
	s_or_saveexec_b64 s[78:79], s[78:79]
	v_bfrev_b32_e32 v2, 1
	s_xor_b64 exec, exec, s[78:79]
	s_cbranch_execz .LBB2_1630
.LBB2_1919:                             ;   in Loop: Header=BB2_1484 Depth=2
	v_cmp_ne_u16_e64 s[18:19], 0, v34
	s_andn2_b64 s[20:21], s[20:21], exec
	s_and_b64 s[18:19], s[18:19], exec
	v_mov_b32_e32 v2, 0
	s_or_b64 s[20:21], s[20:21], s[18:19]
	s_or_b64 exec, exec, s[78:79]
	s_and_saveexec_b64 s[78:79], s[20:21]
	s_cbranch_execnz .LBB2_1631
	s_branch .LBB2_1632
.LBB2_1920:                             ;   in Loop: Header=BB2_1484 Depth=2
	s_or_saveexec_b64 s[20:21], s[20:21]
	v_bfrev_b32_e32 v2, 1
	s_xor_b64 exec, exec, s[20:21]
	s_cbranch_execz .LBB2_1658
.LBB2_1921:                             ;   in Loop: Header=BB2_1484 Depth=2
	v_cmp_ne_u16_sdwa s[78:79], v30, v35 src0_sel:BYTE_0 src1_sel:DWORD
	s_andn2_b64 s[18:19], s[18:19], exec
	s_and_b64 s[78:79], s[78:79], exec
	v_mov_b32_e32 v2, 0
	s_or_b64 s[18:19], s[18:19], s[78:79]
	s_or_b64 exec, exec, s[20:21]
	s_and_saveexec_b64 s[20:21], s[18:19]
	s_cbranch_execnz .LBB2_1659
	s_branch .LBB2_1660
.LBB2_1922:                             ;   in Loop: Header=BB2_1484 Depth=2
	s_or_saveexec_b64 s[20:21], s[20:21]
	v_bfrev_b32_e32 v2, 1
	s_xor_b64 exec, exec, s[20:21]
	s_cbranch_execz .LBB2_1708
.LBB2_1923:                             ;   in Loop: Header=BB2_1484 Depth=2
	v_cmp_ne_u16_sdwa s[78:79], v12, v35 src0_sel:BYTE_0 src1_sel:DWORD
	s_andn2_b64 s[18:19], s[18:19], exec
	s_and_b64 s[78:79], s[78:79], exec
	v_mov_b32_e32 v2, 0
	s_or_b64 s[18:19], s[18:19], s[78:79]
	s_or_b64 exec, exec, s[20:21]
	s_and_saveexec_b64 s[20:21], s[18:19]
	s_cbranch_execnz .LBB2_1709
	s_branch .LBB2_1710
.LBB2_1924:                             ;   in Loop: Header=BB2_1484 Depth=2
	s_or_saveexec_b64 s[78:79], s[78:79]
	v_bfrev_b32_e32 v2, 1
	s_xor_b64 exec, exec, s[78:79]
	s_cbranch_execz .LBB2_1736
.LBB2_1925:                             ;   in Loop: Header=BB2_1484 Depth=2
	v_cmp_ne_u16_e64 s[18:19], 0, v34
	s_andn2_b64 s[20:21], s[20:21], exec
	s_and_b64 s[18:19], s[18:19], exec
	v_mov_b32_e32 v2, 0
	s_or_b64 s[20:21], s[20:21], s[18:19]
	s_or_b64 exec, exec, s[78:79]
	s_and_saveexec_b64 s[78:79], s[20:21]
	s_cbranch_execnz .LBB2_1737
	s_branch .LBB2_1738
.LBB2_1926:                             ;   in Loop: Header=BB2_1484 Depth=2
	s_or_saveexec_b64 s[20:21], s[20:21]
	v_bfrev_b32_e32 v2, 1
	s_xor_b64 exec, exec, s[20:21]
	s_cbranch_execz .LBB2_1764
.LBB2_1927:                             ;   in Loop: Header=BB2_1484 Depth=2
	v_cmp_ne_u16_sdwa s[78:79], v10, v35 src0_sel:BYTE_0 src1_sel:DWORD
	s_andn2_b64 s[18:19], s[18:19], exec
	s_and_b64 s[78:79], s[78:79], exec
	v_mov_b32_e32 v2, 0
	s_or_b64 s[18:19], s[18:19], s[78:79]
	s_or_b64 exec, exec, s[20:21]
	s_and_saveexec_b64 s[20:21], s[18:19]
	s_cbranch_execnz .LBB2_1765
	s_branch .LBB2_1766
.LBB2_1928:                             ;   in Loop: Header=BB2_1484 Depth=2
	s_or_saveexec_b64 s[78:79], s[78:79]
	v_bfrev_b32_e32 v2, 1
	s_xor_b64 exec, exec, s[78:79]
	s_cbranch_execz .LBB2_1844
.LBB2_1929:                             ;   in Loop: Header=BB2_1484 Depth=2
	v_cmp_ne_u16_e64 s[18:19], 0, v34
	s_andn2_b64 s[20:21], s[20:21], exec
	s_and_b64 s[18:19], s[18:19], exec
	v_mov_b32_e32 v2, 0
	s_or_b64 s[20:21], s[20:21], s[18:19]
	s_or_b64 exec, exec, s[78:79]
	s_and_saveexec_b64 s[78:79], s[20:21]
	s_cbranch_execnz .LBB2_1845
	s_branch .LBB2_1846
.LBB2_1930:                             ;   in Loop: Header=BB2_1484 Depth=2
	s_or_saveexec_b64 s[20:21], s[20:21]
	v_bfrev_b32_e32 v2, 1
	s_xor_b64 exec, exec, s[20:21]
	s_cbranch_execz .LBB2_1872
.LBB2_1931:                             ;   in Loop: Header=BB2_1484 Depth=2
	v_cmp_ne_u16_sdwa s[78:79], v10, v35 src0_sel:BYTE_0 src1_sel:DWORD
	s_andn2_b64 s[18:19], s[18:19], exec
	s_and_b64 s[78:79], s[78:79], exec
	v_mov_b32_e32 v2, 0
	s_or_b64 s[18:19], s[18:19], s[78:79]
	s_or_b64 exec, exec, s[20:21]
	s_and_saveexec_b64 s[20:21], s[18:19]
	s_cbranch_execnz .LBB2_1873
	s_branch .LBB2_1874
.LBB2_1932:                             ;   in Loop: Header=BB2_1409 Depth=1
	s_or_b64 exec, exec, s[76:77]
	buffer_load_dword v55, off, s[0:3], s33 offset:92 ; 4-byte Folded Reload
	buffer_load_dword v24, off, s[0:3], s33 offset:100 ; 4-byte Folded Reload
	;; [unrolled: 1-line block ×8, first 2 shown]
.LBB2_1933:                             ;   in Loop: Header=BB2_1409 Depth=1
	s_or_b64 exec, exec, s[74:75]
	s_waitcnt vmcnt(5)
	v_and_b32_e32 v0, 15, v44
	s_waitcnt vmcnt(0)
	v_cndmask_b32_e32 v0, v2, v0, vcc
	v_mov_b32_e32 v10, 0
	v_cmp_ne_u32_e64 s[18:19], 0, v0
	s_mov_b64 s[74:75], 0
	buffer_store_dword v0, off, s[0:3], s33 offset:72 ; 4-byte Folded Spill
                                        ; implicit-def: $vgpr1
	s_and_saveexec_b64 s[20:21], s[18:19]
	s_cbranch_execz .LBB2_2387
; %bb.1934:                             ;   in Loop: Header=BB2_1409 Depth=1
	buffer_load_dword v1, off, s[0:3], s33 offset:160 ; 4-byte Folded Reload
	v_and_b32_e32 v0, 0x3f0, v44
	v_cndmask_b32_e32 v0, 0, v0, vcc
	v_cmp_lt_i32_e32 vcc, 0, v3
	v_and_or_b32 v10, v44, s52, v0
	v_cndmask_b32_e32 v0, 0, v47, vcc
	v_sub_u32_e32 v0, v0, v3
	s_waitcnt vmcnt(0)
	v_lshl_add_u32 v0, v0, 6, v1
	v_ashrrev_i32_e32 v1, 31, v0
	v_lshrrev_b32_e32 v1, 26, v1
	v_add_u32_e32 v1, v0, v1
	v_ashrrev_i32_e32 v2, 6, v1
	v_and_b32_e32 v1, 0xffffffc0, v1
	v_sub_u32_e32 v11, v0, v1
	buffer_load_dword v1, off, s[0:3], s33 offset:72 ; 4-byte Folded Reload
	v_lshlrev_b32_e32 v0, 4, v11
	v_lshl_add_u32 v0, v2, 10, v0
	v_sub_u32_e32 v3, 0, v2
	s_waitcnt vmcnt(0)
	v_sub_u32_e32 v31, v1, v0
	v_cmp_lt_i32_e32 vcc, 15, v31
	s_and_saveexec_b64 s[74:75], vcc
	s_cbranch_execz .LBB2_2386
; %bb.1935:                             ;   in Loop: Header=BB2_1409 Depth=1
	v_add_u32_e32 v2, v0, v10
	buffer_store_dword v11, off, s[0:3], s33 offset:172 ; 4-byte Folded Spill
	buffer_store_dword v44, off, s[0:3], s33 offset:104 ; 4-byte Folded Spill
	buffer_store_dword v10, off, s[0:3], s33 offset:168 ; 4-byte Folded Spill
	s_trap 2
	ds_read_b64 v[0:1], v0
	v_add_co_u32_e32 v52, vcc, v2, v16
	buffer_store_dword v16, off, s[0:3], s33 offset:144 ; 4-byte Folded Spill
	s_nop 0
	buffer_store_dword v17, off, s[0:3], s33 offset:148 ; 4-byte Folded Spill
	v_ashrrev_i32_e32 v10, 31, v2
	s_mov_b64 s[76:77], 0
	v_addc_co_u32_e32 v53, vcc, v10, v17, vcc
	s_waitcnt lgkmcnt(0)
	v_add_co_u32_e32 v54, vcc, v0, v2
	v_addc_co_u32_e32 v55, vcc, v1, v10, vcc
	v_add_co_u32_e32 v39, vcc, v2, v14
	buffer_store_dword v14, off, s[0:3], s33 offset:136 ; 4-byte Folded Spill
	s_nop 0
	buffer_store_dword v15, off, s[0:3], s33 offset:140 ; 4-byte Folded Spill
	v_addc_co_u32_e32 v40, vcc, v10, v15, vcc
	s_branch .LBB2_1937
.LBB2_1936:                             ;   in Loop: Header=BB2_1937 Depth=2
	s_or_b64 exec, exec, s[18:19]
	v_lshl_or_b32 v2, v58, 8, v44
	v_lshlrev_b32_e32 v11, 16, v30
	v_lshlrev_b32_e32 v12, 24, v43
	v_or3_b32 v12, v2, v11, v12
	v_lshl_or_b32 v1, v1, 8, v21
	v_lshlrev_b32_e32 v2, 16, v48
	v_lshlrev_b32_e32 v11, 24, v49
	v_add_co_u32_e32 v52, vcc, v52, v46
	v_or3_b32 v11, v1, v2, v11
	v_lshl_or_b32 v0, v18, 8, v0
	v_lshlrev_b32_e32 v1, 16, v19
	v_lshlrev_b32_e32 v2, 24, v56
	v_addc_co_u32_e32 v53, vcc, 0, v53, vcc
	v_or3_b32 v13, v0, v1, v2
	v_lshlrev_b32_e32 v0, 24, v10
	v_lshlrev_b32_e32 v1, 16, v14
	v_lshl_or_b32 v2, v42, 8, v41
	v_add_co_u32_e32 v54, vcc, v54, v46
	v_or3_b32 v14, v2, v1, v0
	v_addc_co_u32_e32 v55, vcc, 0, v55, vcc
	global_store_dwordx4 v[39:40], v[11:14], off glc slc
	v_add_co_u32_e32 v39, vcc, v39, v46
	v_addc_co_u32_e32 v40, vcc, 0, v40, vcc
	v_sub_u32_e32 v31, v31, v46
	v_cmp_gt_i32_e32 vcc, 16, v31
	s_or_b64 s[76:77], vcc, s[76:77]
	v_sub_u32_e32 v3, v3, v47
	s_andn2_b64 exec, exec, s[76:77]
	s_cbranch_execz .LBB2_2385
.LBB2_1937:                             ;   Parent Loop BB2_1409 Depth=1
                                        ; =>  This Inner Loop Header: Depth=2
	global_load_dwordx4 v[14:17], v[52:53], off glc slc
	global_load_dwordx4 v[10:13], v[54:55], off glc slc
	v_mov_b32_e32 v0, 0
	s_waitcnt vmcnt(1)
	v_cmp_ne_u16_sdwa s[78:79], v14, v35 src0_sel:BYTE_0 src1_sel:DWORD
	s_and_saveexec_b64 s[18:19], s[78:79]
	s_cbranch_execz .LBB2_1943
; %bb.1938:                             ;   in Loop: Header=BB2_1937 Depth=2
	v_cmp_ne_u16_sdwa s[88:89], v14, s49 src0_sel:BYTE_0 src1_sel:DWORD
	v_bfrev_b32_e32 v0, 1
	s_and_saveexec_b64 s[78:79], s[88:89]
	s_cbranch_execz .LBB2_1942
; %bb.1939:                             ;   in Loop: Header=BB2_1937 Depth=2
	v_and_b32_e32 v1, 0x7f, v14
	v_cmp_ne_u32_e32 vcc, s50, v1
	v_mov_b32_e32 v0, 0x7f800001
	s_and_saveexec_b64 s[88:89], vcc
	s_cbranch_execz .LBB2_1941
; %bb.1940:                             ;   in Loop: Header=BB2_1937 Depth=2
	v_and_b32_e32 v0, 7, v14
	v_ffbh_u32_e32 v0, v0
	v_min_u32_e32 v0, 32, v0
	v_lshrrev_b32_e32 v2, 3, v1
	v_cmp_gt_u32_e32 vcc, 8, v1
	v_subrev_u32_e32 v1, 28, v0
	v_sub_u32_e32 v0, 29, v0
	v_cndmask_b32_e32 v2, v2, v0, vcc
	v_cndmask_b32_e32 v0, 0, v1, vcc
	v_lshlrev_b64 v[0:1], v0, v[14:15]
	v_lshlrev_b32_e32 v1, 24, v14
	v_lshlrev_b32_e32 v0, 20, v0
	v_and_b32_e32 v0, 0x700000, v0
	v_and_b32_e32 v1, 0x80000000, v1
	v_lshl_add_u32 v2, v2, 23, v60
	v_or3_b32 v0, v1, v2, v0
.LBB2_1941:                             ;   in Loop: Header=BB2_1937 Depth=2
	s_or_b64 exec, exec, s[88:89]
.LBB2_1942:                             ;   in Loop: Header=BB2_1937 Depth=2
	s_or_b64 exec, exec, s[78:79]
.LBB2_1943:                             ;   in Loop: Header=BB2_1937 Depth=2
	s_or_b64 exec, exec, s[18:19]
	s_waitcnt vmcnt(0)
	v_cmp_gt_i16_sdwa s[78:79], v10, s50 src0_sel:BYTE_0 src1_sel:DWORD
	s_mov_b64 s[18:19], 0
	s_and_saveexec_b64 s[88:89], s[78:79]
	s_xor_b64 s[78:79], exec, s[88:89]
	s_cbranch_execz .LBB2_2365
; %bb.1944:                             ;   in Loop: Header=BB2_1937 Depth=2
	v_cmp_eq_u16_sdwa s[90:91], v10, s49 src0_sel:BYTE_0 src1_sel:DWORD
	s_mov_b64 s[18:19], -1
	s_and_saveexec_b64 s[88:89], s[90:91]
; %bb.1945:                             ;   in Loop: Header=BB2_1937 Depth=2
	s_xor_b64 s[18:19], exec, -1
; %bb.1946:                             ;   in Loop: Header=BB2_1937 Depth=2
	s_or_b64 exec, exec, s[88:89]
	s_and_b64 s[18:19], s[18:19], exec
	s_or_saveexec_b64 s[78:79], s[78:79]
	v_bfrev_b32_e32 v1, 1
	s_xor_b64 exec, exec, s[78:79]
	s_cbranch_execnz .LBB2_2366
.LBB2_1947:                             ;   in Loop: Header=BB2_1937 Depth=2
	s_or_b64 exec, exec, s[78:79]
	s_and_saveexec_b64 s[78:79], s[18:19]
	s_cbranch_execz .LBB2_1949
.LBB2_1948:                             ;   in Loop: Header=BB2_1937 Depth=2
	v_and_b32_e32 v1, 7, v10
	v_ffbh_u32_e32 v1, v1
	v_and_b32_e32 v18, 0x7f, v10
	v_min_u32_e32 v1, 32, v1
	v_bfe_u32 v2, v10, 3, 4
	v_subrev_u32_e32 v19, 28, v1
	v_sub_u32_e32 v1, 29, v1
	v_cmp_gt_u32_e32 vcc, 8, v18
	v_cndmask_b32_e32 v21, v2, v1, vcc
	v_cndmask_b32_e32 v1, 0, v19, vcc
	v_lshlrev_b64 v[1:2], v1, v[10:11]
	v_lshlrev_b32_e32 v2, 24, v10
	v_lshlrev_b32_e32 v1, 20, v1
	v_and_b32_e32 v1, 0x700000, v1
	v_and_b32_e32 v2, 0x80000000, v2
	v_lshl_add_u32 v19, v21, 23, v60
	v_or3_b32 v1, v2, v19, v1
	v_cmp_ne_u32_e32 vcc, s50, v18
	v_cndmask_b32_e32 v1, v61, v1, vcc
.LBB2_1949:                             ;   in Loop: Header=BB2_1937 Depth=2
	s_or_b64 exec, exec, s[78:79]
	v_add_f32_e32 v1, v0, v1
	v_and_b32_e32 v34, 0x7f800000, v1
	v_cmp_ne_u64_e32 vcc, s[46:47], v[34:35]
                                        ; implicit-def: $vgpr21
	s_and_saveexec_b64 s[18:19], vcc
	s_xor_b64 s[78:79], exec, s[18:19]
	s_cbranch_execz .LBB2_1963
; %bb.1950:                             ;   in Loop: Header=BB2_1937 Depth=2
	v_and_b32_e32 v34, 0x7fffffff, v1
	v_cmp_gt_u64_e32 vcc, s[56:57], v[34:35]
	v_and_b32_sdwa v0, v1, s49 dst_sel:DWORD dst_unused:UNUSED_PAD src0_sel:BYTE_3 src1_sel:DWORD
                                        ; implicit-def: $vgpr21
	s_and_saveexec_b64 s[18:19], vcc
	s_xor_b64 s[88:89], exec, s[18:19]
	s_cbranch_execz .LBB2_1960
; %bb.1951:                             ;   in Loop: Header=BB2_1937 Depth=2
	v_mov_b32_e32 v21, 0
	v_cmp_ne_u32_e32 vcc, 0, v1
	s_and_saveexec_b64 s[90:91], vcc
	s_cbranch_execz .LBB2_1959
; %bb.1952:                             ;   in Loop: Header=BB2_1937 Depth=2
	v_and_b32_e32 v18, 0x7fffff, v1
	v_bfe_u32 v1, v1, 23, 8
	v_cmp_gt_u32_e64 s[18:19], s51, v1
	v_sub_u32_e32 v2, 0x79, v1
	v_cmp_eq_u32_e32 vcc, 0, v1
	v_cndmask_b32_e64 v2, 0, v2, s[18:19]
	v_or_b32_e32 v19, 0x800000, v18
	v_cndmask_b32_e32 v2, v2, v62, vcc
	v_cndmask_b32_e32 v34, v19, v18, vcc
	v_add_u32_e32 v18, 20, v2
	v_lshlrev_b64 v[18:19], v18, -1
	v_add_u32_e32 v21, 19, v2
	v_lshlrev_b64 v[24:25], v21, 1
	v_lshrrev_b64 v[41:42], v2, v[34:35]
	v_bfi_b32 v19, v19, 0, 0
	v_bfi_b32 v18, v18, 0, v34
	v_cmp_eq_u64_e64 s[18:19], v[18:19], v[24:25]
	v_mov_b32_e32 v43, v42
	v_mov_b32_e32 v42, v41
	s_and_saveexec_b64 s[92:93], s[18:19]
; %bb.1953:                             ;   in Loop: Header=BB2_1937 Depth=2
	v_bfe_u32 v18, v41, 20, 1
	v_add_co_u32_e64 v18, s[18:19], v41, v18
	v_add_co_u32_e64 v42, s[18:19], -1, v18
; %bb.1954:                             ;   in Loop: Header=BB2_1937 Depth=2
	s_or_b64 exec, exec, s[92:93]
	v_add_u32_e32 v1, 0xffffff81, v1
	v_cndmask_b32_e32 v1, v1, v59, vcc
	v_lshrrev_b32_e32 v18, 23, v41
	v_add3_u32 v18, v2, v1, v18
	v_add_u32_e32 v2, 6, v18
	v_and_b32_e32 v1, 0xfffff, v42
	v_add_u32_e32 v34, v1, v41
	v_cmp_ne_u32_e32 vcc, 0, v2
                                        ; implicit-def: $vgpr41_vgpr42
                                        ; implicit-def: $vgpr1
	s_and_saveexec_b64 s[18:19], vcc
	s_xor_b64 s[18:19], exec, s[18:19]
; %bb.1955:                             ;   in Loop: Header=BB2_1937 Depth=2
	v_cmp_lt_u64_e32 vcc, s[58:59], v[34:35]
	v_add_u32_e32 v1, 7, v18
	v_cndmask_b32_e32 v1, v2, v1, vcc
	v_cndmask_b32_e64 v2, 0, 1, vcc
	v_lshrrev_b64 v[41:42], v2, v[34:35]
; %bb.1956:                             ;   in Loop: Header=BB2_1937 Depth=2
	s_andn2_saveexec_b64 s[18:19], s[18:19]
; %bb.1957:                             ;   in Loop: Header=BB2_1937 Depth=2
	v_mov_b32_e32 v42, v35
	v_bfe_u32 v1, v34, 23, 1
	v_mov_b32_e32 v41, v34
; %bb.1958:                             ;   in Loop: Header=BB2_1937 Depth=2
	s_or_b64 exec, exec, s[18:19]
	v_lshrrev_b64 v[18:19], 20, v[41:42]
	v_cmp_gt_i32_e32 vcc, 16, v1
	v_cndmask_b32_e32 v19, 0, v19, vcc
	v_cndmask_b32_e32 v18, 7, v18, vcc
	v_cmp_eq_u32_e32 vcc, 0, v1
	v_min_i32_e32 v1, 15, v1
	v_cmp_eq_u64_e64 s[18:19], 0, v[18:19]
	v_lshlrev_b32_e32 v1, 3, v1
	v_and_b32_e32 v1, 0xf8, v1
	v_and_or_b32 v1, v18, 7, v1
	s_and_b64 s[18:19], vcc, s[18:19]
	v_cndmask_b32_e64 v1, v1, 0, s[18:19]
	v_or_b32_e32 v21, v1, v0
.LBB2_1959:                             ;   in Loop: Header=BB2_1937 Depth=2
	s_or_b64 exec, exec, s[90:91]
                                        ; implicit-def: $vgpr0
.LBB2_1960:                             ;   in Loop: Header=BB2_1937 Depth=2
	s_andn2_saveexec_b64 s[18:19], s[88:89]
; %bb.1961:                             ;   in Loop: Header=BB2_1937 Depth=2
	v_or_b32_e32 v21, 0x7e, v0
; %bb.1962:                             ;   in Loop: Header=BB2_1937 Depth=2
	s_or_b64 exec, exec, s[18:19]
                                        ; implicit-def: $vgpr1
.LBB2_1963:                             ;   in Loop: Header=BB2_1937 Depth=2
	s_andn2_saveexec_b64 s[18:19], s[78:79]
; %bb.1964:                             ;   in Loop: Header=BB2_1937 Depth=2
	v_or_b32_sdwa v21, v1, s50 dst_sel:DWORD dst_unused:UNUSED_PAD src0_sel:BYTE_3 src1_sel:DWORD
; %bb.1965:                             ;   in Loop: Header=BB2_1937 Depth=2
	s_or_b64 exec, exec, s[18:19]
	v_lshrrev_b16_e32 v30, 8, v14
	v_cmp_ne_u16_e32 vcc, 0, v30
	v_mov_b32_e32 v0, 0
	s_and_saveexec_b64 s[18:19], vcc
	s_cbranch_execz .LBB2_1971
; %bb.1966:                             ;   in Loop: Header=BB2_1937 Depth=2
	v_cmp_ne_u16_e32 vcc, s49, v30
	v_bfrev_b32_e32 v0, 1
	s_and_saveexec_b64 s[78:79], vcc
	s_cbranch_execz .LBB2_1970
; %bb.1967:                             ;   in Loop: Header=BB2_1937 Depth=2
	v_and_b32_e32 v1, 0x7f, v30
	v_cmp_ne_u32_e32 vcc, s50, v1
	v_mov_b32_e32 v0, 0x7f800001
	s_and_saveexec_b64 s[88:89], vcc
	s_cbranch_execz .LBB2_1969
; %bb.1968:                             ;   in Loop: Header=BB2_1937 Depth=2
	v_and_b32_e32 v2, 7, v30
	v_ffbh_u32_e32 v0, v2
	v_min_u32_e32 v19, 32, v0
	v_subrev_u32_e32 v0, 28, v19
	v_lshrrev_b32_e32 v18, 3, v1
	v_cmp_gt_u32_e32 vcc, 8, v1
	v_lshlrev_b64 v[0:1], v0, v[30:31]
	v_sub_u32_e32 v1, 29, v19
	v_and_b32_e32 v0, 7, v0
	v_cndmask_b32_e32 v1, v18, v1, vcc
	v_cndmask_b32_e32 v0, v2, v0, vcc
	v_lshlrev_b32_e32 v2, 16, v14
	v_lshlrev_b32_e32 v0, 20, v0
	v_and_b32_e32 v2, 0x80000000, v2
	v_lshl_add_u32 v1, v1, 23, v60
	v_or3_b32 v0, v2, v1, v0
.LBB2_1969:                             ;   in Loop: Header=BB2_1937 Depth=2
	s_or_b64 exec, exec, s[88:89]
.LBB2_1970:                             ;   in Loop: Header=BB2_1937 Depth=2
	s_or_b64 exec, exec, s[78:79]
.LBB2_1971:                             ;   in Loop: Header=BB2_1937 Depth=2
	s_or_b64 exec, exec, s[18:19]
	v_lshrrev_b16_e32 v34, 8, v10
	v_cmp_lt_i16_e32 vcc, s50, v34
	s_mov_b64 s[18:19], 0
	s_and_saveexec_b64 s[78:79], vcc
	s_xor_b64 s[78:79], exec, s[78:79]
	s_cbranch_execz .LBB2_2367
; %bb.1972:                             ;   in Loop: Header=BB2_1937 Depth=2
	v_cmp_eq_u16_e32 vcc, s49, v34
	s_mov_b64 s[18:19], -1
	s_and_saveexec_b64 s[88:89], vcc
; %bb.1973:                             ;   in Loop: Header=BB2_1937 Depth=2
	s_xor_b64 s[18:19], exec, -1
; %bb.1974:                             ;   in Loop: Header=BB2_1937 Depth=2
	s_or_b64 exec, exec, s[88:89]
	s_and_b64 s[18:19], s[18:19], exec
	s_or_saveexec_b64 s[78:79], s[78:79]
	v_bfrev_b32_e32 v1, 1
	s_xor_b64 exec, exec, s[78:79]
	s_cbranch_execnz .LBB2_2368
.LBB2_1975:                             ;   in Loop: Header=BB2_1937 Depth=2
	s_or_b64 exec, exec, s[78:79]
	s_and_saveexec_b64 s[78:79], s[18:19]
	s_cbranch_execz .LBB2_1977
.LBB2_1976:                             ;   in Loop: Header=BB2_1937 Depth=2
	v_and_b32_e32 v18, 7, v34
	v_ffbh_u32_e32 v1, v18
	v_min_u32_e32 v25, 32, v1
	v_subrev_u32_e32 v1, 28, v25
	v_lshlrev_b64 v[1:2], v1, v[34:35]
	v_and_b32_e32 v19, 0x7f, v34
	v_bfe_u32 v24, v34, 3, 4
	v_sub_u32_e32 v2, 29, v25
	v_and_b32_e32 v1, 7, v1
	v_cmp_gt_u32_e32 vcc, 8, v19
	v_cndmask_b32_e32 v2, v24, v2, vcc
	v_cndmask_b32_e32 v1, v18, v1, vcc
	v_lshlrev_b32_e32 v18, 24, v34
	v_lshlrev_b32_e32 v1, 20, v1
	v_and_b32_e32 v18, 0x80000000, v18
	v_lshl_add_u32 v2, v2, 23, v60
	v_or3_b32 v1, v18, v2, v1
	v_cmp_ne_u32_e32 vcc, s50, v19
	v_cndmask_b32_e32 v1, v61, v1, vcc
.LBB2_1977:                             ;   in Loop: Header=BB2_1937 Depth=2
	s_or_b64 exec, exec, s[78:79]
	v_add_f32_e32 v18, v0, v1
	v_and_b32_e32 v34, 0x7f800000, v18
	v_cmp_ne_u64_e32 vcc, s[46:47], v[34:35]
                                        ; implicit-def: $vgpr1
	s_and_saveexec_b64 s[18:19], vcc
	s_xor_b64 s[78:79], exec, s[18:19]
	s_cbranch_execz .LBB2_1991
; %bb.1978:                             ;   in Loop: Header=BB2_1937 Depth=2
	v_and_b32_e32 v34, 0x7fffffff, v18
	v_cmp_gt_u64_e32 vcc, s[56:57], v[34:35]
	v_and_b32_sdwa v0, v18, s49 dst_sel:DWORD dst_unused:UNUSED_PAD src0_sel:BYTE_3 src1_sel:DWORD
                                        ; implicit-def: $vgpr1
	s_and_saveexec_b64 s[18:19], vcc
	s_xor_b64 s[88:89], exec, s[18:19]
	s_cbranch_execz .LBB2_1988
; %bb.1979:                             ;   in Loop: Header=BB2_1937 Depth=2
	v_mov_b32_e32 v1, 0
	v_cmp_ne_u32_e32 vcc, 0, v18
	s_and_saveexec_b64 s[90:91], vcc
	s_cbranch_execz .LBB2_1987
; %bb.1980:                             ;   in Loop: Header=BB2_1937 Depth=2
	v_bfe_u32 v1, v18, 23, 8
	v_cmp_gt_u32_e64 s[18:19], s51, v1
	v_sub_u32_e32 v2, 0x79, v1
	v_and_b32_e32 v19, 0x7fffff, v18
	v_cmp_eq_u32_e32 vcc, 0, v1
	v_cndmask_b32_e64 v2, 0, v2, s[18:19]
	v_or_b32_e32 v18, 0x800000, v19
	v_cndmask_b32_e32 v2, v2, v62, vcc
	v_cndmask_b32_e32 v34, v18, v19, vcc
	v_add_u32_e32 v18, 20, v2
	v_lshlrev_b64 v[18:19], v18, -1
	v_add_u32_e32 v24, 19, v2
	v_lshlrev_b64 v[24:25], v24, 1
	v_lshrrev_b64 v[41:42], v2, v[34:35]
	v_bfi_b32 v19, v19, 0, 0
	v_bfi_b32 v18, v18, 0, v34
	v_cmp_eq_u64_e64 s[18:19], v[18:19], v[24:25]
	v_mov_b32_e32 v43, v42
	v_mov_b32_e32 v42, v41
	s_and_saveexec_b64 s[92:93], s[18:19]
; %bb.1981:                             ;   in Loop: Header=BB2_1937 Depth=2
	v_bfe_u32 v18, v41, 20, 1
	v_add_co_u32_e64 v18, s[18:19], v41, v18
	v_add_co_u32_e64 v42, s[18:19], -1, v18
; %bb.1982:                             ;   in Loop: Header=BB2_1937 Depth=2
	s_or_b64 exec, exec, s[92:93]
	v_add_u32_e32 v1, 0xffffff81, v1
	v_cndmask_b32_e32 v1, v1, v59, vcc
	v_lshrrev_b32_e32 v18, 23, v41
	v_add3_u32 v18, v2, v1, v18
	v_add_u32_e32 v2, 6, v18
	v_and_b32_e32 v1, 0xfffff, v42
	v_add_u32_e32 v34, v1, v41
	v_cmp_ne_u32_e32 vcc, 0, v2
                                        ; implicit-def: $vgpr41_vgpr42
                                        ; implicit-def: $vgpr1
	s_and_saveexec_b64 s[18:19], vcc
	s_xor_b64 s[18:19], exec, s[18:19]
; %bb.1983:                             ;   in Loop: Header=BB2_1937 Depth=2
	v_cmp_lt_u64_e32 vcc, s[58:59], v[34:35]
	v_add_u32_e32 v1, 7, v18
	v_cndmask_b32_e32 v1, v2, v1, vcc
	v_cndmask_b32_e64 v2, 0, 1, vcc
	v_lshrrev_b64 v[41:42], v2, v[34:35]
; %bb.1984:                             ;   in Loop: Header=BB2_1937 Depth=2
	s_andn2_saveexec_b64 s[18:19], s[18:19]
; %bb.1985:                             ;   in Loop: Header=BB2_1937 Depth=2
	v_mov_b32_e32 v42, v35
	v_bfe_u32 v1, v34, 23, 1
	v_mov_b32_e32 v41, v34
; %bb.1986:                             ;   in Loop: Header=BB2_1937 Depth=2
	s_or_b64 exec, exec, s[18:19]
	v_lshrrev_b64 v[18:19], 20, v[41:42]
	v_cmp_gt_i32_e32 vcc, 16, v1
	v_cndmask_b32_e32 v19, 0, v19, vcc
	v_cndmask_b32_e32 v18, 7, v18, vcc
	v_cmp_eq_u32_e32 vcc, 0, v1
	v_min_i32_e32 v1, 15, v1
	v_cmp_eq_u64_e64 s[18:19], 0, v[18:19]
	v_lshlrev_b32_e32 v1, 3, v1
	v_and_b32_e32 v1, 0xf8, v1
	v_and_or_b32 v1, v18, 7, v1
	s_and_b64 s[18:19], vcc, s[18:19]
	v_cndmask_b32_e64 v1, v1, 0, s[18:19]
	v_or_b32_e32 v1, v1, v0
.LBB2_1987:                             ;   in Loop: Header=BB2_1937 Depth=2
	s_or_b64 exec, exec, s[90:91]
                                        ; implicit-def: $vgpr0
.LBB2_1988:                             ;   in Loop: Header=BB2_1937 Depth=2
	s_andn2_saveexec_b64 s[18:19], s[88:89]
; %bb.1989:                             ;   in Loop: Header=BB2_1937 Depth=2
	v_or_b32_e32 v1, 0x7e, v0
; %bb.1990:                             ;   in Loop: Header=BB2_1937 Depth=2
	s_or_b64 exec, exec, s[18:19]
                                        ; implicit-def: $vgpr18
.LBB2_1991:                             ;   in Loop: Header=BB2_1937 Depth=2
	s_andn2_saveexec_b64 s[18:19], s[78:79]
; %bb.1992:                             ;   in Loop: Header=BB2_1937 Depth=2
	v_or_b32_sdwa v1, v18, s50 dst_sel:DWORD dst_unused:UNUSED_PAD src0_sel:BYTE_3 src1_sel:DWORD
; %bb.1993:                             ;   in Loop: Header=BB2_1937 Depth=2
	s_or_b64 exec, exec, s[18:19]
	v_lshrrev_b32_e32 v30, 16, v14
	v_cmp_ne_u16_sdwa s[78:79], v30, v35 src0_sel:BYTE_0 src1_sel:DWORD
	v_mov_b32_e32 v0, 0
	s_and_saveexec_b64 s[18:19], s[78:79]
	s_cbranch_execz .LBB2_1999
; %bb.1994:                             ;   in Loop: Header=BB2_1937 Depth=2
	v_cmp_ne_u16_sdwa s[88:89], v30, s49 src0_sel:BYTE_0 src1_sel:DWORD
	v_bfrev_b32_e32 v0, 1
	s_and_saveexec_b64 s[78:79], s[88:89]
	s_cbranch_execz .LBB2_1998
; %bb.1995:                             ;   in Loop: Header=BB2_1937 Depth=2
	v_bfe_u32 v2, v14, 16, 7
	v_cmp_ne_u32_e32 vcc, s50, v2
	v_mov_b32_e32 v0, 0x7f800001
	s_and_saveexec_b64 s[88:89], vcc
	s_cbranch_execz .LBB2_1997
; %bb.1996:                             ;   in Loop: Header=BB2_1937 Depth=2
	v_and_b32_e32 v0, 7, v30
	v_lshrrev_b32_e32 v24, 3, v2
	v_cmp_gt_u32_e32 vcc, 8, v2
	v_ffbh_u32_e32 v2, v0
	v_min_u32_e32 v2, 32, v2
	v_subrev_u32_e32 v18, 28, v2
	v_lshlrev_b64 v[18:19], v18, v[30:31]
	v_sub_u32_e32 v2, 29, v2
	v_and_b32_e32 v18, 7, v18
	v_cndmask_b32_e32 v2, v24, v2, vcc
	v_cndmask_b32_e32 v0, v0, v18, vcc
	v_lshlrev_b32_e32 v18, 24, v30
	v_lshlrev_b32_e32 v0, 20, v0
	v_and_b32_e32 v18, 0x80000000, v18
	v_lshl_add_u32 v2, v2, 23, v60
	v_or3_b32 v0, v18, v2, v0
.LBB2_1997:                             ;   in Loop: Header=BB2_1937 Depth=2
	s_or_b64 exec, exec, s[88:89]
.LBB2_1998:                             ;   in Loop: Header=BB2_1937 Depth=2
	s_or_b64 exec, exec, s[78:79]
.LBB2_1999:                             ;   in Loop: Header=BB2_1937 Depth=2
	s_or_b64 exec, exec, s[18:19]
	v_lshrrev_b32_e32 v30, 16, v10
	v_cmp_gt_i16_sdwa s[78:79], v30, s50 src0_sel:BYTE_0 src1_sel:DWORD
	s_mov_b64 s[18:19], 0
	s_and_saveexec_b64 s[88:89], s[78:79]
	s_xor_b64 s[78:79], exec, s[88:89]
	s_cbranch_execz .LBB2_2369
; %bb.2000:                             ;   in Loop: Header=BB2_1937 Depth=2
	v_cmp_eq_u16_sdwa s[90:91], v30, s49 src0_sel:BYTE_0 src1_sel:DWORD
	s_mov_b64 s[18:19], -1
	s_and_saveexec_b64 s[88:89], s[90:91]
; %bb.2001:                             ;   in Loop: Header=BB2_1937 Depth=2
	s_xor_b64 s[18:19], exec, -1
; %bb.2002:                             ;   in Loop: Header=BB2_1937 Depth=2
	s_or_b64 exec, exec, s[88:89]
	s_and_b64 s[18:19], s[18:19], exec
	s_or_saveexec_b64 s[78:79], s[78:79]
	v_bfrev_b32_e32 v2, 1
	s_xor_b64 exec, exec, s[78:79]
	s_cbranch_execnz .LBB2_2370
.LBB2_2003:                             ;   in Loop: Header=BB2_1937 Depth=2
	s_or_b64 exec, exec, s[78:79]
	s_and_saveexec_b64 s[78:79], s[18:19]
	s_cbranch_execz .LBB2_2005
.LBB2_2004:                             ;   in Loop: Header=BB2_1937 Depth=2
	v_and_b32_e32 v2, 7, v30
	v_ffbh_u32_e32 v18, v2
	v_min_u32_e32 v34, 32, v18
	v_subrev_u32_e32 v18, 28, v34
	v_lshlrev_b64 v[18:19], v18, v[30:31]
	v_and_b32_e32 v24, 0x7f, v30
	v_bfe_u32 v25, v30, 3, 4
	v_sub_u32_e32 v19, 29, v34
	v_and_b32_e32 v18, 7, v18
	v_cmp_gt_u32_e32 vcc, 8, v24
	v_cndmask_b32_e32 v19, v25, v19, vcc
	v_cndmask_b32_e32 v2, v2, v18, vcc
	v_lshlrev_b32_e32 v18, 24, v30
	v_lshlrev_b32_e32 v2, 20, v2
	v_and_b32_e32 v18, 0x80000000, v18
	v_lshl_add_u32 v19, v19, 23, v60
	v_or3_b32 v2, v18, v19, v2
	v_cmp_ne_u32_e32 vcc, s50, v24
	v_cndmask_b32_e32 v2, v61, v2, vcc
.LBB2_2005:                             ;   in Loop: Header=BB2_1937 Depth=2
	s_or_b64 exec, exec, s[78:79]
	v_add_f32_e32 v18, v0, v2
	v_and_b32_e32 v34, 0x7f800000, v18
	v_cmp_ne_u64_e32 vcc, s[46:47], v[34:35]
                                        ; implicit-def: $vgpr48
	s_and_saveexec_b64 s[18:19], vcc
	s_xor_b64 s[78:79], exec, s[18:19]
	s_cbranch_execz .LBB2_2019
; %bb.2006:                             ;   in Loop: Header=BB2_1937 Depth=2
	v_and_b32_e32 v34, 0x7fffffff, v18
	v_cmp_gt_u64_e32 vcc, s[56:57], v[34:35]
	v_and_b32_sdwa v0, v18, s49 dst_sel:DWORD dst_unused:UNUSED_PAD src0_sel:BYTE_3 src1_sel:DWORD
                                        ; implicit-def: $vgpr48
	s_and_saveexec_b64 s[18:19], vcc
	s_xor_b64 s[88:89], exec, s[18:19]
	s_cbranch_execz .LBB2_2016
; %bb.2007:                             ;   in Loop: Header=BB2_1937 Depth=2
	v_mov_b32_e32 v48, 0
	v_cmp_ne_u32_e32 vcc, 0, v18
	s_and_saveexec_b64 s[90:91], vcc
	s_cbranch_execz .LBB2_2015
; %bb.2008:                             ;   in Loop: Header=BB2_1937 Depth=2
	v_and_b32_e32 v19, 0x7fffff, v18
	v_bfe_u32 v18, v18, 23, 8
	v_cmp_gt_u32_e64 s[18:19], s51, v18
	v_sub_u32_e32 v2, 0x79, v18
	v_cmp_eq_u32_e32 vcc, 0, v18
	v_cndmask_b32_e64 v2, 0, v2, s[18:19]
	v_or_b32_e32 v24, 0x800000, v19
	v_cndmask_b32_e32 v2, v2, v62, vcc
	v_cndmask_b32_e32 v34, v24, v19, vcc
	v_add_u32_e32 v19, 20, v2
	v_lshlrev_b64 v[24:25], v19, -1
	v_add_u32_e32 v19, 19, v2
	v_lshlrev_b64 v[48:49], v19, 1
	v_lshrrev_b64 v[41:42], v2, v[34:35]
	v_bfi_b32 v25, v25, 0, 0
	v_bfi_b32 v24, v24, 0, v34
	v_cmp_eq_u64_e64 s[18:19], v[24:25], v[48:49]
	v_mov_b32_e32 v43, v42
	v_mov_b32_e32 v42, v41
	s_and_saveexec_b64 s[92:93], s[18:19]
; %bb.2009:                             ;   in Loop: Header=BB2_1937 Depth=2
	v_bfe_u32 v19, v41, 20, 1
	v_add_co_u32_e64 v19, s[18:19], v41, v19
	v_add_co_u32_e64 v42, s[18:19], -1, v19
; %bb.2010:                             ;   in Loop: Header=BB2_1937 Depth=2
	s_or_b64 exec, exec, s[92:93]
	v_add_u32_e32 v18, 0xffffff81, v18
	v_cndmask_b32_e32 v18, v18, v59, vcc
	v_lshrrev_b32_e32 v19, 23, v41
	v_add3_u32 v19, v2, v18, v19
	v_add_u32_e32 v2, 6, v19
	v_and_b32_e32 v18, 0xfffff, v42
	v_add_u32_e32 v34, v18, v41
	v_cmp_ne_u32_e32 vcc, 0, v2
                                        ; implicit-def: $vgpr41_vgpr42
                                        ; implicit-def: $vgpr18
	s_and_saveexec_b64 s[18:19], vcc
	s_xor_b64 s[18:19], exec, s[18:19]
; %bb.2011:                             ;   in Loop: Header=BB2_1937 Depth=2
	v_cmp_lt_u64_e32 vcc, s[58:59], v[34:35]
	v_add_u32_e32 v18, 7, v19
	v_cndmask_b32_e32 v18, v2, v18, vcc
	v_cndmask_b32_e64 v2, 0, 1, vcc
	v_lshrrev_b64 v[41:42], v2, v[34:35]
; %bb.2012:                             ;   in Loop: Header=BB2_1937 Depth=2
	s_andn2_saveexec_b64 s[18:19], s[18:19]
; %bb.2013:                             ;   in Loop: Header=BB2_1937 Depth=2
	v_mov_b32_e32 v42, v35
	v_bfe_u32 v18, v34, 23, 1
	v_mov_b32_e32 v41, v34
; %bb.2014:                             ;   in Loop: Header=BB2_1937 Depth=2
	s_or_b64 exec, exec, s[18:19]
	v_lshrrev_b64 v[24:25], 20, v[41:42]
	v_cmp_gt_i32_e32 vcc, 16, v18
	v_cndmask_b32_e32 v25, 0, v25, vcc
	v_cndmask_b32_e32 v24, 7, v24, vcc
	v_min_i32_e32 v2, 15, v18
	v_cmp_eq_u64_e64 s[18:19], 0, v[24:25]
	v_lshlrev_b32_e32 v2, 3, v2
	v_cmp_eq_u32_e32 vcc, 0, v18
	v_and_b32_e32 v2, 0xf8, v2
	v_and_or_b32 v2, v24, 7, v2
	s_and_b64 s[18:19], vcc, s[18:19]
	v_cndmask_b32_e64 v2, v2, 0, s[18:19]
	v_or_b32_e32 v48, v2, v0
.LBB2_2015:                             ;   in Loop: Header=BB2_1937 Depth=2
	s_or_b64 exec, exec, s[90:91]
                                        ; implicit-def: $vgpr0
.LBB2_2016:                             ;   in Loop: Header=BB2_1937 Depth=2
	s_andn2_saveexec_b64 s[18:19], s[88:89]
; %bb.2017:                             ;   in Loop: Header=BB2_1937 Depth=2
	v_or_b32_e32 v48, 0x7e, v0
; %bb.2018:                             ;   in Loop: Header=BB2_1937 Depth=2
	s_or_b64 exec, exec, s[18:19]
                                        ; implicit-def: $vgpr18
.LBB2_2019:                             ;   in Loop: Header=BB2_1937 Depth=2
	s_andn2_saveexec_b64 s[18:19], s[78:79]
; %bb.2020:                             ;   in Loop: Header=BB2_1937 Depth=2
	v_or_b32_sdwa v48, v18, s50 dst_sel:DWORD dst_unused:UNUSED_PAD src0_sel:BYTE_3 src1_sel:DWORD
; %bb.2021:                             ;   in Loop: Header=BB2_1937 Depth=2
	s_or_b64 exec, exec, s[18:19]
	v_cmp_lt_u32_e32 vcc, s61, v14
	v_mov_b32_e32 v0, 0
	s_and_saveexec_b64 s[18:19], vcc
	s_cbranch_execz .LBB2_2027
; %bb.2022:                             ;   in Loop: Header=BB2_1937 Depth=2
	v_lshrrev_b32_e32 v30, 24, v14
	v_cmp_ne_u32_e32 vcc, s49, v30
	v_bfrev_b32_e32 v0, 1
	s_and_saveexec_b64 s[78:79], vcc
	s_cbranch_execz .LBB2_2026
; %bb.2023:                             ;   in Loop: Header=BB2_1937 Depth=2
	v_bfe_u32 v2, v14, 24, 7
	v_cmp_ne_u32_e32 vcc, s50, v2
	v_mov_b32_e32 v0, 0x7f800001
	s_and_saveexec_b64 s[88:89], vcc
	s_cbranch_execz .LBB2_2025
; %bb.2024:                             ;   in Loop: Header=BB2_1937 Depth=2
	v_and_b32_e32 v0, 7, v30
	v_lshrrev_b32_e32 v24, 3, v2
	v_cmp_gt_u32_e32 vcc, 8, v2
	v_ffbh_u32_e32 v2, v0
	v_min_u32_e32 v2, 32, v2
	v_subrev_u32_e32 v18, 28, v2
	v_lshlrev_b64 v[18:19], v18, v[30:31]
	v_sub_u32_e32 v2, 29, v2
	v_and_b32_e32 v18, 7, v18
	v_cndmask_b32_e32 v2, v24, v2, vcc
	v_cndmask_b32_e32 v0, v0, v18, vcc
	v_lshlrev_b32_e32 v18, 24, v30
	v_lshlrev_b32_e32 v0, 20, v0
	v_and_b32_e32 v18, 0x80000000, v18
	v_lshl_add_u32 v2, v2, 23, v60
	v_or3_b32 v0, v18, v2, v0
.LBB2_2025:                             ;   in Loop: Header=BB2_1937 Depth=2
	s_or_b64 exec, exec, s[88:89]
.LBB2_2026:                             ;   in Loop: Header=BB2_1937 Depth=2
	s_or_b64 exec, exec, s[78:79]
.LBB2_2027:                             ;   in Loop: Header=BB2_1937 Depth=2
	s_or_b64 exec, exec, s[18:19]
	v_bfe_u32 v24, v10, 24, 3
	v_ffbh_u32_e32 v18, v24
	v_min_u32_e32 v34, 32, v18
	v_lshrrev_b32_e32 v2, 24, v10
	v_subrev_u32_e32 v18, 28, v34
	v_lshlrev_b64 v[18:19], v18, v[2:3]
	v_bfe_u32 v25, v10, 24, 7
	v_bfe_u32 v30, v2, 3, 4
	v_sub_u32_e32 v19, 29, v34
	v_and_b32_e32 v18, 7, v18
	v_cmp_gt_u32_e32 vcc, 8, v25
	v_cndmask_b32_e32 v19, v30, v19, vcc
	v_cndmask_b32_e32 v18, v24, v18, vcc
	v_lshlrev_b32_e32 v18, 20, v18
	v_and_b32_e32 v24, 0x80000000, v10
	v_lshl_add_u32 v19, v19, 23, v60
	v_or3_b32 v18, v24, v19, v18
	v_cmp_ne_u32_e32 vcc, s50, v25
	v_cndmask_b32_e32 v18, v61, v18, vcc
	v_cmp_ne_u32_e32 vcc, s49, v2
	v_cndmask_b32_e32 v2, v45, v18, vcc
	v_cmp_lt_u32_e32 vcc, s61, v10
	v_cndmask_b32_e32 v2, 0, v2, vcc
	v_add_f32_e32 v18, v2, v0
	v_and_b32_e32 v34, 0x7f800000, v18
	v_cmp_ne_u64_e32 vcc, s[46:47], v[34:35]
                                        ; implicit-def: $vgpr49
	s_and_saveexec_b64 s[18:19], vcc
	s_xor_b64 s[78:79], exec, s[18:19]
	s_cbranch_execz .LBB2_2041
; %bb.2028:                             ;   in Loop: Header=BB2_1937 Depth=2
	v_and_b32_e32 v34, 0x7fffffff, v18
	v_cmp_gt_u64_e32 vcc, s[56:57], v[34:35]
	v_and_b32_sdwa v0, v18, s49 dst_sel:DWORD dst_unused:UNUSED_PAD src0_sel:BYTE_3 src1_sel:DWORD
                                        ; implicit-def: $vgpr49
	s_and_saveexec_b64 s[18:19], vcc
	s_xor_b64 s[88:89], exec, s[18:19]
	s_cbranch_execz .LBB2_2038
; %bb.2029:                             ;   in Loop: Header=BB2_1937 Depth=2
	v_mov_b32_e32 v49, 0
	v_cmp_ne_u32_e32 vcc, 0, v18
	s_and_saveexec_b64 s[90:91], vcc
	s_cbranch_execz .LBB2_2037
; %bb.2030:                             ;   in Loop: Header=BB2_1937 Depth=2
	v_and_b32_e32 v19, 0x7fffff, v18
	v_bfe_u32 v18, v18, 23, 8
	v_cmp_gt_u32_e64 s[18:19], s51, v18
	v_sub_u32_e32 v2, 0x79, v18
	v_cmp_eq_u32_e32 vcc, 0, v18
	v_cndmask_b32_e64 v2, 0, v2, s[18:19]
	v_or_b32_e32 v24, 0x800000, v19
	v_cndmask_b32_e32 v2, v2, v62, vcc
	v_cndmask_b32_e32 v34, v24, v19, vcc
	v_add_u32_e32 v19, 20, v2
	v_lshlrev_b64 v[24:25], v19, -1
	v_add_u32_e32 v19, 19, v2
	v_lshlrev_b64 v[49:50], v19, 1
	v_lshrrev_b64 v[41:42], v2, v[34:35]
	v_bfi_b32 v25, v25, 0, 0
	v_bfi_b32 v24, v24, 0, v34
	v_cmp_eq_u64_e64 s[18:19], v[24:25], v[49:50]
	v_mov_b32_e32 v43, v42
	v_mov_b32_e32 v42, v41
	s_and_saveexec_b64 s[92:93], s[18:19]
; %bb.2031:                             ;   in Loop: Header=BB2_1937 Depth=2
	v_bfe_u32 v19, v41, 20, 1
	v_add_co_u32_e64 v19, s[18:19], v41, v19
	v_add_co_u32_e64 v42, s[18:19], -1, v19
; %bb.2032:                             ;   in Loop: Header=BB2_1937 Depth=2
	s_or_b64 exec, exec, s[92:93]
	v_add_u32_e32 v18, 0xffffff81, v18
	v_cndmask_b32_e32 v18, v18, v59, vcc
	v_lshrrev_b32_e32 v19, 23, v41
	v_add3_u32 v19, v2, v18, v19
	v_add_u32_e32 v2, 6, v19
	v_and_b32_e32 v18, 0xfffff, v42
	v_add_u32_e32 v34, v18, v41
	v_cmp_ne_u32_e32 vcc, 0, v2
                                        ; implicit-def: $vgpr41_vgpr42
                                        ; implicit-def: $vgpr18
	s_and_saveexec_b64 s[18:19], vcc
	s_xor_b64 s[18:19], exec, s[18:19]
; %bb.2033:                             ;   in Loop: Header=BB2_1937 Depth=2
	v_cmp_lt_u64_e32 vcc, s[58:59], v[34:35]
	v_add_u32_e32 v18, 7, v19
	v_cndmask_b32_e32 v18, v2, v18, vcc
	v_cndmask_b32_e64 v2, 0, 1, vcc
	v_lshrrev_b64 v[41:42], v2, v[34:35]
; %bb.2034:                             ;   in Loop: Header=BB2_1937 Depth=2
	s_andn2_saveexec_b64 s[18:19], s[18:19]
; %bb.2035:                             ;   in Loop: Header=BB2_1937 Depth=2
	v_mov_b32_e32 v42, v35
	v_bfe_u32 v18, v34, 23, 1
	v_mov_b32_e32 v41, v34
; %bb.2036:                             ;   in Loop: Header=BB2_1937 Depth=2
	s_or_b64 exec, exec, s[18:19]
	v_lshrrev_b64 v[24:25], 20, v[41:42]
	v_cmp_gt_i32_e32 vcc, 16, v18
	v_cndmask_b32_e32 v25, 0, v25, vcc
	v_cndmask_b32_e32 v24, 7, v24, vcc
	v_min_i32_e32 v2, 15, v18
	v_cmp_eq_u64_e64 s[18:19], 0, v[24:25]
	v_lshlrev_b32_e32 v2, 3, v2
	v_cmp_eq_u32_e32 vcc, 0, v18
	v_and_b32_e32 v2, 0xf8, v2
	v_and_or_b32 v2, v24, 7, v2
	s_and_b64 s[18:19], vcc, s[18:19]
	v_cndmask_b32_e64 v2, v2, 0, s[18:19]
	v_or_b32_e32 v49, v2, v0
.LBB2_2037:                             ;   in Loop: Header=BB2_1937 Depth=2
	s_or_b64 exec, exec, s[90:91]
                                        ; implicit-def: $vgpr0
.LBB2_2038:                             ;   in Loop: Header=BB2_1937 Depth=2
	s_andn2_saveexec_b64 s[18:19], s[88:89]
; %bb.2039:                             ;   in Loop: Header=BB2_1937 Depth=2
	v_or_b32_e32 v49, 0x7e, v0
; %bb.2040:                             ;   in Loop: Header=BB2_1937 Depth=2
	s_or_b64 exec, exec, s[18:19]
                                        ; implicit-def: $vgpr18
.LBB2_2041:                             ;   in Loop: Header=BB2_1937 Depth=2
	s_andn2_saveexec_b64 s[18:19], s[78:79]
; %bb.2042:                             ;   in Loop: Header=BB2_1937 Depth=2
	v_or_b32_sdwa v49, v18, s50 dst_sel:DWORD dst_unused:UNUSED_PAD src0_sel:BYTE_3 src1_sel:DWORD
; %bb.2043:                             ;   in Loop: Header=BB2_1937 Depth=2
	s_or_b64 exec, exec, s[18:19]
	v_mov_b32_e32 v34, v15
	v_cmp_ne_u16_sdwa s[78:79], v15, v35 src0_sel:BYTE_0 src1_sel:DWORD
	v_mov_b32_e32 v0, 0
	s_and_saveexec_b64 s[18:19], s[78:79]
	s_cbranch_execz .LBB2_2049
; %bb.2044:                             ;   in Loop: Header=BB2_1937 Depth=2
	v_cmp_ne_u16_sdwa s[88:89], v15, s49 src0_sel:BYTE_0 src1_sel:DWORD
	v_bfrev_b32_e32 v0, 1
	s_and_saveexec_b64 s[78:79], s[88:89]
	s_cbranch_execz .LBB2_2048
; %bb.2045:                             ;   in Loop: Header=BB2_1937 Depth=2
	v_and_b32_e32 v2, 0x7f, v15
	v_cmp_ne_u32_e32 vcc, s50, v2
	v_mov_b32_e32 v0, 0x7f800001
	s_and_saveexec_b64 s[88:89], vcc
	s_cbranch_execz .LBB2_2047
; %bb.2046:                             ;   in Loop: Header=BB2_1937 Depth=2
	v_and_b32_e32 v0, 7, v15
	v_ffbh_u32_e32 v0, v0
	v_min_u32_e32 v0, 32, v0
	v_lshrrev_b32_e32 v18, 3, v2
	v_cmp_gt_u32_e32 vcc, 8, v2
	v_subrev_u32_e32 v2, 28, v0
	v_sub_u32_e32 v0, 29, v0
	v_cndmask_b32_e32 v2, 0, v2, vcc
	v_cndmask_b32_e32 v0, v18, v0, vcc
	v_lshlrev_b64 v[18:19], v2, v[34:35]
	v_lshl_add_u32 v0, v0, 23, v60
	v_lshlrev_b32_e32 v2, 20, v18
	v_lshlrev_b32_e32 v18, 24, v34
	v_and_b32_e32 v2, 0x700000, v2
	v_and_b32_e32 v18, 0x80000000, v18
	v_or3_b32 v0, v18, v0, v2
.LBB2_2047:                             ;   in Loop: Header=BB2_1937 Depth=2
	s_or_b64 exec, exec, s[88:89]
.LBB2_2048:                             ;   in Loop: Header=BB2_1937 Depth=2
	s_or_b64 exec, exec, s[78:79]
.LBB2_2049:                             ;   in Loop: Header=BB2_1937 Depth=2
	s_or_b64 exec, exec, s[18:19]
	v_cmp_gt_i16_sdwa s[78:79], v11, s50 src0_sel:BYTE_0 src1_sel:DWORD
	s_mov_b64 s[18:19], 0
	s_and_saveexec_b64 s[88:89], s[78:79]
	s_xor_b64 s[78:79], exec, s[88:89]
	s_cbranch_execz .LBB2_2053
; %bb.2050:                             ;   in Loop: Header=BB2_1937 Depth=2
	v_cmp_eq_u16_sdwa s[90:91], v11, s49 src0_sel:BYTE_0 src1_sel:DWORD
	s_mov_b64 s[18:19], -1
	s_and_saveexec_b64 s[88:89], s[90:91]
; %bb.2051:                             ;   in Loop: Header=BB2_1937 Depth=2
	s_xor_b64 s[18:19], exec, -1
; %bb.2052:                             ;   in Loop: Header=BB2_1937 Depth=2
	s_or_b64 exec, exec, s[88:89]
	s_and_b64 s[18:19], s[18:19], exec
.LBB2_2053:                             ;   in Loop: Header=BB2_1937 Depth=2
	s_or_saveexec_b64 s[78:79], s[78:79]
	v_bfrev_b32_e32 v2, 1
	s_xor_b64 exec, exec, s[78:79]
; %bb.2054:                             ;   in Loop: Header=BB2_1937 Depth=2
	v_cmp_ne_u16_sdwa s[88:89], v11, v35 src0_sel:BYTE_0 src1_sel:DWORD
	s_andn2_b64 s[18:19], s[18:19], exec
	s_and_b64 s[88:89], s[88:89], exec
	v_mov_b32_e32 v2, 0
	s_or_b64 s[18:19], s[18:19], s[88:89]
; %bb.2055:                             ;   in Loop: Header=BB2_1937 Depth=2
	s_or_b64 exec, exec, s[78:79]
	v_mov_b32_e32 v41, v11
	v_mov_b32_e32 v42, v35
	s_and_saveexec_b64 s[78:79], s[18:19]
	s_cbranch_execz .LBB2_2057
; %bb.2056:                             ;   in Loop: Header=BB2_1937 Depth=2
	v_and_b32_e32 v2, 7, v11
	v_ffbh_u32_e32 v2, v2
	v_and_b32_e32 v24, 0x7f, v11
	v_min_u32_e32 v2, 32, v2
	v_bfe_u32 v18, v11, 3, 4
	v_subrev_u32_e32 v19, 28, v2
	v_sub_u32_e32 v2, 29, v2
	v_cmp_gt_u32_e32 vcc, 8, v24
	v_cndmask_b32_e32 v2, v18, v2, vcc
	v_cndmask_b32_e32 v18, 0, v19, vcc
	v_lshlrev_b64 v[18:19], v18, v[41:42]
	v_lshlrev_b32_e32 v19, 24, v41
	v_lshlrev_b32_e32 v18, 20, v18
	v_and_b32_e32 v18, 0x700000, v18
	v_and_b32_e32 v19, 0x80000000, v19
	v_lshl_add_u32 v2, v2, 23, v60
	v_or3_b32 v2, v19, v2, v18
	v_cmp_ne_u32_e32 vcc, s50, v24
	v_cndmask_b32_e32 v2, v61, v2, vcc
.LBB2_2057:                             ;   in Loop: Header=BB2_1937 Depth=2
	s_or_b64 exec, exec, s[78:79]
	v_add_f32_e32 v18, v0, v2
	v_and_b32_e32 v24, 0x7f800000, v18
	v_mov_b32_e32 v25, v35
	v_cmp_ne_u64_e32 vcc, s[46:47], v[24:25]
                                        ; implicit-def: $vgpr44
	s_and_saveexec_b64 s[18:19], vcc
	s_xor_b64 s[78:79], exec, s[18:19]
	s_cbranch_execz .LBB2_2071
; %bb.2058:                             ;   in Loop: Header=BB2_1937 Depth=2
	v_and_b32_e32 v24, 0x7fffffff, v18
	v_mov_b32_e32 v25, v35
	v_cmp_gt_u64_e32 vcc, s[56:57], v[24:25]
	v_and_b32_sdwa v0, v18, s49 dst_sel:DWORD dst_unused:UNUSED_PAD src0_sel:BYTE_3 src1_sel:DWORD
                                        ; implicit-def: $vgpr44
	s_and_saveexec_b64 s[18:19], vcc
	s_xor_b64 s[88:89], exec, s[18:19]
	s_cbranch_execz .LBB2_2068
; %bb.2059:                             ;   in Loop: Header=BB2_1937 Depth=2
	v_mov_b32_e32 v44, 0
	v_cmp_ne_u32_e32 vcc, 0, v18
	s_and_saveexec_b64 s[90:91], vcc
	s_cbranch_execz .LBB2_2067
; %bb.2060:                             ;   in Loop: Header=BB2_1937 Depth=2
	v_and_b32_e32 v19, 0x7fffff, v18
	v_bfe_u32 v18, v18, 23, 8
	v_cmp_gt_u32_e64 s[18:19], s51, v18
	v_sub_u32_e32 v2, 0x79, v18
	v_cmp_eq_u32_e32 vcc, 0, v18
	v_cndmask_b32_e64 v2, 0, v2, s[18:19]
	v_or_b32_e32 v24, 0x800000, v19
	v_cndmask_b32_e32 v2, v2, v62, vcc
	v_cndmask_b32_e32 v24, v24, v19, vcc
	v_add_u32_e32 v19, 20, v2
	v_lshlrev_b64 v[50:51], v19, -1
	v_add_u32_e32 v19, 19, v2
	v_lshlrev_b64 v[42:43], v19, 1
	v_mov_b32_e32 v25, v35
	v_bfi_b32 v51, v51, 0, 0
	v_bfi_b32 v50, v50, 0, v24
	v_cmp_eq_u64_e64 s[18:19], v[50:51], v[42:43]
	v_lshrrev_b64 v[42:43], v2, v[24:25]
	v_mov_b32_e32 v44, v43
	v_mov_b32_e32 v43, v42
	s_and_saveexec_b64 s[92:93], s[18:19]
; %bb.2061:                             ;   in Loop: Header=BB2_1937 Depth=2
	v_bfe_u32 v19, v42, 20, 1
	v_add_co_u32_e64 v19, s[18:19], v42, v19
	v_add_co_u32_e64 v43, s[18:19], -1, v19
; %bb.2062:                             ;   in Loop: Header=BB2_1937 Depth=2
	s_or_b64 exec, exec, s[92:93]
	v_add_u32_e32 v18, 0xffffff81, v18
	v_cndmask_b32_e32 v18, v18, v59, vcc
	v_lshrrev_b32_e32 v19, 23, v42
	v_add3_u32 v19, v2, v18, v19
	v_add_u32_e32 v2, 6, v19
	v_and_b32_e32 v18, 0xfffff, v43
	v_add_u32_e32 v42, v18, v42
	v_mov_b32_e32 v43, v35
	v_cmp_ne_u32_e32 vcc, 0, v2
                                        ; implicit-def: $vgpr18
	s_and_saveexec_b64 s[18:19], vcc
	s_xor_b64 s[18:19], exec, s[18:19]
; %bb.2063:                             ;   in Loop: Header=BB2_1937 Depth=2
	v_cmp_lt_u64_e32 vcc, s[58:59], v[42:43]
	v_add_u32_e32 v18, 7, v19
	v_cndmask_b32_e32 v18, v2, v18, vcc
	v_cndmask_b32_e64 v2, 0, 1, vcc
	v_lshrrev_b64 v[42:43], v2, v[42:43]
; %bb.2064:                             ;   in Loop: Header=BB2_1937 Depth=2
	s_andn2_saveexec_b64 s[18:19], s[18:19]
; %bb.2065:                             ;   in Loop: Header=BB2_1937 Depth=2
	v_bfe_u32 v18, v42, 23, 1
; %bb.2066:                             ;   in Loop: Header=BB2_1937 Depth=2
	s_or_b64 exec, exec, s[18:19]
	v_lshrrev_b64 v[24:25], 20, v[42:43]
	v_cmp_gt_i32_e32 vcc, 16, v18
	v_cndmask_b32_e32 v25, 0, v25, vcc
	v_cndmask_b32_e32 v24, 7, v24, vcc
	v_min_i32_e32 v2, 15, v18
	v_cmp_eq_u64_e64 s[18:19], 0, v[24:25]
	v_lshlrev_b32_e32 v2, 3, v2
	v_cmp_eq_u32_e32 vcc, 0, v18
	v_and_b32_e32 v2, 0xf8, v2
	v_and_or_b32 v2, v24, 7, v2
	s_and_b64 s[18:19], vcc, s[18:19]
	v_cndmask_b32_e64 v2, v2, 0, s[18:19]
	v_or_b32_e32 v44, v2, v0
.LBB2_2067:                             ;   in Loop: Header=BB2_1937 Depth=2
	s_or_b64 exec, exec, s[90:91]
                                        ; implicit-def: $vgpr0
.LBB2_2068:                             ;   in Loop: Header=BB2_1937 Depth=2
	s_andn2_saveexec_b64 s[18:19], s[88:89]
; %bb.2069:                             ;   in Loop: Header=BB2_1937 Depth=2
	v_or_b32_e32 v44, 0x7e, v0
; %bb.2070:                             ;   in Loop: Header=BB2_1937 Depth=2
	s_or_b64 exec, exec, s[18:19]
                                        ; implicit-def: $vgpr18
.LBB2_2071:                             ;   in Loop: Header=BB2_1937 Depth=2
	s_andn2_saveexec_b64 s[18:19], s[78:79]
; %bb.2072:                             ;   in Loop: Header=BB2_1937 Depth=2
	v_or_b32_sdwa v44, v18, s50 dst_sel:DWORD dst_unused:UNUSED_PAD src0_sel:BYTE_3 src1_sel:DWORD
; %bb.2073:                             ;   in Loop: Header=BB2_1937 Depth=2
	s_or_b64 exec, exec, s[18:19]
	v_lshrrev_b16_e32 v30, 8, v34
	v_cmp_ne_u16_e32 vcc, 0, v30
	v_mov_b32_e32 v0, 0
	s_and_saveexec_b64 s[18:19], vcc
	s_cbranch_execz .LBB2_2079
; %bb.2074:                             ;   in Loop: Header=BB2_1937 Depth=2
	v_cmp_ne_u16_e32 vcc, s49, v30
	v_bfrev_b32_e32 v0, 1
	s_and_saveexec_b64 s[78:79], vcc
	s_cbranch_execz .LBB2_2078
; %bb.2075:                             ;   in Loop: Header=BB2_1937 Depth=2
	v_and_b32_e32 v2, 0x7f, v30
	v_cmp_ne_u32_e32 vcc, s50, v2
	v_mov_b32_e32 v0, 0x7f800001
	s_and_saveexec_b64 s[88:89], vcc
	s_cbranch_execz .LBB2_2077
; %bb.2076:                             ;   in Loop: Header=BB2_1937 Depth=2
	v_and_b32_e32 v0, 7, v30
	v_lshrrev_b32_e32 v24, 3, v2
	v_cmp_gt_u32_e32 vcc, 8, v2
	v_ffbh_u32_e32 v2, v0
	v_min_u32_e32 v2, 32, v2
	v_subrev_u32_e32 v18, 28, v2
	v_lshlrev_b64 v[18:19], v18, v[30:31]
	v_sub_u32_e32 v2, 29, v2
	v_and_b32_e32 v18, 7, v18
	v_cndmask_b32_e32 v2, v24, v2, vcc
	v_cndmask_b32_e32 v0, v0, v18, vcc
	v_lshlrev_b32_e32 v18, 16, v34
	v_lshlrev_b32_e32 v0, 20, v0
	v_and_b32_e32 v18, 0x80000000, v18
	v_lshl_add_u32 v2, v2, 23, v60
	v_or3_b32 v0, v18, v2, v0
.LBB2_2077:                             ;   in Loop: Header=BB2_1937 Depth=2
	s_or_b64 exec, exec, s[88:89]
.LBB2_2078:                             ;   in Loop: Header=BB2_1937 Depth=2
	s_or_b64 exec, exec, s[78:79]
.LBB2_2079:                             ;   in Loop: Header=BB2_1937 Depth=2
	s_or_b64 exec, exec, s[18:19]
	v_lshrrev_b16_e32 v34, 8, v41
	v_cmp_lt_i16_e32 vcc, s50, v34
	s_mov_b64 s[18:19], 0
	s_and_saveexec_b64 s[78:79], vcc
	s_xor_b64 s[78:79], exec, s[78:79]
	s_cbranch_execz .LBB2_2371
; %bb.2080:                             ;   in Loop: Header=BB2_1937 Depth=2
	v_cmp_eq_u16_e32 vcc, s49, v34
	s_mov_b64 s[18:19], -1
	s_and_saveexec_b64 s[88:89], vcc
; %bb.2081:                             ;   in Loop: Header=BB2_1937 Depth=2
	s_xor_b64 s[18:19], exec, -1
; %bb.2082:                             ;   in Loop: Header=BB2_1937 Depth=2
	s_or_b64 exec, exec, s[88:89]
	s_and_b64 s[18:19], s[18:19], exec
	s_or_saveexec_b64 s[78:79], s[78:79]
	v_bfrev_b32_e32 v2, 1
	s_xor_b64 exec, exec, s[78:79]
	s_cbranch_execnz .LBB2_2372
.LBB2_2083:                             ;   in Loop: Header=BB2_1937 Depth=2
	s_or_b64 exec, exec, s[78:79]
	s_and_saveexec_b64 s[78:79], s[18:19]
	s_cbranch_execz .LBB2_2085
.LBB2_2084:                             ;   in Loop: Header=BB2_1937 Depth=2
	v_and_b32_e32 v2, 7, v34
	v_ffbh_u32_e32 v18, v2
	v_min_u32_e32 v30, 32, v18
	v_subrev_u32_e32 v18, 28, v30
	v_lshlrev_b64 v[18:19], v18, v[34:35]
	v_and_b32_e32 v24, 0x7f, v34
	v_bfe_u32 v25, v34, 3, 4
	v_sub_u32_e32 v19, 29, v30
	v_and_b32_e32 v18, 7, v18
	v_cmp_gt_u32_e32 vcc, 8, v24
	v_cndmask_b32_e32 v19, v25, v19, vcc
	v_cndmask_b32_e32 v2, v2, v18, vcc
	v_lshlrev_b32_e32 v18, 24, v34
	v_lshlrev_b32_e32 v2, 20, v2
	v_and_b32_e32 v18, 0x80000000, v18
	v_lshl_add_u32 v19, v19, 23, v60
	v_or3_b32 v2, v18, v19, v2
	v_cmp_ne_u32_e32 vcc, s50, v24
	v_cndmask_b32_e32 v2, v61, v2, vcc
.LBB2_2085:                             ;   in Loop: Header=BB2_1937 Depth=2
	s_or_b64 exec, exec, s[78:79]
	v_add_f32_e32 v18, v0, v2
	v_and_b32_e32 v34, 0x7f800000, v18
	v_cmp_ne_u64_e32 vcc, s[46:47], v[34:35]
                                        ; implicit-def: $vgpr58
	s_and_saveexec_b64 s[18:19], vcc
	s_xor_b64 s[78:79], exec, s[18:19]
	s_cbranch_execz .LBB2_2099
; %bb.2086:                             ;   in Loop: Header=BB2_1937 Depth=2
	v_and_b32_e32 v34, 0x7fffffff, v18
	v_cmp_gt_u64_e32 vcc, s[56:57], v[34:35]
	v_and_b32_sdwa v0, v18, s49 dst_sel:DWORD dst_unused:UNUSED_PAD src0_sel:BYTE_3 src1_sel:DWORD
                                        ; implicit-def: $vgpr58
	s_and_saveexec_b64 s[18:19], vcc
	s_xor_b64 s[88:89], exec, s[18:19]
	s_cbranch_execz .LBB2_2096
; %bb.2087:                             ;   in Loop: Header=BB2_1937 Depth=2
	v_mov_b32_e32 v58, 0
	v_cmp_ne_u32_e32 vcc, 0, v18
	s_and_saveexec_b64 s[90:91], vcc
	s_cbranch_execz .LBB2_2095
; %bb.2088:                             ;   in Loop: Header=BB2_1937 Depth=2
	v_and_b32_e32 v19, 0x7fffff, v18
	v_bfe_u32 v18, v18, 23, 8
	v_cmp_gt_u32_e64 s[18:19], s51, v18
	v_sub_u32_e32 v2, 0x79, v18
	v_cmp_eq_u32_e32 vcc, 0, v18
	v_cndmask_b32_e64 v2, 0, v2, s[18:19]
	v_or_b32_e32 v24, 0x800000, v19
	v_cndmask_b32_e32 v2, v2, v62, vcc
	v_cndmask_b32_e32 v34, v24, v19, vcc
	v_add_u32_e32 v19, 20, v2
	v_lshlrev_b64 v[24:25], v19, -1
	v_add_u32_e32 v19, 19, v2
	v_lshlrev_b64 v[50:51], v19, 1
	v_lshrrev_b64 v[41:42], v2, v[34:35]
	v_bfi_b32 v25, v25, 0, 0
	v_bfi_b32 v24, v24, 0, v34
	v_cmp_eq_u64_e64 s[18:19], v[24:25], v[50:51]
	v_mov_b32_e32 v43, v42
	v_mov_b32_e32 v42, v41
	s_and_saveexec_b64 s[92:93], s[18:19]
; %bb.2089:                             ;   in Loop: Header=BB2_1937 Depth=2
	v_bfe_u32 v19, v41, 20, 1
	v_add_co_u32_e64 v19, s[18:19], v41, v19
	v_add_co_u32_e64 v42, s[18:19], -1, v19
; %bb.2090:                             ;   in Loop: Header=BB2_1937 Depth=2
	s_or_b64 exec, exec, s[92:93]
	v_add_u32_e32 v18, 0xffffff81, v18
	v_cndmask_b32_e32 v18, v18, v59, vcc
	v_lshrrev_b32_e32 v19, 23, v41
	v_add3_u32 v19, v2, v18, v19
	v_add_u32_e32 v2, 6, v19
	v_and_b32_e32 v18, 0xfffff, v42
	v_add_u32_e32 v34, v18, v41
	v_cmp_ne_u32_e32 vcc, 0, v2
                                        ; implicit-def: $vgpr41_vgpr42
                                        ; implicit-def: $vgpr18
	s_and_saveexec_b64 s[18:19], vcc
	s_xor_b64 s[18:19], exec, s[18:19]
; %bb.2091:                             ;   in Loop: Header=BB2_1937 Depth=2
	v_cmp_lt_u64_e32 vcc, s[58:59], v[34:35]
	v_add_u32_e32 v18, 7, v19
	v_cndmask_b32_e32 v18, v2, v18, vcc
	v_cndmask_b32_e64 v2, 0, 1, vcc
	v_lshrrev_b64 v[41:42], v2, v[34:35]
; %bb.2092:                             ;   in Loop: Header=BB2_1937 Depth=2
	s_andn2_saveexec_b64 s[18:19], s[18:19]
; %bb.2093:                             ;   in Loop: Header=BB2_1937 Depth=2
	v_mov_b32_e32 v42, v35
	v_bfe_u32 v18, v34, 23, 1
	v_mov_b32_e32 v41, v34
; %bb.2094:                             ;   in Loop: Header=BB2_1937 Depth=2
	s_or_b64 exec, exec, s[18:19]
	v_lshrrev_b64 v[24:25], 20, v[41:42]
	v_cmp_gt_i32_e32 vcc, 16, v18
	v_cndmask_b32_e32 v25, 0, v25, vcc
	v_cndmask_b32_e32 v24, 7, v24, vcc
	v_min_i32_e32 v2, 15, v18
	v_cmp_eq_u64_e64 s[18:19], 0, v[24:25]
	v_lshlrev_b32_e32 v2, 3, v2
	v_cmp_eq_u32_e32 vcc, 0, v18
	v_and_b32_e32 v2, 0xf8, v2
	v_and_or_b32 v2, v24, 7, v2
	s_and_b64 s[18:19], vcc, s[18:19]
	v_cndmask_b32_e64 v2, v2, 0, s[18:19]
	v_or_b32_e32 v58, v2, v0
.LBB2_2095:                             ;   in Loop: Header=BB2_1937 Depth=2
	s_or_b64 exec, exec, s[90:91]
                                        ; implicit-def: $vgpr0
.LBB2_2096:                             ;   in Loop: Header=BB2_1937 Depth=2
	s_andn2_saveexec_b64 s[18:19], s[88:89]
; %bb.2097:                             ;   in Loop: Header=BB2_1937 Depth=2
	v_or_b32_e32 v58, 0x7e, v0
; %bb.2098:                             ;   in Loop: Header=BB2_1937 Depth=2
	s_or_b64 exec, exec, s[18:19]
                                        ; implicit-def: $vgpr18
.LBB2_2099:                             ;   in Loop: Header=BB2_1937 Depth=2
	s_andn2_saveexec_b64 s[18:19], s[78:79]
; %bb.2100:                             ;   in Loop: Header=BB2_1937 Depth=2
	v_or_b32_sdwa v58, v18, s50 dst_sel:DWORD dst_unused:UNUSED_PAD src0_sel:BYTE_3 src1_sel:DWORD
; %bb.2101:                             ;   in Loop: Header=BB2_1937 Depth=2
	s_or_b64 exec, exec, s[18:19]
	v_lshrrev_b32_e32 v30, 16, v15
	v_cmp_ne_u16_sdwa s[78:79], v30, v35 src0_sel:BYTE_0 src1_sel:DWORD
	v_mov_b32_e32 v0, 0
	s_and_saveexec_b64 s[18:19], s[78:79]
	s_cbranch_execz .LBB2_2107
; %bb.2102:                             ;   in Loop: Header=BB2_1937 Depth=2
	v_cmp_ne_u16_sdwa s[88:89], v30, s49 src0_sel:BYTE_0 src1_sel:DWORD
	v_bfrev_b32_e32 v0, 1
	s_and_saveexec_b64 s[78:79], s[88:89]
	s_cbranch_execz .LBB2_2106
; %bb.2103:                             ;   in Loop: Header=BB2_1937 Depth=2
	v_bfe_u32 v2, v15, 16, 7
	v_cmp_ne_u32_e32 vcc, s50, v2
	v_mov_b32_e32 v0, 0x7f800001
	s_and_saveexec_b64 s[88:89], vcc
	s_cbranch_execz .LBB2_2105
; %bb.2104:                             ;   in Loop: Header=BB2_1937 Depth=2
	v_and_b32_e32 v0, 7, v30
	v_lshrrev_b32_e32 v24, 3, v2
	v_cmp_gt_u32_e32 vcc, 8, v2
	v_ffbh_u32_e32 v2, v0
	v_min_u32_e32 v2, 32, v2
	v_subrev_u32_e32 v18, 28, v2
	v_lshlrev_b64 v[18:19], v18, v[30:31]
	v_sub_u32_e32 v2, 29, v2
	v_and_b32_e32 v18, 7, v18
	v_cndmask_b32_e32 v2, v24, v2, vcc
	v_cndmask_b32_e32 v0, v0, v18, vcc
	v_lshlrev_b32_e32 v18, 24, v30
	v_lshlrev_b32_e32 v0, 20, v0
	v_and_b32_e32 v18, 0x80000000, v18
	v_lshl_add_u32 v2, v2, 23, v60
	v_or3_b32 v0, v18, v2, v0
.LBB2_2105:                             ;   in Loop: Header=BB2_1937 Depth=2
	s_or_b64 exec, exec, s[88:89]
.LBB2_2106:                             ;   in Loop: Header=BB2_1937 Depth=2
	s_or_b64 exec, exec, s[78:79]
.LBB2_2107:                             ;   in Loop: Header=BB2_1937 Depth=2
	s_or_b64 exec, exec, s[18:19]
	v_lshrrev_b32_e32 v30, 16, v11
	v_cmp_gt_i16_sdwa s[78:79], v30, s50 src0_sel:BYTE_0 src1_sel:DWORD
	s_mov_b64 s[18:19], 0
	s_and_saveexec_b64 s[88:89], s[78:79]
	s_xor_b64 s[78:79], exec, s[88:89]
	s_cbranch_execz .LBB2_2373
; %bb.2108:                             ;   in Loop: Header=BB2_1937 Depth=2
	v_cmp_eq_u16_sdwa s[90:91], v30, s49 src0_sel:BYTE_0 src1_sel:DWORD
	s_mov_b64 s[18:19], -1
	s_and_saveexec_b64 s[88:89], s[90:91]
; %bb.2109:                             ;   in Loop: Header=BB2_1937 Depth=2
	s_xor_b64 s[18:19], exec, -1
; %bb.2110:                             ;   in Loop: Header=BB2_1937 Depth=2
	s_or_b64 exec, exec, s[88:89]
	s_and_b64 s[18:19], s[18:19], exec
	s_or_saveexec_b64 s[78:79], s[78:79]
	v_bfrev_b32_e32 v2, 1
	s_xor_b64 exec, exec, s[78:79]
	s_cbranch_execnz .LBB2_2374
.LBB2_2111:                             ;   in Loop: Header=BB2_1937 Depth=2
	s_or_b64 exec, exec, s[78:79]
	s_and_saveexec_b64 s[78:79], s[18:19]
	s_cbranch_execz .LBB2_2113
.LBB2_2112:                             ;   in Loop: Header=BB2_1937 Depth=2
	v_and_b32_e32 v2, 7, v30
	v_ffbh_u32_e32 v18, v2
	v_min_u32_e32 v34, 32, v18
	v_subrev_u32_e32 v18, 28, v34
	v_lshlrev_b64 v[18:19], v18, v[30:31]
	v_and_b32_e32 v24, 0x7f, v30
	v_bfe_u32 v25, v30, 3, 4
	v_sub_u32_e32 v19, 29, v34
	v_and_b32_e32 v18, 7, v18
	v_cmp_gt_u32_e32 vcc, 8, v24
	v_cndmask_b32_e32 v19, v25, v19, vcc
	v_cndmask_b32_e32 v2, v2, v18, vcc
	v_lshlrev_b32_e32 v18, 24, v30
	v_lshlrev_b32_e32 v2, 20, v2
	v_and_b32_e32 v18, 0x80000000, v18
	v_lshl_add_u32 v19, v19, 23, v60
	v_or3_b32 v2, v18, v19, v2
	v_cmp_ne_u32_e32 vcc, s50, v24
	v_cndmask_b32_e32 v2, v61, v2, vcc
.LBB2_2113:                             ;   in Loop: Header=BB2_1937 Depth=2
	s_or_b64 exec, exec, s[78:79]
	v_add_f32_e32 v18, v0, v2
	v_and_b32_e32 v34, 0x7f800000, v18
	v_cmp_ne_u64_e32 vcc, s[46:47], v[34:35]
                                        ; implicit-def: $vgpr30
	s_and_saveexec_b64 s[18:19], vcc
	s_xor_b64 s[78:79], exec, s[18:19]
	s_cbranch_execz .LBB2_2127
; %bb.2114:                             ;   in Loop: Header=BB2_1937 Depth=2
	v_and_b32_e32 v34, 0x7fffffff, v18
	v_cmp_gt_u64_e32 vcc, s[56:57], v[34:35]
	v_and_b32_sdwa v0, v18, s49 dst_sel:DWORD dst_unused:UNUSED_PAD src0_sel:BYTE_3 src1_sel:DWORD
                                        ; implicit-def: $vgpr30
	s_and_saveexec_b64 s[18:19], vcc
	s_xor_b64 s[88:89], exec, s[18:19]
	s_cbranch_execz .LBB2_2124
; %bb.2115:                             ;   in Loop: Header=BB2_1937 Depth=2
	v_mov_b32_e32 v30, 0
	v_cmp_ne_u32_e32 vcc, 0, v18
	s_and_saveexec_b64 s[90:91], vcc
	s_cbranch_execz .LBB2_2123
; %bb.2116:                             ;   in Loop: Header=BB2_1937 Depth=2
	v_and_b32_e32 v19, 0x7fffff, v18
	v_bfe_u32 v18, v18, 23, 8
	v_cmp_gt_u32_e64 s[18:19], s51, v18
	v_sub_u32_e32 v2, 0x79, v18
	v_cmp_eq_u32_e32 vcc, 0, v18
	v_cndmask_b32_e64 v2, 0, v2, s[18:19]
	v_or_b32_e32 v24, 0x800000, v19
	v_cndmask_b32_e32 v2, v2, v62, vcc
	v_cndmask_b32_e32 v34, v24, v19, vcc
	v_add_u32_e32 v19, 20, v2
	v_lshlrev_b64 v[24:25], v19, -1
	v_add_u32_e32 v19, 19, v2
	v_lshlrev_b64 v[50:51], v19, 1
	v_lshrrev_b64 v[41:42], v2, v[34:35]
	v_bfi_b32 v25, v25, 0, 0
	v_bfi_b32 v24, v24, 0, v34
	v_cmp_eq_u64_e64 s[18:19], v[24:25], v[50:51]
	v_mov_b32_e32 v43, v42
	v_mov_b32_e32 v42, v41
	s_and_saveexec_b64 s[92:93], s[18:19]
; %bb.2117:                             ;   in Loop: Header=BB2_1937 Depth=2
	v_bfe_u32 v19, v41, 20, 1
	v_add_co_u32_e64 v19, s[18:19], v41, v19
	v_add_co_u32_e64 v42, s[18:19], -1, v19
; %bb.2118:                             ;   in Loop: Header=BB2_1937 Depth=2
	s_or_b64 exec, exec, s[92:93]
	v_add_u32_e32 v18, 0xffffff81, v18
	v_cndmask_b32_e32 v18, v18, v59, vcc
	v_lshrrev_b32_e32 v19, 23, v41
	v_add3_u32 v19, v2, v18, v19
	v_add_u32_e32 v2, 6, v19
	v_and_b32_e32 v18, 0xfffff, v42
	v_add_u32_e32 v34, v18, v41
	v_cmp_ne_u32_e32 vcc, 0, v2
                                        ; implicit-def: $vgpr41_vgpr42
                                        ; implicit-def: $vgpr18
	s_and_saveexec_b64 s[18:19], vcc
	s_xor_b64 s[18:19], exec, s[18:19]
; %bb.2119:                             ;   in Loop: Header=BB2_1937 Depth=2
	v_cmp_lt_u64_e32 vcc, s[58:59], v[34:35]
	v_add_u32_e32 v18, 7, v19
	v_cndmask_b32_e32 v18, v2, v18, vcc
	v_cndmask_b32_e64 v2, 0, 1, vcc
	v_lshrrev_b64 v[41:42], v2, v[34:35]
; %bb.2120:                             ;   in Loop: Header=BB2_1937 Depth=2
	s_andn2_saveexec_b64 s[18:19], s[18:19]
; %bb.2121:                             ;   in Loop: Header=BB2_1937 Depth=2
	v_mov_b32_e32 v42, v35
	v_bfe_u32 v18, v34, 23, 1
	v_mov_b32_e32 v41, v34
; %bb.2122:                             ;   in Loop: Header=BB2_1937 Depth=2
	s_or_b64 exec, exec, s[18:19]
	v_lshrrev_b64 v[24:25], 20, v[41:42]
	v_cmp_gt_i32_e32 vcc, 16, v18
	v_cndmask_b32_e32 v25, 0, v25, vcc
	v_cndmask_b32_e32 v24, 7, v24, vcc
	v_min_i32_e32 v2, 15, v18
	v_cmp_eq_u64_e64 s[18:19], 0, v[24:25]
	v_lshlrev_b32_e32 v2, 3, v2
	v_cmp_eq_u32_e32 vcc, 0, v18
	v_and_b32_e32 v2, 0xf8, v2
	v_and_or_b32 v2, v24, 7, v2
	s_and_b64 s[18:19], vcc, s[18:19]
	v_cndmask_b32_e64 v2, v2, 0, s[18:19]
	v_or_b32_e32 v30, v2, v0
.LBB2_2123:                             ;   in Loop: Header=BB2_1937 Depth=2
	s_or_b64 exec, exec, s[90:91]
                                        ; implicit-def: $vgpr0
.LBB2_2124:                             ;   in Loop: Header=BB2_1937 Depth=2
	s_andn2_saveexec_b64 s[18:19], s[88:89]
; %bb.2125:                             ;   in Loop: Header=BB2_1937 Depth=2
	v_or_b32_e32 v30, 0x7e, v0
; %bb.2126:                             ;   in Loop: Header=BB2_1937 Depth=2
	s_or_b64 exec, exec, s[18:19]
                                        ; implicit-def: $vgpr18
.LBB2_2127:                             ;   in Loop: Header=BB2_1937 Depth=2
	s_andn2_saveexec_b64 s[18:19], s[78:79]
; %bb.2128:                             ;   in Loop: Header=BB2_1937 Depth=2
	v_or_b32_sdwa v30, v18, s50 dst_sel:DWORD dst_unused:UNUSED_PAD src0_sel:BYTE_3 src1_sel:DWORD
; %bb.2129:                             ;   in Loop: Header=BB2_1937 Depth=2
	s_or_b64 exec, exec, s[18:19]
	v_cmp_lt_u64_e32 vcc, s[60:61], v[14:15]
	v_mov_b32_e32 v0, 0
	s_and_saveexec_b64 s[18:19], vcc
	s_cbranch_execz .LBB2_2135
; %bb.2130:                             ;   in Loop: Header=BB2_1937 Depth=2
	v_lshrrev_b32_e32 v14, 24, v15
	v_cmp_ne_u32_e32 vcc, s49, v14
	v_bfrev_b32_e32 v0, 1
	s_and_saveexec_b64 s[78:79], vcc
	s_cbranch_execz .LBB2_2134
; %bb.2131:                             ;   in Loop: Header=BB2_1937 Depth=2
	v_bfe_u32 v2, v15, 24, 7
	v_cmp_ne_u32_e32 vcc, s50, v2
	v_mov_b32_e32 v0, 0x7f800001
	s_and_saveexec_b64 s[88:89], vcc
	s_cbranch_execz .LBB2_2133
; %bb.2132:                             ;   in Loop: Header=BB2_1937 Depth=2
	v_and_b32_e32 v0, 7, v14
	v_lshrrev_b32_e32 v15, 3, v2
	v_cmp_gt_u32_e32 vcc, 8, v2
	v_ffbh_u32_e32 v2, v0
	v_min_u32_e32 v2, 32, v2
	v_subrev_u32_e32 v18, 28, v2
	v_lshlrev_b64 v[18:19], v18, v[14:15]
	v_sub_u32_e32 v2, 29, v2
	v_and_b32_e32 v18, 7, v18
	v_cndmask_b32_e32 v2, v15, v2, vcc
	v_cndmask_b32_e32 v0, v0, v18, vcc
	v_lshlrev_b32_e32 v14, 24, v14
	v_lshlrev_b32_e32 v0, 20, v0
	v_and_b32_e32 v14, 0x80000000, v14
	v_lshl_add_u32 v2, v2, 23, v60
	v_or3_b32 v0, v14, v2, v0
.LBB2_2133:                             ;   in Loop: Header=BB2_1937 Depth=2
	s_or_b64 exec, exec, s[88:89]
.LBB2_2134:                             ;   in Loop: Header=BB2_1937 Depth=2
	s_or_b64 exec, exec, s[78:79]
.LBB2_2135:                             ;   in Loop: Header=BB2_1937 Depth=2
	s_or_b64 exec, exec, s[18:19]
	v_bfe_u32 v18, v11, 24, 3
	v_ffbh_u32_e32 v14, v18
	v_min_u32_e32 v25, 32, v14
	v_lshrrev_b32_e32 v2, 24, v11
	v_subrev_u32_e32 v14, 28, v25
	v_lshlrev_b64 v[14:15], v14, v[2:3]
	v_bfe_u32 v19, v11, 24, 7
	v_bfe_u32 v24, v2, 3, 4
	v_sub_u32_e32 v15, 29, v25
	v_and_b32_e32 v14, 7, v14
	v_cmp_gt_u32_e32 vcc, 8, v19
	v_cndmask_b32_e32 v15, v24, v15, vcc
	v_cndmask_b32_e32 v14, v18, v14, vcc
	v_lshlrev_b32_e32 v14, 20, v14
	v_and_b32_e32 v18, 0x80000000, v11
	v_lshl_add_u32 v15, v15, 23, v60
	v_or3_b32 v14, v18, v15, v14
	v_cmp_ne_u32_e32 vcc, s50, v19
	v_cndmask_b32_e32 v14, v61, v14, vcc
	v_cmp_ne_u32_e32 vcc, s49, v2
	v_cndmask_b32_e32 v2, v45, v14, vcc
	v_cmp_lt_u64_e32 vcc, s[60:61], v[10:11]
                                        ; implicit-def: $vgpr43
	v_cndmask_b32_e32 v2, 0, v2, vcc
	v_add_f32_e32 v10, v2, v0
	v_and_b32_e32 v34, 0x7f800000, v10
	v_cmp_ne_u64_e32 vcc, s[46:47], v[34:35]
	s_and_saveexec_b64 s[18:19], vcc
	s_xor_b64 s[78:79], exec, s[18:19]
	s_cbranch_execz .LBB2_2149
; %bb.2136:                             ;   in Loop: Header=BB2_1937 Depth=2
	v_and_b32_e32 v34, 0x7fffffff, v10
	v_cmp_gt_u64_e32 vcc, s[56:57], v[34:35]
	v_and_b32_sdwa v0, v10, s49 dst_sel:DWORD dst_unused:UNUSED_PAD src0_sel:BYTE_3 src1_sel:DWORD
                                        ; implicit-def: $vgpr43
	s_and_saveexec_b64 s[18:19], vcc
	s_xor_b64 s[88:89], exec, s[18:19]
	s_cbranch_execz .LBB2_2146
; %bb.2137:                             ;   in Loop: Header=BB2_1937 Depth=2
	v_mov_b32_e32 v43, 0
	v_cmp_ne_u32_e32 vcc, 0, v10
	s_and_saveexec_b64 s[90:91], vcc
	s_cbranch_execz .LBB2_2145
; %bb.2138:                             ;   in Loop: Header=BB2_1937 Depth=2
	v_bfe_u32 v18, v10, 23, 8
	v_cmp_gt_u32_e64 s[18:19], s51, v18
	v_sub_u32_e32 v2, 0x79, v18
	v_and_b32_e32 v11, 0x7fffff, v10
	v_cmp_eq_u32_e32 vcc, 0, v18
	v_cndmask_b32_e64 v2, 0, v2, s[18:19]
	v_or_b32_e32 v10, 0x800000, v11
	v_cndmask_b32_e32 v2, v2, v62, vcc
	v_cndmask_b32_e32 v34, v10, v11, vcc
	v_add_u32_e32 v10, 20, v2
	v_lshlrev_b64 v[10:11], v10, -1
	v_add_u32_e32 v14, 19, v2
	v_lshlrev_b64 v[14:15], v14, 1
	v_bfi_b32 v11, v11, 0, 0
	v_bfi_b32 v10, v10, 0, v34
	v_cmp_eq_u64_e64 s[18:19], v[10:11], v[14:15]
	v_lshrrev_b64 v[10:11], v2, v[34:35]
	v_mov_b32_e32 v15, v11
	v_mov_b32_e32 v14, v10
	s_and_saveexec_b64 s[92:93], s[18:19]
; %bb.2139:                             ;   in Loop: Header=BB2_1937 Depth=2
	v_bfe_u32 v11, v10, 20, 1
	v_add_co_u32_e64 v11, s[18:19], v10, v11
	v_add_co_u32_e64 v14, s[18:19], -1, v11
; %bb.2140:                             ;   in Loop: Header=BB2_1937 Depth=2
	s_or_b64 exec, exec, s[92:93]
	v_add_u32_e32 v11, 0xffffff81, v18
	v_cndmask_b32_e32 v11, v11, v59, vcc
	v_lshrrev_b32_e32 v15, 23, v10
	v_add3_u32 v15, v2, v11, v15
	v_add_u32_e32 v2, 6, v15
	v_and_b32_e32 v11, 0xfffff, v14
	v_add_u32_e32 v34, v11, v10
	v_cmp_ne_u32_e32 vcc, 0, v2
                                        ; implicit-def: $vgpr10_vgpr11
                                        ; implicit-def: $vgpr14
	s_and_saveexec_b64 s[18:19], vcc
	s_xor_b64 s[18:19], exec, s[18:19]
; %bb.2141:                             ;   in Loop: Header=BB2_1937 Depth=2
	v_cmp_lt_u64_e32 vcc, s[58:59], v[34:35]
	v_add_u32_e32 v10, 7, v15
	v_cndmask_b32_e32 v14, v2, v10, vcc
	v_cndmask_b32_e64 v2, 0, 1, vcc
	v_lshrrev_b64 v[10:11], v2, v[34:35]
; %bb.2142:                             ;   in Loop: Header=BB2_1937 Depth=2
	s_andn2_saveexec_b64 s[18:19], s[18:19]
; %bb.2143:                             ;   in Loop: Header=BB2_1937 Depth=2
	v_mov_b32_e32 v10, v34
	v_bfe_u32 v14, v34, 23, 1
	v_mov_b32_e32 v11, v35
; %bb.2144:                             ;   in Loop: Header=BB2_1937 Depth=2
	s_or_b64 exec, exec, s[18:19]
	v_lshrrev_b64 v[10:11], 20, v[10:11]
	v_cmp_gt_i32_e32 vcc, 16, v14
	v_cndmask_b32_e32 v11, 0, v11, vcc
	v_cndmask_b32_e32 v10, 7, v10, vcc
	v_min_i32_e32 v2, 15, v14
	v_cmp_eq_u64_e64 s[18:19], 0, v[10:11]
	v_lshlrev_b32_e32 v2, 3, v2
	v_cmp_eq_u32_e32 vcc, 0, v14
	v_and_b32_e32 v2, 0xf8, v2
	v_and_or_b32 v2, v10, 7, v2
	s_and_b64 s[18:19], vcc, s[18:19]
	v_cndmask_b32_e64 v2, v2, 0, s[18:19]
	v_or_b32_e32 v43, v2, v0
.LBB2_2145:                             ;   in Loop: Header=BB2_1937 Depth=2
	s_or_b64 exec, exec, s[90:91]
                                        ; implicit-def: $vgpr0
.LBB2_2146:                             ;   in Loop: Header=BB2_1937 Depth=2
	s_andn2_saveexec_b64 s[18:19], s[88:89]
; %bb.2147:                             ;   in Loop: Header=BB2_1937 Depth=2
	v_or_b32_e32 v43, 0x7e, v0
; %bb.2148:                             ;   in Loop: Header=BB2_1937 Depth=2
	s_or_b64 exec, exec, s[18:19]
                                        ; implicit-def: $vgpr10
.LBB2_2149:                             ;   in Loop: Header=BB2_1937 Depth=2
	s_andn2_saveexec_b64 s[18:19], s[78:79]
; %bb.2150:                             ;   in Loop: Header=BB2_1937 Depth=2
	v_or_b32_sdwa v43, v10, s50 dst_sel:DWORD dst_unused:UNUSED_PAD src0_sel:BYTE_3 src1_sel:DWORD
; %bb.2151:                             ;   in Loop: Header=BB2_1937 Depth=2
	s_or_b64 exec, exec, s[18:19]
	v_cmp_ne_u16_sdwa s[78:79], v16, v35 src0_sel:BYTE_0 src1_sel:DWORD
	v_mov_b32_e32 v0, 0
	s_and_saveexec_b64 s[18:19], s[78:79]
	s_cbranch_execz .LBB2_2157
; %bb.2152:                             ;   in Loop: Header=BB2_1937 Depth=2
	v_cmp_ne_u16_sdwa s[88:89], v16, s49 src0_sel:BYTE_0 src1_sel:DWORD
	v_bfrev_b32_e32 v0, 1
	s_and_saveexec_b64 s[78:79], s[88:89]
	s_cbranch_execz .LBB2_2156
; %bb.2153:                             ;   in Loop: Header=BB2_1937 Depth=2
	v_and_b32_e32 v2, 0x7f, v16
	v_cmp_ne_u32_e32 vcc, s50, v2
	v_mov_b32_e32 v0, 0x7f800001
	s_and_saveexec_b64 s[88:89], vcc
	s_cbranch_execz .LBB2_2155
; %bb.2154:                             ;   in Loop: Header=BB2_1937 Depth=2
	v_and_b32_e32 v0, 7, v16
	v_ffbh_u32_e32 v0, v0
	v_min_u32_e32 v0, 32, v0
	v_lshrrev_b32_e32 v10, 3, v2
	v_cmp_gt_u32_e32 vcc, 8, v2
	v_subrev_u32_e32 v2, 28, v0
	v_sub_u32_e32 v0, 29, v0
	v_cndmask_b32_e32 v2, 0, v2, vcc
	v_cndmask_b32_e32 v0, v10, v0, vcc
	v_lshlrev_b64 v[10:11], v2, v[16:17]
	v_lshl_add_u32 v0, v0, 23, v60
	v_lshlrev_b32_e32 v2, 20, v10
	v_lshlrev_b32_e32 v10, 24, v16
	v_and_b32_e32 v2, 0x700000, v2
	v_and_b32_e32 v10, 0x80000000, v10
	v_or3_b32 v0, v10, v0, v2
.LBB2_2155:                             ;   in Loop: Header=BB2_1937 Depth=2
	s_or_b64 exec, exec, s[88:89]
.LBB2_2156:                             ;   in Loop: Header=BB2_1937 Depth=2
	s_or_b64 exec, exec, s[78:79]
.LBB2_2157:                             ;   in Loop: Header=BB2_1937 Depth=2
	s_or_b64 exec, exec, s[18:19]
	v_cmp_gt_i16_sdwa s[78:79], v12, s50 src0_sel:BYTE_0 src1_sel:DWORD
	s_mov_b64 s[18:19], 0
	s_and_saveexec_b64 s[88:89], s[78:79]
	s_xor_b64 s[78:79], exec, s[88:89]
	s_cbranch_execz .LBB2_2375
; %bb.2158:                             ;   in Loop: Header=BB2_1937 Depth=2
	v_cmp_eq_u16_sdwa s[90:91], v12, s49 src0_sel:BYTE_0 src1_sel:DWORD
	s_mov_b64 s[18:19], -1
	s_and_saveexec_b64 s[88:89], s[90:91]
; %bb.2159:                             ;   in Loop: Header=BB2_1937 Depth=2
	s_xor_b64 s[18:19], exec, -1
; %bb.2160:                             ;   in Loop: Header=BB2_1937 Depth=2
	s_or_b64 exec, exec, s[88:89]
	s_and_b64 s[18:19], s[18:19], exec
	s_or_saveexec_b64 s[78:79], s[78:79]
	v_bfrev_b32_e32 v2, 1
	s_xor_b64 exec, exec, s[78:79]
	s_cbranch_execnz .LBB2_2376
.LBB2_2161:                             ;   in Loop: Header=BB2_1937 Depth=2
	s_or_b64 exec, exec, s[78:79]
	s_and_saveexec_b64 s[78:79], s[18:19]
	s_cbranch_execz .LBB2_2163
.LBB2_2162:                             ;   in Loop: Header=BB2_1937 Depth=2
	v_and_b32_e32 v2, 7, v12
	v_ffbh_u32_e32 v2, v2
	v_and_b32_e32 v14, 0x7f, v12
	v_min_u32_e32 v2, 32, v2
	v_bfe_u32 v10, v12, 3, 4
	v_subrev_u32_e32 v11, 28, v2
	v_sub_u32_e32 v2, 29, v2
	v_cmp_gt_u32_e32 vcc, 8, v14
	v_cndmask_b32_e32 v2, v10, v2, vcc
	v_cndmask_b32_e32 v10, 0, v11, vcc
	v_lshlrev_b64 v[10:11], v10, v[12:13]
	v_lshlrev_b32_e32 v11, 24, v12
	v_lshlrev_b32_e32 v10, 20, v10
	v_and_b32_e32 v10, 0x700000, v10
	v_and_b32_e32 v11, 0x80000000, v11
	v_lshl_add_u32 v2, v2, 23, v60
	v_or3_b32 v2, v11, v2, v10
	v_cmp_ne_u32_e32 vcc, s50, v14
	v_cndmask_b32_e32 v2, v61, v2, vcc
.LBB2_2163:                             ;   in Loop: Header=BB2_1937 Depth=2
	s_or_b64 exec, exec, s[78:79]
	v_add_f32_e32 v10, v0, v2
	v_and_b32_e32 v34, 0x7f800000, v10
	v_cmp_ne_u64_e32 vcc, s[46:47], v[34:35]
                                        ; implicit-def: $vgpr0
	s_and_saveexec_b64 s[18:19], vcc
	s_xor_b64 s[78:79], exec, s[18:19]
	s_cbranch_execz .LBB2_2177
; %bb.2164:                             ;   in Loop: Header=BB2_1937 Depth=2
	v_and_b32_e32 v34, 0x7fffffff, v10
	v_cmp_gt_u64_e32 vcc, s[56:57], v[34:35]
	v_and_b32_sdwa v18, v10, s49 dst_sel:DWORD dst_unused:UNUSED_PAD src0_sel:BYTE_3 src1_sel:DWORD
                                        ; implicit-def: $vgpr0
	s_and_saveexec_b64 s[18:19], vcc
	s_xor_b64 s[88:89], exec, s[18:19]
	s_cbranch_execz .LBB2_2174
; %bb.2165:                             ;   in Loop: Header=BB2_1937 Depth=2
	v_mov_b32_e32 v0, 0
	v_cmp_ne_u32_e32 vcc, 0, v10
	s_and_saveexec_b64 s[90:91], vcc
	s_cbranch_execz .LBB2_2173
; %bb.2166:                             ;   in Loop: Header=BB2_1937 Depth=2
	v_bfe_u32 v0, v10, 23, 8
	v_cmp_gt_u32_e64 s[18:19], s51, v0
	v_sub_u32_e32 v2, 0x79, v0
	v_and_b32_e32 v11, 0x7fffff, v10
	v_cmp_eq_u32_e32 vcc, 0, v0
	v_cndmask_b32_e64 v2, 0, v2, s[18:19]
	v_or_b32_e32 v10, 0x800000, v11
	v_cndmask_b32_e32 v2, v2, v62, vcc
	v_cndmask_b32_e32 v34, v10, v11, vcc
	v_add_u32_e32 v10, 20, v2
	v_lshlrev_b64 v[10:11], v10, -1
	v_add_u32_e32 v14, 19, v2
	v_lshlrev_b64 v[14:15], v14, 1
	v_bfi_b32 v11, v11, 0, 0
	v_bfi_b32 v10, v10, 0, v34
	v_cmp_eq_u64_e64 s[18:19], v[10:11], v[14:15]
	v_lshrrev_b64 v[10:11], v2, v[34:35]
	v_mov_b32_e32 v15, v11
	v_mov_b32_e32 v14, v10
	s_and_saveexec_b64 s[92:93], s[18:19]
; %bb.2167:                             ;   in Loop: Header=BB2_1937 Depth=2
	v_bfe_u32 v11, v10, 20, 1
	v_add_co_u32_e64 v11, s[18:19], v10, v11
	v_add_co_u32_e64 v14, s[18:19], -1, v11
; %bb.2168:                             ;   in Loop: Header=BB2_1937 Depth=2
	s_or_b64 exec, exec, s[92:93]
	v_add_u32_e32 v0, 0xffffff81, v0
	v_cndmask_b32_e32 v0, v0, v59, vcc
	v_lshrrev_b32_e32 v11, 23, v10
	v_add3_u32 v15, v2, v0, v11
	v_add_u32_e32 v2, 6, v15
	v_and_b32_e32 v0, 0xfffff, v14
	v_add_u32_e32 v34, v0, v10
	v_cmp_ne_u32_e32 vcc, 0, v2
                                        ; implicit-def: $vgpr10_vgpr11
                                        ; implicit-def: $vgpr0
	s_and_saveexec_b64 s[18:19], vcc
	s_xor_b64 s[18:19], exec, s[18:19]
; %bb.2169:                             ;   in Loop: Header=BB2_1937 Depth=2
	v_cmp_lt_u64_e32 vcc, s[58:59], v[34:35]
	v_add_u32_e32 v0, 7, v15
	v_cndmask_b32_e32 v0, v2, v0, vcc
	v_cndmask_b32_e64 v2, 0, 1, vcc
	v_lshrrev_b64 v[10:11], v2, v[34:35]
; %bb.2170:                             ;   in Loop: Header=BB2_1937 Depth=2
	s_andn2_saveexec_b64 s[18:19], s[18:19]
; %bb.2171:                             ;   in Loop: Header=BB2_1937 Depth=2
	v_mov_b32_e32 v10, v34
	v_bfe_u32 v0, v34, 23, 1
	v_mov_b32_e32 v11, v35
; %bb.2172:                             ;   in Loop: Header=BB2_1937 Depth=2
	s_or_b64 exec, exec, s[18:19]
	v_lshrrev_b64 v[10:11], 20, v[10:11]
	v_cmp_gt_i32_e32 vcc, 16, v0
	v_cndmask_b32_e32 v11, 0, v11, vcc
	v_cndmask_b32_e32 v10, 7, v10, vcc
	v_cmp_eq_u32_e32 vcc, 0, v0
	v_min_i32_e32 v0, 15, v0
	v_cmp_eq_u64_e64 s[18:19], 0, v[10:11]
	v_lshlrev_b32_e32 v0, 3, v0
	v_and_b32_e32 v0, 0xf8, v0
	v_and_or_b32 v0, v10, 7, v0
	s_and_b64 s[18:19], vcc, s[18:19]
	v_cndmask_b32_e64 v0, v0, 0, s[18:19]
	v_or_b32_e32 v0, v0, v18
.LBB2_2173:                             ;   in Loop: Header=BB2_1937 Depth=2
	s_or_b64 exec, exec, s[90:91]
                                        ; implicit-def: $vgpr18
.LBB2_2174:                             ;   in Loop: Header=BB2_1937 Depth=2
	s_andn2_saveexec_b64 s[18:19], s[88:89]
; %bb.2175:                             ;   in Loop: Header=BB2_1937 Depth=2
	v_or_b32_e32 v0, 0x7e, v18
; %bb.2176:                             ;   in Loop: Header=BB2_1937 Depth=2
	s_or_b64 exec, exec, s[18:19]
                                        ; implicit-def: $vgpr10
.LBB2_2177:                             ;   in Loop: Header=BB2_1937 Depth=2
	s_andn2_saveexec_b64 s[18:19], s[78:79]
; %bb.2178:                             ;   in Loop: Header=BB2_1937 Depth=2
	v_or_b32_sdwa v0, v10, s50 dst_sel:DWORD dst_unused:UNUSED_PAD src0_sel:BYTE_3 src1_sel:DWORD
; %bb.2179:                             ;   in Loop: Header=BB2_1937 Depth=2
	s_or_b64 exec, exec, s[18:19]
	v_lshrrev_b16_e32 v10, 8, v16
	v_cmp_ne_u16_e32 vcc, 0, v10
	v_mov_b32_e32 v11, 0
	s_and_saveexec_b64 s[18:19], vcc
	s_cbranch_execz .LBB2_2185
; %bb.2180:                             ;   in Loop: Header=BB2_1937 Depth=2
	v_cmp_ne_u16_e32 vcc, s49, v10
	v_bfrev_b32_e32 v11, 1
	s_and_saveexec_b64 s[78:79], vcc
	s_cbranch_execz .LBB2_2184
; %bb.2181:                             ;   in Loop: Header=BB2_1937 Depth=2
	v_and_b32_e32 v2, 0x7f, v10
	v_cmp_ne_u32_e32 vcc, s50, v2
	v_mov_b32_e32 v11, 0x7f800001
	s_and_saveexec_b64 s[88:89], vcc
	s_cbranch_execz .LBB2_2183
; %bb.2182:                             ;   in Loop: Header=BB2_1937 Depth=2
	v_and_b32_e32 v14, 7, v10
	v_lshrrev_b32_e32 v15, 3, v2
	v_cmp_gt_u32_e32 vcc, 8, v2
	v_ffbh_u32_e32 v2, v14
	v_min_u32_e32 v2, 32, v2
	v_subrev_u32_e32 v11, 28, v2
	v_lshlrev_b64 v[10:11], v11, v[10:11]
	v_sub_u32_e32 v2, 29, v2
	v_and_b32_e32 v10, 7, v10
	v_cndmask_b32_e32 v2, v15, v2, vcc
	v_cndmask_b32_e32 v10, v14, v10, vcc
	v_lshlrev_b32_e32 v11, 16, v16
	v_lshlrev_b32_e32 v10, 20, v10
	v_and_b32_e32 v11, 0x80000000, v11
	v_lshl_add_u32 v2, v2, 23, v60
	v_or3_b32 v11, v11, v2, v10
.LBB2_2183:                             ;   in Loop: Header=BB2_1937 Depth=2
	s_or_b64 exec, exec, s[88:89]
.LBB2_2184:                             ;   in Loop: Header=BB2_1937 Depth=2
	s_or_b64 exec, exec, s[78:79]
.LBB2_2185:                             ;   in Loop: Header=BB2_1937 Depth=2
	s_or_b64 exec, exec, s[18:19]
	v_lshrrev_b16_e32 v34, 8, v12
	v_cmp_lt_i16_e32 vcc, s50, v34
	s_mov_b64 s[18:19], 0
	s_and_saveexec_b64 s[78:79], vcc
	s_xor_b64 s[78:79], exec, s[78:79]
	s_cbranch_execz .LBB2_2377
; %bb.2186:                             ;   in Loop: Header=BB2_1937 Depth=2
	v_cmp_eq_u16_e32 vcc, s49, v34
	s_mov_b64 s[18:19], -1
	s_and_saveexec_b64 s[88:89], vcc
; %bb.2187:                             ;   in Loop: Header=BB2_1937 Depth=2
	s_xor_b64 s[18:19], exec, -1
; %bb.2188:                             ;   in Loop: Header=BB2_1937 Depth=2
	s_or_b64 exec, exec, s[88:89]
	s_and_b64 s[18:19], s[18:19], exec
	s_or_saveexec_b64 s[78:79], s[78:79]
	v_bfrev_b32_e32 v2, 1
	s_xor_b64 exec, exec, s[78:79]
	s_cbranch_execnz .LBB2_2378
.LBB2_2189:                             ;   in Loop: Header=BB2_1937 Depth=2
	s_or_b64 exec, exec, s[78:79]
	s_and_saveexec_b64 s[78:79], s[18:19]
	s_cbranch_execz .LBB2_2191
.LBB2_2190:                             ;   in Loop: Header=BB2_1937 Depth=2
	v_and_b32_e32 v2, 7, v34
	v_ffbh_u32_e32 v14, v2
	v_min_u32_e32 v19, 32, v14
	v_subrev_u32_e32 v14, 28, v19
	v_lshlrev_b64 v[14:15], v14, v[34:35]
	v_and_b32_e32 v10, 0x7f, v34
	v_bfe_u32 v18, v34, 3, 4
	v_sub_u32_e32 v15, 29, v19
	v_and_b32_e32 v14, 7, v14
	v_cmp_gt_u32_e32 vcc, 8, v10
	v_cndmask_b32_e32 v15, v18, v15, vcc
	v_cndmask_b32_e32 v2, v2, v14, vcc
	v_lshlrev_b32_e32 v14, 24, v34
	v_lshlrev_b32_e32 v2, 20, v2
	v_and_b32_e32 v14, 0x80000000, v14
	v_lshl_add_u32 v15, v15, 23, v60
	v_or3_b32 v2, v14, v15, v2
	v_cmp_ne_u32_e32 vcc, s50, v10
	v_cndmask_b32_e32 v2, v61, v2, vcc
.LBB2_2191:                             ;   in Loop: Header=BB2_1937 Depth=2
	s_or_b64 exec, exec, s[78:79]
	v_add_f32_e32 v10, v11, v2
	v_and_b32_e32 v34, 0x7f800000, v10
	v_cmp_ne_u64_e32 vcc, s[46:47], v[34:35]
                                        ; implicit-def: $vgpr18
	s_and_saveexec_b64 s[18:19], vcc
	s_xor_b64 s[78:79], exec, s[18:19]
	s_cbranch_execz .LBB2_2205
; %bb.2192:                             ;   in Loop: Header=BB2_1937 Depth=2
	v_and_b32_e32 v34, 0x7fffffff, v10
	v_cmp_gt_u64_e32 vcc, s[56:57], v[34:35]
	v_and_b32_sdwa v19, v10, s49 dst_sel:DWORD dst_unused:UNUSED_PAD src0_sel:BYTE_3 src1_sel:DWORD
                                        ; implicit-def: $vgpr18
	s_and_saveexec_b64 s[18:19], vcc
	s_xor_b64 s[88:89], exec, s[18:19]
	s_cbranch_execz .LBB2_2202
; %bb.2193:                             ;   in Loop: Header=BB2_1937 Depth=2
	v_mov_b32_e32 v18, 0
	v_cmp_ne_u32_e32 vcc, 0, v10
	s_and_saveexec_b64 s[90:91], vcc
	s_cbranch_execz .LBB2_2201
; %bb.2194:                             ;   in Loop: Header=BB2_1937 Depth=2
	v_bfe_u32 v18, v10, 23, 8
	v_cmp_gt_u32_e64 s[18:19], s51, v18
	v_sub_u32_e32 v2, 0x79, v18
	v_and_b32_e32 v11, 0x7fffff, v10
	v_cmp_eq_u32_e32 vcc, 0, v18
	v_cndmask_b32_e64 v2, 0, v2, s[18:19]
	v_or_b32_e32 v10, 0x800000, v11
	v_cndmask_b32_e32 v2, v2, v62, vcc
	v_cndmask_b32_e32 v34, v10, v11, vcc
	v_add_u32_e32 v10, 20, v2
	v_lshlrev_b64 v[10:11], v10, -1
	v_add_u32_e32 v14, 19, v2
	v_lshlrev_b64 v[14:15], v14, 1
	v_bfi_b32 v11, v11, 0, 0
	v_bfi_b32 v10, v10, 0, v34
	v_cmp_eq_u64_e64 s[18:19], v[10:11], v[14:15]
	v_lshrrev_b64 v[10:11], v2, v[34:35]
	v_mov_b32_e32 v15, v11
	v_mov_b32_e32 v14, v10
	s_and_saveexec_b64 s[92:93], s[18:19]
; %bb.2195:                             ;   in Loop: Header=BB2_1937 Depth=2
	v_bfe_u32 v11, v10, 20, 1
	v_add_co_u32_e64 v11, s[18:19], v10, v11
	v_add_co_u32_e64 v14, s[18:19], -1, v11
; %bb.2196:                             ;   in Loop: Header=BB2_1937 Depth=2
	s_or_b64 exec, exec, s[92:93]
	v_add_u32_e32 v11, 0xffffff81, v18
	v_cndmask_b32_e32 v11, v11, v59, vcc
	v_lshrrev_b32_e32 v15, 23, v10
	v_add3_u32 v15, v2, v11, v15
	v_add_u32_e32 v2, 6, v15
	v_and_b32_e32 v11, 0xfffff, v14
	v_add_u32_e32 v34, v11, v10
	v_cmp_ne_u32_e32 vcc, 0, v2
                                        ; implicit-def: $vgpr10_vgpr11
                                        ; implicit-def: $vgpr14
	s_and_saveexec_b64 s[18:19], vcc
	s_xor_b64 s[18:19], exec, s[18:19]
; %bb.2197:                             ;   in Loop: Header=BB2_1937 Depth=2
	v_cmp_lt_u64_e32 vcc, s[58:59], v[34:35]
	v_add_u32_e32 v10, 7, v15
	v_cndmask_b32_e32 v14, v2, v10, vcc
	v_cndmask_b32_e64 v2, 0, 1, vcc
	v_lshrrev_b64 v[10:11], v2, v[34:35]
; %bb.2198:                             ;   in Loop: Header=BB2_1937 Depth=2
	s_andn2_saveexec_b64 s[18:19], s[18:19]
; %bb.2199:                             ;   in Loop: Header=BB2_1937 Depth=2
	v_mov_b32_e32 v10, v34
	v_bfe_u32 v14, v34, 23, 1
	v_mov_b32_e32 v11, v35
; %bb.2200:                             ;   in Loop: Header=BB2_1937 Depth=2
	s_or_b64 exec, exec, s[18:19]
	v_lshrrev_b64 v[10:11], 20, v[10:11]
	v_cmp_gt_i32_e32 vcc, 16, v14
	v_cndmask_b32_e32 v11, 0, v11, vcc
	v_cndmask_b32_e32 v10, 7, v10, vcc
	v_min_i32_e32 v2, 15, v14
	v_cmp_eq_u64_e64 s[18:19], 0, v[10:11]
	v_lshlrev_b32_e32 v2, 3, v2
	v_cmp_eq_u32_e32 vcc, 0, v14
	v_and_b32_e32 v2, 0xf8, v2
	v_and_or_b32 v2, v10, 7, v2
	s_and_b64 s[18:19], vcc, s[18:19]
	v_cndmask_b32_e64 v2, v2, 0, s[18:19]
	v_or_b32_e32 v18, v2, v19
.LBB2_2201:                             ;   in Loop: Header=BB2_1937 Depth=2
	s_or_b64 exec, exec, s[90:91]
                                        ; implicit-def: $vgpr19
.LBB2_2202:                             ;   in Loop: Header=BB2_1937 Depth=2
	s_andn2_saveexec_b64 s[18:19], s[88:89]
; %bb.2203:                             ;   in Loop: Header=BB2_1937 Depth=2
	v_or_b32_e32 v18, 0x7e, v19
; %bb.2204:                             ;   in Loop: Header=BB2_1937 Depth=2
	s_or_b64 exec, exec, s[18:19]
                                        ; implicit-def: $vgpr10
.LBB2_2205:                             ;   in Loop: Header=BB2_1937 Depth=2
	s_andn2_saveexec_b64 s[18:19], s[78:79]
; %bb.2206:                             ;   in Loop: Header=BB2_1937 Depth=2
	v_or_b32_sdwa v18, v10, s50 dst_sel:DWORD dst_unused:UNUSED_PAD src0_sel:BYTE_3 src1_sel:DWORD
; %bb.2207:                             ;   in Loop: Header=BB2_1937 Depth=2
	s_or_b64 exec, exec, s[18:19]
	v_lshrrev_b32_e32 v10, 16, v16
	v_cmp_ne_u16_sdwa s[78:79], v10, v35 src0_sel:BYTE_0 src1_sel:DWORD
	v_mov_b32_e32 v11, 0
	s_and_saveexec_b64 s[18:19], s[78:79]
	s_cbranch_execz .LBB2_2213
; %bb.2208:                             ;   in Loop: Header=BB2_1937 Depth=2
	v_cmp_ne_u16_sdwa s[88:89], v10, s49 src0_sel:BYTE_0 src1_sel:DWORD
	v_bfrev_b32_e32 v11, 1
	s_and_saveexec_b64 s[78:79], s[88:89]
	s_cbranch_execz .LBB2_2212
; %bb.2209:                             ;   in Loop: Header=BB2_1937 Depth=2
	v_bfe_u32 v2, v16, 16, 7
	v_cmp_ne_u32_e32 vcc, s50, v2
	v_mov_b32_e32 v11, 0x7f800001
	s_and_saveexec_b64 s[88:89], vcc
	s_cbranch_execz .LBB2_2211
; %bb.2210:                             ;   in Loop: Header=BB2_1937 Depth=2
	v_and_b32_e32 v11, 7, v10
	v_lshrrev_b32_e32 v19, 3, v2
	v_cmp_gt_u32_e32 vcc, 8, v2
	v_ffbh_u32_e32 v2, v11
	v_min_u32_e32 v2, 32, v2
	v_subrev_u32_e32 v14, 28, v2
	v_lshlrev_b64 v[14:15], v14, v[10:11]
	v_sub_u32_e32 v2, 29, v2
	v_and_b32_e32 v14, 7, v14
	v_cndmask_b32_e32 v2, v19, v2, vcc
	v_cndmask_b32_e32 v11, v11, v14, vcc
	v_lshlrev_b32_e32 v10, 24, v10
	v_lshlrev_b32_e32 v11, 20, v11
	v_and_b32_e32 v10, 0x80000000, v10
	v_lshl_add_u32 v2, v2, 23, v60
	v_or3_b32 v11, v10, v2, v11
.LBB2_2211:                             ;   in Loop: Header=BB2_1937 Depth=2
	s_or_b64 exec, exec, s[88:89]
.LBB2_2212:                             ;   in Loop: Header=BB2_1937 Depth=2
	s_or_b64 exec, exec, s[78:79]
.LBB2_2213:                             ;   in Loop: Header=BB2_1937 Depth=2
	s_or_b64 exec, exec, s[18:19]
	v_lshrrev_b32_e32 v10, 16, v12
	v_cmp_gt_i16_sdwa s[78:79], v10, s50 src0_sel:BYTE_0 src1_sel:DWORD
	s_mov_b64 s[18:19], 0
	s_and_saveexec_b64 s[88:89], s[78:79]
	s_xor_b64 s[78:79], exec, s[88:89]
	s_cbranch_execz .LBB2_2379
; %bb.2214:                             ;   in Loop: Header=BB2_1937 Depth=2
	v_cmp_eq_u16_sdwa s[90:91], v10, s49 src0_sel:BYTE_0 src1_sel:DWORD
	s_mov_b64 s[18:19], -1
	s_and_saveexec_b64 s[88:89], s[90:91]
; %bb.2215:                             ;   in Loop: Header=BB2_1937 Depth=2
	s_xor_b64 s[18:19], exec, -1
; %bb.2216:                             ;   in Loop: Header=BB2_1937 Depth=2
	s_or_b64 exec, exec, s[88:89]
	s_and_b64 s[18:19], s[18:19], exec
	s_or_saveexec_b64 s[78:79], s[78:79]
	v_bfrev_b32_e32 v2, 1
	s_xor_b64 exec, exec, s[78:79]
	s_cbranch_execnz .LBB2_2380
.LBB2_2217:                             ;   in Loop: Header=BB2_1937 Depth=2
	s_or_b64 exec, exec, s[78:79]
	s_and_saveexec_b64 s[78:79], s[18:19]
	s_cbranch_execz .LBB2_2219
.LBB2_2218:                             ;   in Loop: Header=BB2_1937 Depth=2
	v_and_b32_e32 v2, 7, v10
	v_ffbh_u32_e32 v14, v2
	v_min_u32_e32 v25, 32, v14
	v_subrev_u32_e32 v14, 28, v25
	v_lshlrev_b64 v[14:15], v14, v[10:11]
	v_and_b32_e32 v19, 0x7f, v10
	v_bfe_u32 v24, v10, 3, 4
	v_sub_u32_e32 v15, 29, v25
	v_and_b32_e32 v14, 7, v14
	v_cmp_gt_u32_e32 vcc, 8, v19
	v_cndmask_b32_e32 v15, v24, v15, vcc
	v_cndmask_b32_e32 v2, v2, v14, vcc
	v_lshlrev_b32_e32 v10, 24, v10
	v_lshlrev_b32_e32 v2, 20, v2
	v_and_b32_e32 v10, 0x80000000, v10
	v_lshl_add_u32 v14, v15, 23, v60
	v_or3_b32 v2, v10, v14, v2
	v_cmp_ne_u32_e32 vcc, s50, v19
	v_cndmask_b32_e32 v2, v61, v2, vcc
.LBB2_2219:                             ;   in Loop: Header=BB2_1937 Depth=2
	s_or_b64 exec, exec, s[78:79]
	v_add_f32_e32 v10, v11, v2
	v_and_b32_e32 v34, 0x7f800000, v10
	v_cmp_ne_u64_e32 vcc, s[46:47], v[34:35]
                                        ; implicit-def: $vgpr19
	s_and_saveexec_b64 s[18:19], vcc
	s_xor_b64 s[78:79], exec, s[18:19]
	s_cbranch_execz .LBB2_2233
; %bb.2220:                             ;   in Loop: Header=BB2_1937 Depth=2
	v_and_b32_e32 v34, 0x7fffffff, v10
	v_cmp_gt_u64_e32 vcc, s[56:57], v[34:35]
	v_and_b32_sdwa v50, v10, s49 dst_sel:DWORD dst_unused:UNUSED_PAD src0_sel:BYTE_3 src1_sel:DWORD
                                        ; implicit-def: $vgpr19
	s_and_saveexec_b64 s[18:19], vcc
	s_xor_b64 s[88:89], exec, s[18:19]
	s_cbranch_execz .LBB2_2230
; %bb.2221:                             ;   in Loop: Header=BB2_1937 Depth=2
	v_mov_b32_e32 v19, 0
	v_cmp_ne_u32_e32 vcc, 0, v10
	s_and_saveexec_b64 s[90:91], vcc
	s_cbranch_execz .LBB2_2229
; %bb.2222:                             ;   in Loop: Header=BB2_1937 Depth=2
	v_bfe_u32 v19, v10, 23, 8
	v_cmp_gt_u32_e64 s[18:19], s51, v19
	v_sub_u32_e32 v2, 0x79, v19
	v_and_b32_e32 v11, 0x7fffff, v10
	v_cmp_eq_u32_e32 vcc, 0, v19
	v_cndmask_b32_e64 v2, 0, v2, s[18:19]
	v_or_b32_e32 v10, 0x800000, v11
	v_cndmask_b32_e32 v2, v2, v62, vcc
	v_cndmask_b32_e32 v34, v10, v11, vcc
	v_add_u32_e32 v10, 20, v2
	v_lshlrev_b64 v[10:11], v10, -1
	v_add_u32_e32 v14, 19, v2
	v_lshlrev_b64 v[14:15], v14, 1
	v_bfi_b32 v11, v11, 0, 0
	v_bfi_b32 v10, v10, 0, v34
	v_cmp_eq_u64_e64 s[18:19], v[10:11], v[14:15]
	v_lshrrev_b64 v[10:11], v2, v[34:35]
	v_mov_b32_e32 v15, v11
	v_mov_b32_e32 v14, v10
	s_and_saveexec_b64 s[92:93], s[18:19]
; %bb.2223:                             ;   in Loop: Header=BB2_1937 Depth=2
	v_bfe_u32 v11, v10, 20, 1
	v_add_co_u32_e64 v11, s[18:19], v10, v11
	v_add_co_u32_e64 v14, s[18:19], -1, v11
; %bb.2224:                             ;   in Loop: Header=BB2_1937 Depth=2
	s_or_b64 exec, exec, s[92:93]
	v_add_u32_e32 v11, 0xffffff81, v19
	v_cndmask_b32_e32 v11, v11, v59, vcc
	v_lshrrev_b32_e32 v15, 23, v10
	v_add3_u32 v15, v2, v11, v15
	v_add_u32_e32 v2, 6, v15
	v_and_b32_e32 v11, 0xfffff, v14
	v_add_u32_e32 v34, v11, v10
	v_cmp_ne_u32_e32 vcc, 0, v2
                                        ; implicit-def: $vgpr10_vgpr11
                                        ; implicit-def: $vgpr14
	s_and_saveexec_b64 s[18:19], vcc
	s_xor_b64 s[18:19], exec, s[18:19]
; %bb.2225:                             ;   in Loop: Header=BB2_1937 Depth=2
	v_cmp_lt_u64_e32 vcc, s[58:59], v[34:35]
	v_add_u32_e32 v10, 7, v15
	v_cndmask_b32_e32 v14, v2, v10, vcc
	v_cndmask_b32_e64 v2, 0, 1, vcc
	v_lshrrev_b64 v[10:11], v2, v[34:35]
; %bb.2226:                             ;   in Loop: Header=BB2_1937 Depth=2
	s_andn2_saveexec_b64 s[18:19], s[18:19]
; %bb.2227:                             ;   in Loop: Header=BB2_1937 Depth=2
	v_mov_b32_e32 v10, v34
	v_bfe_u32 v14, v34, 23, 1
	v_mov_b32_e32 v11, v35
; %bb.2228:                             ;   in Loop: Header=BB2_1937 Depth=2
	s_or_b64 exec, exec, s[18:19]
	v_lshrrev_b64 v[10:11], 20, v[10:11]
	v_cmp_gt_i32_e32 vcc, 16, v14
	v_cndmask_b32_e32 v11, 0, v11, vcc
	v_cndmask_b32_e32 v10, 7, v10, vcc
	v_min_i32_e32 v2, 15, v14
	v_cmp_eq_u64_e64 s[18:19], 0, v[10:11]
	v_lshlrev_b32_e32 v2, 3, v2
	v_cmp_eq_u32_e32 vcc, 0, v14
	v_and_b32_e32 v2, 0xf8, v2
	v_and_or_b32 v2, v10, 7, v2
	s_and_b64 s[18:19], vcc, s[18:19]
	v_cndmask_b32_e64 v2, v2, 0, s[18:19]
	v_or_b32_e32 v19, v2, v50
.LBB2_2229:                             ;   in Loop: Header=BB2_1937 Depth=2
	s_or_b64 exec, exec, s[90:91]
                                        ; implicit-def: $vgpr50
.LBB2_2230:                             ;   in Loop: Header=BB2_1937 Depth=2
	s_andn2_saveexec_b64 s[18:19], s[88:89]
; %bb.2231:                             ;   in Loop: Header=BB2_1937 Depth=2
	v_or_b32_e32 v19, 0x7e, v50
; %bb.2232:                             ;   in Loop: Header=BB2_1937 Depth=2
	s_or_b64 exec, exec, s[18:19]
                                        ; implicit-def: $vgpr10
.LBB2_2233:                             ;   in Loop: Header=BB2_1937 Depth=2
	s_andn2_saveexec_b64 s[18:19], s[78:79]
; %bb.2234:                             ;   in Loop: Header=BB2_1937 Depth=2
	v_or_b32_sdwa v19, v10, s50 dst_sel:DWORD dst_unused:UNUSED_PAD src0_sel:BYTE_3 src1_sel:DWORD
; %bb.2235:                             ;   in Loop: Header=BB2_1937 Depth=2
	s_or_b64 exec, exec, s[18:19]
	v_cmp_lt_u32_e32 vcc, s61, v16
	v_mov_b32_e32 v11, 0
	s_and_saveexec_b64 s[18:19], vcc
	s_cbranch_execz .LBB2_2241
; %bb.2236:                             ;   in Loop: Header=BB2_1937 Depth=2
	v_lshrrev_b32_e32 v10, 24, v16
	v_cmp_ne_u32_e32 vcc, s49, v10
	v_bfrev_b32_e32 v11, 1
	s_and_saveexec_b64 s[78:79], vcc
	s_cbranch_execz .LBB2_2240
; %bb.2237:                             ;   in Loop: Header=BB2_1937 Depth=2
	v_bfe_u32 v2, v16, 24, 7
	v_cmp_ne_u32_e32 vcc, s50, v2
	v_mov_b32_e32 v11, 0x7f800001
	s_and_saveexec_b64 s[88:89], vcc
	s_cbranch_execz .LBB2_2239
; %bb.2238:                             ;   in Loop: Header=BB2_1937 Depth=2
	v_and_b32_e32 v11, 7, v10
	v_lshrrev_b32_e32 v24, 3, v2
	v_cmp_gt_u32_e32 vcc, 8, v2
	v_ffbh_u32_e32 v2, v11
	v_min_u32_e32 v2, 32, v2
	v_subrev_u32_e32 v14, 28, v2
	v_lshlrev_b64 v[14:15], v14, v[10:11]
	v_sub_u32_e32 v2, 29, v2
	v_and_b32_e32 v14, 7, v14
	v_cndmask_b32_e32 v2, v24, v2, vcc
	v_cndmask_b32_e32 v11, v11, v14, vcc
	v_lshlrev_b32_e32 v10, 24, v10
	v_lshlrev_b32_e32 v11, 20, v11
	v_and_b32_e32 v10, 0x80000000, v10
	v_lshl_add_u32 v2, v2, 23, v60
	v_or3_b32 v11, v10, v2, v11
.LBB2_2239:                             ;   in Loop: Header=BB2_1937 Depth=2
	s_or_b64 exec, exec, s[88:89]
.LBB2_2240:                             ;   in Loop: Header=BB2_1937 Depth=2
	s_or_b64 exec, exec, s[78:79]
.LBB2_2241:                             ;   in Loop: Header=BB2_1937 Depth=2
	s_or_b64 exec, exec, s[18:19]
	v_bfe_u32 v10, v12, 24, 3
	v_ffbh_u32_e32 v14, v10
	v_min_u32_e32 v34, 32, v14
	v_lshrrev_b32_e32 v2, 24, v12
	v_subrev_u32_e32 v14, 28, v34
	v_lshlrev_b64 v[14:15], v14, v[2:3]
	v_bfe_u32 v24, v12, 24, 7
	v_bfe_u32 v25, v2, 3, 4
	v_sub_u32_e32 v15, 29, v34
	v_and_b32_e32 v14, 7, v14
	v_cmp_gt_u32_e32 vcc, 8, v24
	v_cndmask_b32_e32 v15, v25, v15, vcc
	v_cndmask_b32_e32 v10, v10, v14, vcc
	v_lshlrev_b32_e32 v10, 20, v10
	v_and_b32_e32 v14, 0x80000000, v12
	v_lshl_add_u32 v15, v15, 23, v60
	v_or3_b32 v10, v14, v15, v10
	v_cmp_ne_u32_e32 vcc, s50, v24
	v_cndmask_b32_e32 v10, v61, v10, vcc
	v_cmp_ne_u32_e32 vcc, s49, v2
	v_cndmask_b32_e32 v2, v45, v10, vcc
	v_cmp_lt_u32_e32 vcc, s61, v12
	v_cndmask_b32_e32 v2, 0, v2, vcc
	v_add_f32_e32 v10, v2, v11
	v_and_b32_e32 v34, 0x7f800000, v10
	v_cmp_ne_u64_e32 vcc, s[46:47], v[34:35]
                                        ; implicit-def: $vgpr56
	s_and_saveexec_b64 s[18:19], vcc
	s_xor_b64 s[78:79], exec, s[18:19]
	s_cbranch_execz .LBB2_2255
; %bb.2242:                             ;   in Loop: Header=BB2_1937 Depth=2
	v_and_b32_e32 v34, 0x7fffffff, v10
	v_cmp_gt_u64_e32 vcc, s[56:57], v[34:35]
	v_and_b32_sdwa v50, v10, s49 dst_sel:DWORD dst_unused:UNUSED_PAD src0_sel:BYTE_3 src1_sel:DWORD
                                        ; implicit-def: $vgpr56
	s_and_saveexec_b64 s[18:19], vcc
	s_xor_b64 s[88:89], exec, s[18:19]
	s_cbranch_execz .LBB2_2252
; %bb.2243:                             ;   in Loop: Header=BB2_1937 Depth=2
	v_mov_b32_e32 v56, 0
	v_cmp_ne_u32_e32 vcc, 0, v10
	s_and_saveexec_b64 s[90:91], vcc
	s_cbranch_execz .LBB2_2251
; %bb.2244:                             ;   in Loop: Header=BB2_1937 Depth=2
	v_bfe_u32 v51, v10, 23, 8
	v_cmp_gt_u32_e64 s[18:19], s51, v51
	v_sub_u32_e32 v2, 0x79, v51
	v_and_b32_e32 v11, 0x7fffff, v10
	v_cmp_eq_u32_e32 vcc, 0, v51
	v_cndmask_b32_e64 v2, 0, v2, s[18:19]
	v_or_b32_e32 v10, 0x800000, v11
	v_cndmask_b32_e32 v2, v2, v62, vcc
	v_cndmask_b32_e32 v34, v10, v11, vcc
	v_add_u32_e32 v10, 20, v2
	v_lshlrev_b64 v[10:11], v10, -1
	v_add_u32_e32 v14, 19, v2
	v_lshlrev_b64 v[14:15], v14, 1
	v_bfi_b32 v11, v11, 0, 0
	v_bfi_b32 v10, v10, 0, v34
	v_cmp_eq_u64_e64 s[18:19], v[10:11], v[14:15]
	v_lshrrev_b64 v[10:11], v2, v[34:35]
	v_mov_b32_e32 v15, v11
	v_mov_b32_e32 v14, v10
	s_and_saveexec_b64 s[92:93], s[18:19]
; %bb.2245:                             ;   in Loop: Header=BB2_1937 Depth=2
	v_bfe_u32 v11, v10, 20, 1
	v_add_co_u32_e64 v11, s[18:19], v10, v11
	v_add_co_u32_e64 v14, s[18:19], -1, v11
; %bb.2246:                             ;   in Loop: Header=BB2_1937 Depth=2
	s_or_b64 exec, exec, s[92:93]
	v_add_u32_e32 v11, 0xffffff81, v51
	v_cndmask_b32_e32 v11, v11, v59, vcc
	v_lshrrev_b32_e32 v15, 23, v10
	v_add3_u32 v15, v2, v11, v15
	v_add_u32_e32 v2, 6, v15
	v_and_b32_e32 v11, 0xfffff, v14
	v_add_u32_e32 v34, v11, v10
	v_cmp_ne_u32_e32 vcc, 0, v2
                                        ; implicit-def: $vgpr10_vgpr11
                                        ; implicit-def: $vgpr14
	s_and_saveexec_b64 s[18:19], vcc
	s_xor_b64 s[18:19], exec, s[18:19]
; %bb.2247:                             ;   in Loop: Header=BB2_1937 Depth=2
	v_cmp_lt_u64_e32 vcc, s[58:59], v[34:35]
	v_add_u32_e32 v10, 7, v15
	v_cndmask_b32_e32 v14, v2, v10, vcc
	v_cndmask_b32_e64 v2, 0, 1, vcc
	v_lshrrev_b64 v[10:11], v2, v[34:35]
; %bb.2248:                             ;   in Loop: Header=BB2_1937 Depth=2
	s_andn2_saveexec_b64 s[18:19], s[18:19]
; %bb.2249:                             ;   in Loop: Header=BB2_1937 Depth=2
	v_mov_b32_e32 v10, v34
	v_bfe_u32 v14, v34, 23, 1
	v_mov_b32_e32 v11, v35
; %bb.2250:                             ;   in Loop: Header=BB2_1937 Depth=2
	s_or_b64 exec, exec, s[18:19]
	v_lshrrev_b64 v[10:11], 20, v[10:11]
	v_cmp_gt_i32_e32 vcc, 16, v14
	v_cndmask_b32_e32 v11, 0, v11, vcc
	v_cndmask_b32_e32 v10, 7, v10, vcc
	v_min_i32_e32 v2, 15, v14
	v_cmp_eq_u64_e64 s[18:19], 0, v[10:11]
	v_lshlrev_b32_e32 v2, 3, v2
	v_cmp_eq_u32_e32 vcc, 0, v14
	v_and_b32_e32 v2, 0xf8, v2
	v_and_or_b32 v2, v10, 7, v2
	s_and_b64 s[18:19], vcc, s[18:19]
	v_cndmask_b32_e64 v2, v2, 0, s[18:19]
	v_or_b32_e32 v56, v2, v50
.LBB2_2251:                             ;   in Loop: Header=BB2_1937 Depth=2
	s_or_b64 exec, exec, s[90:91]
                                        ; implicit-def: $vgpr50
.LBB2_2252:                             ;   in Loop: Header=BB2_1937 Depth=2
	s_andn2_saveexec_b64 s[18:19], s[88:89]
; %bb.2253:                             ;   in Loop: Header=BB2_1937 Depth=2
	v_or_b32_e32 v56, 0x7e, v50
; %bb.2254:                             ;   in Loop: Header=BB2_1937 Depth=2
	s_or_b64 exec, exec, s[18:19]
                                        ; implicit-def: $vgpr10
.LBB2_2255:                             ;   in Loop: Header=BB2_1937 Depth=2
	s_andn2_saveexec_b64 s[18:19], s[78:79]
; %bb.2256:                             ;   in Loop: Header=BB2_1937 Depth=2
	v_or_b32_sdwa v56, v10, s50 dst_sel:DWORD dst_unused:UNUSED_PAD src0_sel:BYTE_3 src1_sel:DWORD
; %bb.2257:                             ;   in Loop: Header=BB2_1937 Depth=2
	s_or_b64 exec, exec, s[18:19]
	v_mov_b32_e32 v34, v17
	v_cmp_ne_u16_sdwa s[78:79], v17, v35 src0_sel:BYTE_0 src1_sel:DWORD
	v_mov_b32_e32 v14, 0
	s_and_saveexec_b64 s[18:19], s[78:79]
	s_cbranch_execz .LBB2_2263
; %bb.2258:                             ;   in Loop: Header=BB2_1937 Depth=2
	v_cmp_ne_u16_sdwa s[88:89], v17, s49 src0_sel:BYTE_0 src1_sel:DWORD
	v_bfrev_b32_e32 v14, 1
	s_and_saveexec_b64 s[78:79], s[88:89]
	s_cbranch_execz .LBB2_2262
; %bb.2259:                             ;   in Loop: Header=BB2_1937 Depth=2
	v_and_b32_e32 v2, 0x7f, v17
	v_cmp_ne_u32_e32 vcc, s50, v2
	v_mov_b32_e32 v14, 0x7f800001
	s_and_saveexec_b64 s[88:89], vcc
	s_cbranch_execz .LBB2_2261
; %bb.2260:                             ;   in Loop: Header=BB2_1937 Depth=2
	v_and_b32_e32 v10, 7, v17
	v_lshrrev_b32_e32 v11, 3, v2
	v_cmp_gt_u32_e32 vcc, 8, v2
	v_ffbh_u32_e32 v2, v10
	v_min_u32_e32 v2, 32, v2
	v_subrev_u32_e32 v10, 28, v2
	v_sub_u32_e32 v2, 29, v2
	v_cndmask_b32_e32 v10, 0, v10, vcc
	v_cndmask_b32_e32 v2, v11, v2, vcc
	v_lshlrev_b64 v[10:11], v10, v[34:35]
	v_lshlrev_b32_e32 v11, 24, v34
	v_lshlrev_b32_e32 v10, 20, v10
	v_and_b32_e32 v10, 0x700000, v10
	v_and_b32_e32 v11, 0x80000000, v11
	v_lshl_add_u32 v2, v2, 23, v60
	v_or3_b32 v14, v11, v2, v10
.LBB2_2261:                             ;   in Loop: Header=BB2_1937 Depth=2
	s_or_b64 exec, exec, s[88:89]
.LBB2_2262:                             ;   in Loop: Header=BB2_1937 Depth=2
	s_or_b64 exec, exec, s[78:79]
.LBB2_2263:                             ;   in Loop: Header=BB2_1937 Depth=2
	s_or_b64 exec, exec, s[18:19]
	v_cmp_gt_i16_sdwa s[78:79], v13, s50 src0_sel:BYTE_0 src1_sel:DWORD
	s_mov_b64 s[18:19], 0
	s_and_saveexec_b64 s[88:89], s[78:79]
	s_xor_b64 s[78:79], exec, s[88:89]
	s_cbranch_execz .LBB2_2267
; %bb.2264:                             ;   in Loop: Header=BB2_1937 Depth=2
	v_cmp_eq_u16_sdwa s[90:91], v13, s49 src0_sel:BYTE_0 src1_sel:DWORD
	s_mov_b64 s[18:19], -1
	s_and_saveexec_b64 s[88:89], s[90:91]
; %bb.2265:                             ;   in Loop: Header=BB2_1937 Depth=2
	s_xor_b64 s[18:19], exec, -1
; %bb.2266:                             ;   in Loop: Header=BB2_1937 Depth=2
	s_or_b64 exec, exec, s[88:89]
	s_and_b64 s[18:19], s[18:19], exec
.LBB2_2267:                             ;   in Loop: Header=BB2_1937 Depth=2
	s_or_saveexec_b64 s[78:79], s[78:79]
	v_bfrev_b32_e32 v2, 1
	s_xor_b64 exec, exec, s[78:79]
; %bb.2268:                             ;   in Loop: Header=BB2_1937 Depth=2
	v_cmp_ne_u16_sdwa s[88:89], v13, v35 src0_sel:BYTE_0 src1_sel:DWORD
	s_andn2_b64 s[18:19], s[18:19], exec
	s_and_b64 s[88:89], s[88:89], exec
	v_mov_b32_e32 v2, 0
	s_or_b64 s[18:19], s[18:19], s[88:89]
; %bb.2269:                             ;   in Loop: Header=BB2_1937 Depth=2
	s_or_b64 exec, exec, s[78:79]
	v_mov_b32_e32 v10, v13
	v_mov_b32_e32 v11, v35
	s_and_saveexec_b64 s[78:79], s[18:19]
	s_cbranch_execz .LBB2_2271
; %bb.2270:                             ;   in Loop: Header=BB2_1937 Depth=2
	v_and_b32_e32 v2, 7, v13
	v_ffbh_u32_e32 v2, v2
	v_and_b32_e32 v15, 0x7f, v13
	v_min_u32_e32 v2, 32, v2
	v_bfe_u32 v24, v13, 3, 4
	v_subrev_u32_e32 v25, 28, v2
	v_sub_u32_e32 v2, 29, v2
	v_cmp_gt_u32_e32 vcc, 8, v15
	v_cndmask_b32_e32 v2, v24, v2, vcc
	v_cndmask_b32_e32 v24, 0, v25, vcc
	v_lshlrev_b64 v[24:25], v24, v[10:11]
	v_lshl_add_u32 v2, v2, 23, v60
	v_lshlrev_b32_e32 v11, 20, v24
	v_lshlrev_b32_e32 v24, 24, v10
	v_and_b32_e32 v11, 0x700000, v11
	v_and_b32_e32 v24, 0x80000000, v24
	v_or3_b32 v2, v24, v2, v11
	v_cmp_ne_u32_e32 vcc, s50, v15
	v_cndmask_b32_e32 v2, v61, v2, vcc
.LBB2_2271:                             ;   in Loop: Header=BB2_1937 Depth=2
	s_or_b64 exec, exec, s[78:79]
	v_add_f32_e32 v14, v14, v2
	v_and_b32_e32 v24, 0x7f800000, v14
	v_mov_b32_e32 v25, v35
	v_cmp_ne_u64_e32 vcc, s[46:47], v[24:25]
                                        ; implicit-def: $vgpr41
	s_and_saveexec_b64 s[18:19], vcc
	s_xor_b64 s[78:79], exec, s[18:19]
	s_cbranch_execz .LBB2_2285
; %bb.2272:                             ;   in Loop: Header=BB2_1937 Depth=2
	v_and_b32_e32 v24, 0x7fffffff, v14
	v_mov_b32_e32 v25, v35
	v_cmp_gt_u64_e32 vcc, s[56:57], v[24:25]
	v_and_b32_sdwa v11, v14, s49 dst_sel:DWORD dst_unused:UNUSED_PAD src0_sel:BYTE_3 src1_sel:DWORD
                                        ; implicit-def: $vgpr41
	s_and_saveexec_b64 s[18:19], vcc
	s_xor_b64 s[88:89], exec, s[18:19]
	s_cbranch_execz .LBB2_2282
; %bb.2273:                             ;   in Loop: Header=BB2_1937 Depth=2
	v_mov_b32_e32 v41, 0
	v_cmp_ne_u32_e32 vcc, 0, v14
	s_and_saveexec_b64 s[90:91], vcc
	s_cbranch_execz .LBB2_2281
; %bb.2274:                             ;   in Loop: Header=BB2_1937 Depth=2
	v_bfe_u32 v50, v14, 23, 8
	v_cmp_gt_u32_e64 s[18:19], s51, v50
	v_sub_u32_e32 v2, 0x79, v50
	v_cmp_eq_u32_e32 vcc, 0, v50
	v_cndmask_b32_e64 v2, 0, v2, s[18:19]
	v_cndmask_b32_e32 v2, v2, v62, vcc
	v_and_b32_e32 v15, 0x7fffff, v14
	v_add_u32_e32 v24, 20, v2
	v_or_b32_e32 v14, 0x800000, v15
	v_lshlrev_b64 v[24:25], v24, -1
	v_cndmask_b32_e32 v14, v14, v15, vcc
	v_mov_b32_e32 v15, v35
	v_add_u32_e32 v51, 19, v2
	v_bfi_b32 v24, v24, 0, v14
	v_lshlrev_b64 v[41:42], v51, 1
	v_lshrrev_b64 v[14:15], v2, v[14:15]
	v_bfi_b32 v25, v25, 0, 0
	v_cmp_eq_u64_e64 s[18:19], v[24:25], v[41:42]
	v_mov_b32_e32 v42, v15
	v_mov_b32_e32 v41, v14
	s_and_saveexec_b64 s[92:93], s[18:19]
; %bb.2275:                             ;   in Loop: Header=BB2_1937 Depth=2
	v_bfe_u32 v15, v14, 20, 1
	v_add_co_u32_e64 v15, s[18:19], v14, v15
	v_add_co_u32_e64 v41, s[18:19], -1, v15
; %bb.2276:                             ;   in Loop: Header=BB2_1937 Depth=2
	s_or_b64 exec, exec, s[92:93]
	v_add_u32_e32 v15, 0xffffff81, v50
	v_cndmask_b32_e32 v15, v15, v59, vcc
	v_lshrrev_b32_e32 v24, 23, v14
	v_add3_u32 v51, v2, v15, v24
	v_add_u32_e32 v2, 6, v51
	v_and_b32_e32 v15, 0xfffff, v41
	v_add_u32_e32 v14, v15, v14
	v_mov_b32_e32 v15, v35
	v_cmp_ne_u32_e32 vcc, 0, v2
                                        ; implicit-def: $vgpr50
	s_and_saveexec_b64 s[18:19], vcc
	s_xor_b64 s[18:19], exec, s[18:19]
; %bb.2277:                             ;   in Loop: Header=BB2_1937 Depth=2
	v_cmp_lt_u64_e32 vcc, s[58:59], v[14:15]
	v_add_u32_e32 v24, 7, v51
	v_cndmask_b32_e32 v50, v2, v24, vcc
	v_cndmask_b32_e64 v2, 0, 1, vcc
	v_lshrrev_b64 v[14:15], v2, v[14:15]
; %bb.2278:                             ;   in Loop: Header=BB2_1937 Depth=2
	s_andn2_saveexec_b64 s[18:19], s[18:19]
; %bb.2279:                             ;   in Loop: Header=BB2_1937 Depth=2
	v_bfe_u32 v50, v14, 23, 1
; %bb.2280:                             ;   in Loop: Header=BB2_1937 Depth=2
	s_or_b64 exec, exec, s[18:19]
	v_lshrrev_b64 v[14:15], 20, v[14:15]
	v_cmp_gt_i32_e32 vcc, 16, v50
	v_cndmask_b32_e32 v15, 0, v15, vcc
	v_cndmask_b32_e32 v14, 7, v14, vcc
	v_min_i32_e32 v2, 15, v50
	v_cmp_eq_u64_e64 s[18:19], 0, v[14:15]
	v_lshlrev_b32_e32 v2, 3, v2
	v_cmp_eq_u32_e32 vcc, 0, v50
	v_and_b32_e32 v2, 0xf8, v2
	v_and_or_b32 v2, v14, 7, v2
	s_and_b64 s[18:19], vcc, s[18:19]
	v_cndmask_b32_e64 v2, v2, 0, s[18:19]
	v_or_b32_e32 v41, v2, v11
.LBB2_2281:                             ;   in Loop: Header=BB2_1937 Depth=2
	s_or_b64 exec, exec, s[90:91]
                                        ; implicit-def: $vgpr11
.LBB2_2282:                             ;   in Loop: Header=BB2_1937 Depth=2
	s_andn2_saveexec_b64 s[18:19], s[88:89]
; %bb.2283:                             ;   in Loop: Header=BB2_1937 Depth=2
	v_or_b32_e32 v41, 0x7e, v11
; %bb.2284:                             ;   in Loop: Header=BB2_1937 Depth=2
	s_or_b64 exec, exec, s[18:19]
                                        ; implicit-def: $vgpr14
.LBB2_2285:                             ;   in Loop: Header=BB2_1937 Depth=2
	s_andn2_saveexec_b64 s[18:19], s[78:79]
; %bb.2286:                             ;   in Loop: Header=BB2_1937 Depth=2
	v_or_b32_sdwa v41, v14, s50 dst_sel:DWORD dst_unused:UNUSED_PAD src0_sel:BYTE_3 src1_sel:DWORD
; %bb.2287:                             ;   in Loop: Header=BB2_1937 Depth=2
	s_or_b64 exec, exec, s[18:19]
	v_lshrrev_b16_e32 v11, 8, v34
	v_cmp_ne_u16_e32 vcc, 0, v11
	v_mov_b32_e32 v14, 0
	s_and_saveexec_b64 s[18:19], vcc
	s_cbranch_execz .LBB2_2293
; %bb.2288:                             ;   in Loop: Header=BB2_1937 Depth=2
	v_cmp_ne_u16_e32 vcc, s49, v11
	v_bfrev_b32_e32 v14, 1
	s_and_saveexec_b64 s[78:79], vcc
	s_cbranch_execz .LBB2_2292
; %bb.2289:                             ;   in Loop: Header=BB2_1937 Depth=2
	v_and_b32_e32 v2, 0x7f, v11
	v_cmp_ne_u32_e32 vcc, s50, v2
	v_mov_b32_e32 v14, 0x7f800001
	s_and_saveexec_b64 s[88:89], vcc
	s_cbranch_execz .LBB2_2291
; %bb.2290:                             ;   in Loop: Header=BB2_1937 Depth=2
	v_and_b32_e32 v24, 7, v11
	v_lshrrev_b32_e32 v25, 3, v2
	v_cmp_gt_u32_e32 vcc, 8, v2
	v_ffbh_u32_e32 v2, v24
	v_min_u32_e32 v2, 32, v2
	v_subrev_u32_e32 v14, 28, v2
	v_lshlrev_b64 v[14:15], v14, v[11:12]
	v_sub_u32_e32 v2, 29, v2
	v_and_b32_e32 v11, 7, v14
	v_cndmask_b32_e32 v2, v25, v2, vcc
	v_cndmask_b32_e32 v11, v24, v11, vcc
	v_lshlrev_b32_e32 v14, 16, v34
	v_lshlrev_b32_e32 v11, 20, v11
	v_and_b32_e32 v14, 0x80000000, v14
	v_lshl_add_u32 v2, v2, 23, v60
	v_or3_b32 v14, v14, v2, v11
.LBB2_2291:                             ;   in Loop: Header=BB2_1937 Depth=2
	s_or_b64 exec, exec, s[88:89]
.LBB2_2292:                             ;   in Loop: Header=BB2_1937 Depth=2
	s_or_b64 exec, exec, s[78:79]
.LBB2_2293:                             ;   in Loop: Header=BB2_1937 Depth=2
	s_or_b64 exec, exec, s[18:19]
	v_lshrrev_b16_e32 v34, 8, v10
	v_cmp_lt_i16_e32 vcc, s50, v34
	s_mov_b64 s[18:19], 0
	s_and_saveexec_b64 s[78:79], vcc
	s_xor_b64 s[78:79], exec, s[78:79]
	s_cbranch_execz .LBB2_2381
; %bb.2294:                             ;   in Loop: Header=BB2_1937 Depth=2
	v_cmp_eq_u16_e32 vcc, s49, v34
	s_mov_b64 s[18:19], -1
	s_and_saveexec_b64 s[88:89], vcc
; %bb.2295:                             ;   in Loop: Header=BB2_1937 Depth=2
	s_xor_b64 s[18:19], exec, -1
; %bb.2296:                             ;   in Loop: Header=BB2_1937 Depth=2
	s_or_b64 exec, exec, s[88:89]
	s_and_b64 s[18:19], s[18:19], exec
	s_or_saveexec_b64 s[78:79], s[78:79]
	v_bfrev_b32_e32 v2, 1
	s_xor_b64 exec, exec, s[78:79]
	s_cbranch_execnz .LBB2_2382
.LBB2_2297:                             ;   in Loop: Header=BB2_1937 Depth=2
	s_or_b64 exec, exec, s[78:79]
	s_and_saveexec_b64 s[78:79], s[18:19]
	s_cbranch_execz .LBB2_2299
.LBB2_2298:                             ;   in Loop: Header=BB2_1937 Depth=2
	v_and_b32_e32 v2, 7, v34
	v_ffbh_u32_e32 v10, v2
	v_min_u32_e32 v25, 32, v10
	v_subrev_u32_e32 v10, 28, v25
	v_lshlrev_b64 v[10:11], v10, v[34:35]
	v_and_b32_e32 v15, 0x7f, v34
	v_bfe_u32 v24, v34, 3, 4
	v_sub_u32_e32 v11, 29, v25
	v_and_b32_e32 v10, 7, v10
	v_cmp_gt_u32_e32 vcc, 8, v15
	v_cndmask_b32_e32 v11, v24, v11, vcc
	v_cndmask_b32_e32 v2, v2, v10, vcc
	v_lshlrev_b32_e32 v10, 24, v34
	v_lshlrev_b32_e32 v2, 20, v2
	v_and_b32_e32 v10, 0x80000000, v10
	v_lshl_add_u32 v11, v11, 23, v60
	v_or3_b32 v2, v10, v11, v2
	v_cmp_ne_u32_e32 vcc, s50, v15
	v_cndmask_b32_e32 v2, v61, v2, vcc
.LBB2_2299:                             ;   in Loop: Header=BB2_1937 Depth=2
	s_or_b64 exec, exec, s[78:79]
	v_add_f32_e32 v10, v14, v2
	v_and_b32_e32 v34, 0x7f800000, v10
	v_cmp_ne_u64_e32 vcc, s[46:47], v[34:35]
                                        ; implicit-def: $vgpr42
	s_and_saveexec_b64 s[18:19], vcc
	s_xor_b64 s[78:79], exec, s[18:19]
	s_cbranch_execz .LBB2_2313
; %bb.2300:                             ;   in Loop: Header=BB2_1937 Depth=2
	v_and_b32_e32 v34, 0x7fffffff, v10
	v_cmp_gt_u64_e32 vcc, s[56:57], v[34:35]
	v_and_b32_sdwa v50, v10, s49 dst_sel:DWORD dst_unused:UNUSED_PAD src0_sel:BYTE_3 src1_sel:DWORD
                                        ; implicit-def: $vgpr42
	s_and_saveexec_b64 s[18:19], vcc
	s_xor_b64 s[88:89], exec, s[18:19]
	s_cbranch_execz .LBB2_2310
; %bb.2301:                             ;   in Loop: Header=BB2_1937 Depth=2
	v_mov_b32_e32 v42, 0
	v_cmp_ne_u32_e32 vcc, 0, v10
	s_and_saveexec_b64 s[90:91], vcc
	s_cbranch_execz .LBB2_2309
; %bb.2302:                             ;   in Loop: Header=BB2_1937 Depth=2
	v_bfe_u32 v51, v10, 23, 8
	v_cmp_gt_u32_e64 s[18:19], s51, v51
	v_sub_u32_e32 v2, 0x79, v51
	v_and_b32_e32 v11, 0x7fffff, v10
	v_cmp_eq_u32_e32 vcc, 0, v51
	v_cndmask_b32_e64 v2, 0, v2, s[18:19]
	v_or_b32_e32 v10, 0x800000, v11
	v_cndmask_b32_e32 v2, v2, v62, vcc
	v_cndmask_b32_e32 v34, v10, v11, vcc
	v_add_u32_e32 v10, 20, v2
	v_lshlrev_b64 v[10:11], v10, -1
	v_add_u32_e32 v14, 19, v2
	v_lshlrev_b64 v[14:15], v14, 1
	v_bfi_b32 v11, v11, 0, 0
	v_bfi_b32 v10, v10, 0, v34
	v_cmp_eq_u64_e64 s[18:19], v[10:11], v[14:15]
	v_lshrrev_b64 v[10:11], v2, v[34:35]
	v_mov_b32_e32 v15, v11
	v_mov_b32_e32 v14, v10
	s_and_saveexec_b64 s[92:93], s[18:19]
; %bb.2303:                             ;   in Loop: Header=BB2_1937 Depth=2
	v_bfe_u32 v11, v10, 20, 1
	v_add_co_u32_e64 v11, s[18:19], v10, v11
	v_add_co_u32_e64 v14, s[18:19], -1, v11
; %bb.2304:                             ;   in Loop: Header=BB2_1937 Depth=2
	s_or_b64 exec, exec, s[92:93]
	v_add_u32_e32 v11, 0xffffff81, v51
	v_cndmask_b32_e32 v11, v11, v59, vcc
	v_lshrrev_b32_e32 v15, 23, v10
	v_add3_u32 v15, v2, v11, v15
	v_add_u32_e32 v2, 6, v15
	v_and_b32_e32 v11, 0xfffff, v14
	v_add_u32_e32 v34, v11, v10
	v_cmp_ne_u32_e32 vcc, 0, v2
                                        ; implicit-def: $vgpr10_vgpr11
                                        ; implicit-def: $vgpr14
	s_and_saveexec_b64 s[18:19], vcc
	s_xor_b64 s[18:19], exec, s[18:19]
; %bb.2305:                             ;   in Loop: Header=BB2_1937 Depth=2
	v_cmp_lt_u64_e32 vcc, s[58:59], v[34:35]
	v_add_u32_e32 v10, 7, v15
	v_cndmask_b32_e32 v14, v2, v10, vcc
	v_cndmask_b32_e64 v2, 0, 1, vcc
	v_lshrrev_b64 v[10:11], v2, v[34:35]
; %bb.2306:                             ;   in Loop: Header=BB2_1937 Depth=2
	s_andn2_saveexec_b64 s[18:19], s[18:19]
; %bb.2307:                             ;   in Loop: Header=BB2_1937 Depth=2
	v_mov_b32_e32 v10, v34
	v_bfe_u32 v14, v34, 23, 1
	v_mov_b32_e32 v11, v35
; %bb.2308:                             ;   in Loop: Header=BB2_1937 Depth=2
	s_or_b64 exec, exec, s[18:19]
	v_lshrrev_b64 v[10:11], 20, v[10:11]
	v_cmp_gt_i32_e32 vcc, 16, v14
	v_cndmask_b32_e32 v11, 0, v11, vcc
	v_cndmask_b32_e32 v10, 7, v10, vcc
	v_min_i32_e32 v2, 15, v14
	v_cmp_eq_u64_e64 s[18:19], 0, v[10:11]
	v_lshlrev_b32_e32 v2, 3, v2
	v_cmp_eq_u32_e32 vcc, 0, v14
	v_and_b32_e32 v2, 0xf8, v2
	v_and_or_b32 v2, v10, 7, v2
	s_and_b64 s[18:19], vcc, s[18:19]
	v_cndmask_b32_e64 v2, v2, 0, s[18:19]
	v_or_b32_e32 v42, v2, v50
.LBB2_2309:                             ;   in Loop: Header=BB2_1937 Depth=2
	s_or_b64 exec, exec, s[90:91]
                                        ; implicit-def: $vgpr50
.LBB2_2310:                             ;   in Loop: Header=BB2_1937 Depth=2
	s_andn2_saveexec_b64 s[18:19], s[88:89]
; %bb.2311:                             ;   in Loop: Header=BB2_1937 Depth=2
	v_or_b32_e32 v42, 0x7e, v50
; %bb.2312:                             ;   in Loop: Header=BB2_1937 Depth=2
	s_or_b64 exec, exec, s[18:19]
                                        ; implicit-def: $vgpr10
.LBB2_2313:                             ;   in Loop: Header=BB2_1937 Depth=2
	s_andn2_saveexec_b64 s[18:19], s[78:79]
; %bb.2314:                             ;   in Loop: Header=BB2_1937 Depth=2
	v_or_b32_sdwa v42, v10, s50 dst_sel:DWORD dst_unused:UNUSED_PAD src0_sel:BYTE_3 src1_sel:DWORD
; %bb.2315:                             ;   in Loop: Header=BB2_1937 Depth=2
	s_or_b64 exec, exec, s[18:19]
	v_lshrrev_b32_e32 v10, 16, v17
	v_cmp_ne_u16_sdwa s[78:79], v10, v35 src0_sel:BYTE_0 src1_sel:DWORD
	v_mov_b32_e32 v11, 0
	s_and_saveexec_b64 s[18:19], s[78:79]
	s_cbranch_execz .LBB2_2321
; %bb.2316:                             ;   in Loop: Header=BB2_1937 Depth=2
	v_cmp_ne_u16_sdwa s[88:89], v10, s49 src0_sel:BYTE_0 src1_sel:DWORD
	v_bfrev_b32_e32 v11, 1
	s_and_saveexec_b64 s[78:79], s[88:89]
	s_cbranch_execz .LBB2_2320
; %bb.2317:                             ;   in Loop: Header=BB2_1937 Depth=2
	v_bfe_u32 v2, v17, 16, 7
	v_cmp_ne_u32_e32 vcc, s50, v2
	v_mov_b32_e32 v11, 0x7f800001
	s_and_saveexec_b64 s[88:89], vcc
	s_cbranch_execz .LBB2_2319
; %bb.2318:                             ;   in Loop: Header=BB2_1937 Depth=2
	v_and_b32_e32 v11, 7, v10
	v_lshrrev_b32_e32 v24, 3, v2
	v_cmp_gt_u32_e32 vcc, 8, v2
	v_ffbh_u32_e32 v2, v11
	v_min_u32_e32 v2, 32, v2
	v_subrev_u32_e32 v14, 28, v2
	v_lshlrev_b64 v[14:15], v14, v[10:11]
	v_sub_u32_e32 v2, 29, v2
	v_and_b32_e32 v14, 7, v14
	v_cndmask_b32_e32 v2, v24, v2, vcc
	v_cndmask_b32_e32 v11, v11, v14, vcc
	v_lshlrev_b32_e32 v10, 24, v10
	v_lshlrev_b32_e32 v11, 20, v11
	v_and_b32_e32 v10, 0x80000000, v10
	v_lshl_add_u32 v2, v2, 23, v60
	v_or3_b32 v11, v10, v2, v11
.LBB2_2319:                             ;   in Loop: Header=BB2_1937 Depth=2
	s_or_b64 exec, exec, s[88:89]
.LBB2_2320:                             ;   in Loop: Header=BB2_1937 Depth=2
	s_or_b64 exec, exec, s[78:79]
.LBB2_2321:                             ;   in Loop: Header=BB2_1937 Depth=2
	s_or_b64 exec, exec, s[18:19]
	v_lshrrev_b32_e32 v10, 16, v13
	v_cmp_gt_i16_sdwa s[78:79], v10, s50 src0_sel:BYTE_0 src1_sel:DWORD
	s_mov_b64 s[18:19], 0
	s_and_saveexec_b64 s[88:89], s[78:79]
	s_xor_b64 s[78:79], exec, s[88:89]
	s_cbranch_execz .LBB2_2383
; %bb.2322:                             ;   in Loop: Header=BB2_1937 Depth=2
	v_cmp_eq_u16_sdwa s[90:91], v10, s49 src0_sel:BYTE_0 src1_sel:DWORD
	s_mov_b64 s[18:19], -1
	s_and_saveexec_b64 s[88:89], s[90:91]
; %bb.2323:                             ;   in Loop: Header=BB2_1937 Depth=2
	s_xor_b64 s[18:19], exec, -1
; %bb.2324:                             ;   in Loop: Header=BB2_1937 Depth=2
	s_or_b64 exec, exec, s[88:89]
	s_and_b64 s[18:19], s[18:19], exec
	s_or_saveexec_b64 s[78:79], s[78:79]
	v_bfrev_b32_e32 v2, 1
	s_xor_b64 exec, exec, s[78:79]
	s_cbranch_execnz .LBB2_2384
.LBB2_2325:                             ;   in Loop: Header=BB2_1937 Depth=2
	s_or_b64 exec, exec, s[78:79]
	s_and_saveexec_b64 s[78:79], s[18:19]
	s_cbranch_execz .LBB2_2327
.LBB2_2326:                             ;   in Loop: Header=BB2_1937 Depth=2
	v_and_b32_e32 v2, 7, v10
	v_ffbh_u32_e32 v14, v2
	v_min_u32_e32 v34, 32, v14
	v_subrev_u32_e32 v14, 28, v34
	v_lshlrev_b64 v[14:15], v14, v[10:11]
	v_and_b32_e32 v24, 0x7f, v10
	v_bfe_u32 v25, v10, 3, 4
	v_sub_u32_e32 v15, 29, v34
	v_and_b32_e32 v14, 7, v14
	v_cmp_gt_u32_e32 vcc, 8, v24
	v_cndmask_b32_e32 v15, v25, v15, vcc
	v_cndmask_b32_e32 v2, v2, v14, vcc
	v_lshlrev_b32_e32 v10, 24, v10
	v_lshlrev_b32_e32 v2, 20, v2
	v_and_b32_e32 v10, 0x80000000, v10
	v_lshl_add_u32 v14, v15, 23, v60
	v_or3_b32 v2, v10, v14, v2
	v_cmp_ne_u32_e32 vcc, s50, v24
	v_cndmask_b32_e32 v2, v61, v2, vcc
.LBB2_2327:                             ;   in Loop: Header=BB2_1937 Depth=2
	s_or_b64 exec, exec, s[78:79]
	v_add_f32_e32 v10, v11, v2
	v_and_b32_e32 v34, 0x7f800000, v10
	v_cmp_ne_u64_e32 vcc, s[46:47], v[34:35]
                                        ; implicit-def: $vgpr14
	s_and_saveexec_b64 s[18:19], vcc
	s_xor_b64 s[78:79], exec, s[18:19]
	s_cbranch_execz .LBB2_2341
; %bb.2328:                             ;   in Loop: Header=BB2_1937 Depth=2
	v_and_b32_e32 v34, 0x7fffffff, v10
	v_cmp_gt_u64_e32 vcc, s[56:57], v[34:35]
	v_and_b32_sdwa v50, v10, s49 dst_sel:DWORD dst_unused:UNUSED_PAD src0_sel:BYTE_3 src1_sel:DWORD
                                        ; implicit-def: $vgpr14
	s_and_saveexec_b64 s[18:19], vcc
	s_xor_b64 s[88:89], exec, s[18:19]
	s_cbranch_execz .LBB2_2338
; %bb.2329:                             ;   in Loop: Header=BB2_1937 Depth=2
	v_mov_b32_e32 v14, 0
	v_cmp_ne_u32_e32 vcc, 0, v10
	s_and_saveexec_b64 s[90:91], vcc
	s_cbranch_execz .LBB2_2337
; %bb.2330:                             ;   in Loop: Header=BB2_1937 Depth=2
	v_bfe_u32 v51, v10, 23, 8
	v_cmp_gt_u32_e64 s[18:19], s51, v51
	v_sub_u32_e32 v2, 0x79, v51
	v_and_b32_e32 v11, 0x7fffff, v10
	v_cmp_eq_u32_e32 vcc, 0, v51
	v_cndmask_b32_e64 v2, 0, v2, s[18:19]
	v_or_b32_e32 v10, 0x800000, v11
	v_cndmask_b32_e32 v2, v2, v62, vcc
	v_cndmask_b32_e32 v34, v10, v11, vcc
	v_add_u32_e32 v10, 20, v2
	v_lshlrev_b64 v[10:11], v10, -1
	v_add_u32_e32 v14, 19, v2
	v_lshlrev_b64 v[14:15], v14, 1
	v_bfi_b32 v11, v11, 0, 0
	v_bfi_b32 v10, v10, 0, v34
	v_cmp_eq_u64_e64 s[18:19], v[10:11], v[14:15]
	v_lshrrev_b64 v[10:11], v2, v[34:35]
	v_mov_b32_e32 v15, v11
	v_mov_b32_e32 v14, v10
	s_and_saveexec_b64 s[92:93], s[18:19]
; %bb.2331:                             ;   in Loop: Header=BB2_1937 Depth=2
	v_bfe_u32 v11, v10, 20, 1
	v_add_co_u32_e64 v11, s[18:19], v10, v11
	v_add_co_u32_e64 v14, s[18:19], -1, v11
; %bb.2332:                             ;   in Loop: Header=BB2_1937 Depth=2
	s_or_b64 exec, exec, s[92:93]
	v_add_u32_e32 v11, 0xffffff81, v51
	v_cndmask_b32_e32 v11, v11, v59, vcc
	v_lshrrev_b32_e32 v15, 23, v10
	v_add3_u32 v15, v2, v11, v15
	v_add_u32_e32 v2, 6, v15
	v_and_b32_e32 v11, 0xfffff, v14
	v_add_u32_e32 v34, v11, v10
	v_cmp_ne_u32_e32 vcc, 0, v2
                                        ; implicit-def: $vgpr10_vgpr11
                                        ; implicit-def: $vgpr14
	s_and_saveexec_b64 s[18:19], vcc
	s_xor_b64 s[18:19], exec, s[18:19]
; %bb.2333:                             ;   in Loop: Header=BB2_1937 Depth=2
	v_cmp_lt_u64_e32 vcc, s[58:59], v[34:35]
	v_add_u32_e32 v10, 7, v15
	v_cndmask_b32_e32 v14, v2, v10, vcc
	v_cndmask_b32_e64 v2, 0, 1, vcc
	v_lshrrev_b64 v[10:11], v2, v[34:35]
; %bb.2334:                             ;   in Loop: Header=BB2_1937 Depth=2
	s_andn2_saveexec_b64 s[18:19], s[18:19]
; %bb.2335:                             ;   in Loop: Header=BB2_1937 Depth=2
	v_mov_b32_e32 v10, v34
	v_bfe_u32 v14, v34, 23, 1
	v_mov_b32_e32 v11, v35
; %bb.2336:                             ;   in Loop: Header=BB2_1937 Depth=2
	s_or_b64 exec, exec, s[18:19]
	v_lshrrev_b64 v[10:11], 20, v[10:11]
	v_cmp_gt_i32_e32 vcc, 16, v14
	v_cndmask_b32_e32 v11, 0, v11, vcc
	v_cndmask_b32_e32 v10, 7, v10, vcc
	v_min_i32_e32 v2, 15, v14
	v_cmp_eq_u64_e64 s[18:19], 0, v[10:11]
	v_lshlrev_b32_e32 v2, 3, v2
	v_cmp_eq_u32_e32 vcc, 0, v14
	v_and_b32_e32 v2, 0xf8, v2
	v_and_or_b32 v2, v10, 7, v2
	s_and_b64 s[18:19], vcc, s[18:19]
	v_cndmask_b32_e64 v2, v2, 0, s[18:19]
	v_or_b32_e32 v14, v2, v50
.LBB2_2337:                             ;   in Loop: Header=BB2_1937 Depth=2
	s_or_b64 exec, exec, s[90:91]
                                        ; implicit-def: $vgpr50
.LBB2_2338:                             ;   in Loop: Header=BB2_1937 Depth=2
	s_andn2_saveexec_b64 s[18:19], s[88:89]
; %bb.2339:                             ;   in Loop: Header=BB2_1937 Depth=2
	v_or_b32_e32 v14, 0x7e, v50
; %bb.2340:                             ;   in Loop: Header=BB2_1937 Depth=2
	s_or_b64 exec, exec, s[18:19]
                                        ; implicit-def: $vgpr10
.LBB2_2341:                             ;   in Loop: Header=BB2_1937 Depth=2
	s_andn2_saveexec_b64 s[18:19], s[78:79]
; %bb.2342:                             ;   in Loop: Header=BB2_1937 Depth=2
	v_or_b32_sdwa v14, v10, s50 dst_sel:DWORD dst_unused:UNUSED_PAD src0_sel:BYTE_3 src1_sel:DWORD
; %bb.2343:                             ;   in Loop: Header=BB2_1937 Depth=2
	s_or_b64 exec, exec, s[18:19]
	v_cmp_lt_u64_e32 vcc, s[60:61], v[16:17]
	v_mov_b32_e32 v11, 0
	s_and_saveexec_b64 s[18:19], vcc
	s_cbranch_execz .LBB2_2349
; %bb.2344:                             ;   in Loop: Header=BB2_1937 Depth=2
	v_lshrrev_b32_e32 v10, 24, v17
	v_cmp_ne_u32_e32 vcc, s49, v10
	v_bfrev_b32_e32 v11, 1
	s_and_saveexec_b64 s[78:79], vcc
	s_cbranch_execz .LBB2_2348
; %bb.2345:                             ;   in Loop: Header=BB2_1937 Depth=2
	v_bfe_u32 v2, v17, 24, 7
	v_cmp_ne_u32_e32 vcc, s50, v2
	v_mov_b32_e32 v11, 0x7f800001
	s_and_saveexec_b64 s[88:89], vcc
	s_cbranch_execz .LBB2_2347
; %bb.2346:                             ;   in Loop: Header=BB2_1937 Depth=2
	v_and_b32_e32 v11, 7, v10
	v_lshrrev_b32_e32 v17, 3, v2
	v_cmp_gt_u32_e32 vcc, 8, v2
	v_ffbh_u32_e32 v2, v11
	v_min_u32_e32 v2, 32, v2
	v_subrev_u32_e32 v15, 28, v2
	v_lshlrev_b64 v[15:16], v15, v[10:11]
	v_sub_u32_e32 v2, 29, v2
	v_and_b32_e32 v15, 7, v15
	v_cndmask_b32_e32 v2, v17, v2, vcc
	v_cndmask_b32_e32 v11, v11, v15, vcc
	v_lshlrev_b32_e32 v10, 24, v10
	v_lshlrev_b32_e32 v11, 20, v11
	v_and_b32_e32 v10, 0x80000000, v10
	v_lshl_add_u32 v2, v2, 23, v60
	v_or3_b32 v11, v10, v2, v11
.LBB2_2347:                             ;   in Loop: Header=BB2_1937 Depth=2
	s_or_b64 exec, exec, s[88:89]
.LBB2_2348:                             ;   in Loop: Header=BB2_1937 Depth=2
	s_or_b64 exec, exec, s[78:79]
.LBB2_2349:                             ;   in Loop: Header=BB2_1937 Depth=2
	s_or_b64 exec, exec, s[18:19]
	v_bfe_u32 v10, v13, 24, 3
	v_ffbh_u32_e32 v15, v10
	v_min_u32_e32 v25, 32, v15
	v_lshrrev_b32_e32 v2, 24, v13
	v_subrev_u32_e32 v15, 28, v25
	v_lshlrev_b64 v[15:16], v15, v[2:3]
	v_bfe_u32 v17, v13, 24, 7
	v_bfe_u32 v24, v2, 3, 4
	v_sub_u32_e32 v16, 29, v25
	v_and_b32_e32 v15, 7, v15
	v_cmp_gt_u32_e32 vcc, 8, v17
	v_cndmask_b32_e32 v16, v24, v16, vcc
	v_cndmask_b32_e32 v10, v10, v15, vcc
	v_lshlrev_b32_e32 v10, 20, v10
	v_and_b32_e32 v15, 0x80000000, v13
	v_lshl_add_u32 v16, v16, 23, v60
	v_or3_b32 v10, v15, v16, v10
	v_cmp_ne_u32_e32 vcc, s50, v17
	v_cndmask_b32_e32 v10, v61, v10, vcc
	v_cmp_ne_u32_e32 vcc, s49, v2
	v_cndmask_b32_e32 v2, v45, v10, vcc
	v_cmp_lt_u64_e32 vcc, s[60:61], v[12:13]
                                        ; implicit-def: $vgpr10
	v_cndmask_b32_e32 v2, 0, v2, vcc
	v_add_f32_e32 v11, v2, v11
	v_and_b32_e32 v34, 0x7f800000, v11
	v_cmp_ne_u64_e32 vcc, s[46:47], v[34:35]
	s_and_saveexec_b64 s[18:19], vcc
	s_xor_b64 s[78:79], exec, s[18:19]
	s_cbranch_execz .LBB2_2363
; %bb.2350:                             ;   in Loop: Header=BB2_1937 Depth=2
	v_and_b32_e32 v34, 0x7fffffff, v11
	v_cmp_gt_u64_e32 vcc, s[56:57], v[34:35]
	v_and_b32_sdwa v13, v11, s49 dst_sel:DWORD dst_unused:UNUSED_PAD src0_sel:BYTE_3 src1_sel:DWORD
                                        ; implicit-def: $vgpr10
	s_and_saveexec_b64 s[18:19], vcc
	s_xor_b64 s[88:89], exec, s[18:19]
	s_cbranch_execz .LBB2_2360
; %bb.2351:                             ;   in Loop: Header=BB2_1937 Depth=2
	v_mov_b32_e32 v10, 0
	v_cmp_ne_u32_e32 vcc, 0, v11
	s_and_saveexec_b64 s[90:91], vcc
	s_cbranch_execz .LBB2_2359
; %bb.2352:                             ;   in Loop: Header=BB2_1937 Depth=2
	v_bfe_u32 v15, v11, 23, 8
	v_cmp_gt_u32_e64 s[18:19], s51, v15
	v_sub_u32_e32 v2, 0x79, v15
	v_and_b32_e32 v10, 0x7fffff, v11
	v_cmp_eq_u32_e32 vcc, 0, v15
	v_cndmask_b32_e64 v2, 0, v2, s[18:19]
	v_or_b32_e32 v11, 0x800000, v10
	v_cndmask_b32_e32 v2, v2, v62, vcc
	v_cndmask_b32_e32 v34, v11, v10, vcc
	v_add_u32_e32 v10, 20, v2
	v_lshlrev_b64 v[10:11], v10, -1
	v_add_u32_e32 v12, 19, v2
	v_lshlrev_b64 v[16:17], v12, 1
	v_bfi_b32 v11, v11, 0, 0
	v_bfi_b32 v10, v10, 0, v34
	v_cmp_eq_u64_e64 s[18:19], v[10:11], v[16:17]
	v_lshrrev_b64 v[10:11], v2, v[34:35]
	v_mov_b32_e32 v12, v11
	v_mov_b32_e32 v11, v10
	s_and_saveexec_b64 s[92:93], s[18:19]
; %bb.2353:                             ;   in Loop: Header=BB2_1937 Depth=2
	v_bfe_u32 v11, v10, 20, 1
	v_add_co_u32_e64 v11, s[18:19], v10, v11
	v_add_co_u32_e64 v11, s[18:19], -1, v11
; %bb.2354:                             ;   in Loop: Header=BB2_1937 Depth=2
	s_or_b64 exec, exec, s[92:93]
	v_add_u32_e32 v12, 0xffffff81, v15
	v_cndmask_b32_e32 v12, v12, v59, vcc
	v_lshrrev_b32_e32 v15, 23, v10
	v_add3_u32 v15, v2, v12, v15
	v_add_u32_e32 v2, 6, v15
	v_and_b32_e32 v11, 0xfffff, v11
	v_add_u32_e32 v34, v11, v10
	v_cmp_ne_u32_e32 vcc, 0, v2
                                        ; implicit-def: $vgpr10_vgpr11
                                        ; implicit-def: $vgpr12
	s_and_saveexec_b64 s[18:19], vcc
	s_xor_b64 s[18:19], exec, s[18:19]
; %bb.2355:                             ;   in Loop: Header=BB2_1937 Depth=2
	v_cmp_lt_u64_e32 vcc, s[58:59], v[34:35]
	v_add_u32_e32 v10, 7, v15
	v_cndmask_b32_e32 v12, v2, v10, vcc
	v_cndmask_b32_e64 v2, 0, 1, vcc
	v_lshrrev_b64 v[10:11], v2, v[34:35]
; %bb.2356:                             ;   in Loop: Header=BB2_1937 Depth=2
	s_andn2_saveexec_b64 s[18:19], s[18:19]
; %bb.2357:                             ;   in Loop: Header=BB2_1937 Depth=2
	v_mov_b32_e32 v10, v34
	v_bfe_u32 v12, v34, 23, 1
	v_mov_b32_e32 v11, v35
; %bb.2358:                             ;   in Loop: Header=BB2_1937 Depth=2
	s_or_b64 exec, exec, s[18:19]
	v_lshrrev_b64 v[10:11], 20, v[10:11]
	v_cmp_gt_i32_e32 vcc, 16, v12
	v_cndmask_b32_e32 v11, 0, v11, vcc
	v_cndmask_b32_e32 v10, 7, v10, vcc
	v_min_i32_e32 v2, 15, v12
	v_cmp_eq_u64_e64 s[18:19], 0, v[10:11]
	v_lshlrev_b32_e32 v2, 3, v2
	v_cmp_eq_u32_e32 vcc, 0, v12
	v_and_b32_e32 v2, 0xf8, v2
	v_and_or_b32 v2, v10, 7, v2
	s_and_b64 s[18:19], vcc, s[18:19]
	v_cndmask_b32_e64 v2, v2, 0, s[18:19]
	v_or_b32_e32 v10, v2, v13
.LBB2_2359:                             ;   in Loop: Header=BB2_1937 Depth=2
	s_or_b64 exec, exec, s[90:91]
                                        ; implicit-def: $vgpr13
.LBB2_2360:                             ;   in Loop: Header=BB2_1937 Depth=2
	s_andn2_saveexec_b64 s[18:19], s[88:89]
; %bb.2361:                             ;   in Loop: Header=BB2_1937 Depth=2
	v_or_b32_e32 v10, 0x7e, v13
; %bb.2362:                             ;   in Loop: Header=BB2_1937 Depth=2
	s_or_b64 exec, exec, s[18:19]
                                        ; implicit-def: $vgpr11
.LBB2_2363:                             ;   in Loop: Header=BB2_1937 Depth=2
	s_andn2_saveexec_b64 s[18:19], s[78:79]
	s_cbranch_execz .LBB2_1936
; %bb.2364:                             ;   in Loop: Header=BB2_1937 Depth=2
	v_or_b32_sdwa v10, v11, s50 dst_sel:DWORD dst_unused:UNUSED_PAD src0_sel:BYTE_3 src1_sel:DWORD
	s_branch .LBB2_1936
.LBB2_2365:                             ;   in Loop: Header=BB2_1937 Depth=2
	s_or_saveexec_b64 s[78:79], s[78:79]
	v_bfrev_b32_e32 v1, 1
	s_xor_b64 exec, exec, s[78:79]
	s_cbranch_execz .LBB2_1947
.LBB2_2366:                             ;   in Loop: Header=BB2_1937 Depth=2
	v_cmp_ne_u16_sdwa s[88:89], v10, v35 src0_sel:BYTE_0 src1_sel:DWORD
	s_andn2_b64 s[18:19], s[18:19], exec
	s_and_b64 s[88:89], s[88:89], exec
	v_mov_b32_e32 v1, 0
	s_or_b64 s[18:19], s[18:19], s[88:89]
	s_or_b64 exec, exec, s[78:79]
	s_and_saveexec_b64 s[78:79], s[18:19]
	s_cbranch_execnz .LBB2_1948
	s_branch .LBB2_1949
.LBB2_2367:                             ;   in Loop: Header=BB2_1937 Depth=2
	s_or_saveexec_b64 s[78:79], s[78:79]
	v_bfrev_b32_e32 v1, 1
	s_xor_b64 exec, exec, s[78:79]
	s_cbranch_execz .LBB2_1975
.LBB2_2368:                             ;   in Loop: Header=BB2_1937 Depth=2
	v_cmp_ne_u16_e32 vcc, 0, v34
	s_andn2_b64 s[18:19], s[18:19], exec
	s_and_b64 s[88:89], vcc, exec
	v_mov_b32_e32 v1, 0
	s_or_b64 s[18:19], s[18:19], s[88:89]
	s_or_b64 exec, exec, s[78:79]
	s_and_saveexec_b64 s[78:79], s[18:19]
	s_cbranch_execnz .LBB2_1976
	s_branch .LBB2_1977
.LBB2_2369:                             ;   in Loop: Header=BB2_1937 Depth=2
	s_or_saveexec_b64 s[78:79], s[78:79]
	v_bfrev_b32_e32 v2, 1
	s_xor_b64 exec, exec, s[78:79]
	s_cbranch_execz .LBB2_2003
.LBB2_2370:                             ;   in Loop: Header=BB2_1937 Depth=2
	v_cmp_ne_u16_sdwa s[88:89], v30, v35 src0_sel:BYTE_0 src1_sel:DWORD
	s_andn2_b64 s[18:19], s[18:19], exec
	s_and_b64 s[88:89], s[88:89], exec
	v_mov_b32_e32 v2, 0
	s_or_b64 s[18:19], s[18:19], s[88:89]
	s_or_b64 exec, exec, s[78:79]
	s_and_saveexec_b64 s[78:79], s[18:19]
	s_cbranch_execnz .LBB2_2004
	s_branch .LBB2_2005
.LBB2_2371:                             ;   in Loop: Header=BB2_1937 Depth=2
	s_or_saveexec_b64 s[78:79], s[78:79]
	v_bfrev_b32_e32 v2, 1
	s_xor_b64 exec, exec, s[78:79]
	s_cbranch_execz .LBB2_2083
.LBB2_2372:                             ;   in Loop: Header=BB2_1937 Depth=2
	v_cmp_ne_u16_e32 vcc, 0, v34
	s_andn2_b64 s[18:19], s[18:19], exec
	s_and_b64 s[88:89], vcc, exec
	v_mov_b32_e32 v2, 0
	s_or_b64 s[18:19], s[18:19], s[88:89]
	s_or_b64 exec, exec, s[78:79]
	s_and_saveexec_b64 s[78:79], s[18:19]
	s_cbranch_execnz .LBB2_2084
	s_branch .LBB2_2085
.LBB2_2373:                             ;   in Loop: Header=BB2_1937 Depth=2
	s_or_saveexec_b64 s[78:79], s[78:79]
	v_bfrev_b32_e32 v2, 1
	s_xor_b64 exec, exec, s[78:79]
	s_cbranch_execz .LBB2_2111
.LBB2_2374:                             ;   in Loop: Header=BB2_1937 Depth=2
	v_cmp_ne_u16_sdwa s[88:89], v30, v35 src0_sel:BYTE_0 src1_sel:DWORD
	s_andn2_b64 s[18:19], s[18:19], exec
	s_and_b64 s[88:89], s[88:89], exec
	v_mov_b32_e32 v2, 0
	s_or_b64 s[18:19], s[18:19], s[88:89]
	s_or_b64 exec, exec, s[78:79]
	s_and_saveexec_b64 s[78:79], s[18:19]
	s_cbranch_execnz .LBB2_2112
	s_branch .LBB2_2113
.LBB2_2375:                             ;   in Loop: Header=BB2_1937 Depth=2
	s_or_saveexec_b64 s[78:79], s[78:79]
	v_bfrev_b32_e32 v2, 1
	s_xor_b64 exec, exec, s[78:79]
	s_cbranch_execz .LBB2_2161
.LBB2_2376:                             ;   in Loop: Header=BB2_1937 Depth=2
	v_cmp_ne_u16_sdwa s[88:89], v12, v35 src0_sel:BYTE_0 src1_sel:DWORD
	s_andn2_b64 s[18:19], s[18:19], exec
	s_and_b64 s[88:89], s[88:89], exec
	v_mov_b32_e32 v2, 0
	s_or_b64 s[18:19], s[18:19], s[88:89]
	s_or_b64 exec, exec, s[78:79]
	s_and_saveexec_b64 s[78:79], s[18:19]
	s_cbranch_execnz .LBB2_2162
	s_branch .LBB2_2163
.LBB2_2377:                             ;   in Loop: Header=BB2_1937 Depth=2
	s_or_saveexec_b64 s[78:79], s[78:79]
	v_bfrev_b32_e32 v2, 1
	s_xor_b64 exec, exec, s[78:79]
	s_cbranch_execz .LBB2_2189
.LBB2_2378:                             ;   in Loop: Header=BB2_1937 Depth=2
	v_cmp_ne_u16_e32 vcc, 0, v34
	s_andn2_b64 s[18:19], s[18:19], exec
	s_and_b64 s[88:89], vcc, exec
	v_mov_b32_e32 v2, 0
	s_or_b64 s[18:19], s[18:19], s[88:89]
	s_or_b64 exec, exec, s[78:79]
	s_and_saveexec_b64 s[78:79], s[18:19]
	s_cbranch_execnz .LBB2_2190
	s_branch .LBB2_2191
.LBB2_2379:                             ;   in Loop: Header=BB2_1937 Depth=2
	s_or_saveexec_b64 s[78:79], s[78:79]
	v_bfrev_b32_e32 v2, 1
	s_xor_b64 exec, exec, s[78:79]
	s_cbranch_execz .LBB2_2217
.LBB2_2380:                             ;   in Loop: Header=BB2_1937 Depth=2
	v_cmp_ne_u16_sdwa s[88:89], v10, v35 src0_sel:BYTE_0 src1_sel:DWORD
	s_andn2_b64 s[18:19], s[18:19], exec
	s_and_b64 s[88:89], s[88:89], exec
	v_mov_b32_e32 v2, 0
	s_or_b64 s[18:19], s[18:19], s[88:89]
	s_or_b64 exec, exec, s[78:79]
	s_and_saveexec_b64 s[78:79], s[18:19]
	s_cbranch_execnz .LBB2_2218
	s_branch .LBB2_2219
.LBB2_2381:                             ;   in Loop: Header=BB2_1937 Depth=2
	s_or_saveexec_b64 s[78:79], s[78:79]
	v_bfrev_b32_e32 v2, 1
	s_xor_b64 exec, exec, s[78:79]
	s_cbranch_execz .LBB2_2297
.LBB2_2382:                             ;   in Loop: Header=BB2_1937 Depth=2
	v_cmp_ne_u16_e32 vcc, 0, v34
	s_andn2_b64 s[18:19], s[18:19], exec
	s_and_b64 s[88:89], vcc, exec
	v_mov_b32_e32 v2, 0
	s_or_b64 s[18:19], s[18:19], s[88:89]
	s_or_b64 exec, exec, s[78:79]
	s_and_saveexec_b64 s[78:79], s[18:19]
	s_cbranch_execnz .LBB2_2298
	s_branch .LBB2_2299
.LBB2_2383:                             ;   in Loop: Header=BB2_1937 Depth=2
	s_or_saveexec_b64 s[78:79], s[78:79]
	v_bfrev_b32_e32 v2, 1
	s_xor_b64 exec, exec, s[78:79]
	s_cbranch_execz .LBB2_2325
.LBB2_2384:                             ;   in Loop: Header=BB2_1937 Depth=2
	v_cmp_ne_u16_sdwa s[88:89], v10, v35 src0_sel:BYTE_0 src1_sel:DWORD
	s_andn2_b64 s[18:19], s[18:19], exec
	s_and_b64 s[88:89], s[88:89], exec
	v_mov_b32_e32 v2, 0
	s_or_b64 s[18:19], s[18:19], s[88:89]
	s_or_b64 exec, exec, s[78:79]
	s_and_saveexec_b64 s[78:79], s[18:19]
	s_cbranch_execnz .LBB2_2326
	s_branch .LBB2_2327
.LBB2_2385:                             ;   in Loop: Header=BB2_1409 Depth=1
	s_or_b64 exec, exec, s[76:77]
	buffer_load_dword v55, off, s[0:3], s33 offset:92 ; 4-byte Folded Reload
	buffer_load_dword v24, off, s[0:3], s33 offset:100 ; 4-byte Folded Reload
	;; [unrolled: 1-line block ×9, first 2 shown]
.LBB2_2386:                             ;   in Loop: Header=BB2_1409 Depth=1
	s_or_b64 exec, exec, s[74:75]
	v_cmp_lt_i32_e32 vcc, 0, v3
	v_cndmask_b32_e32 v0, 0, v47, vcc
	v_sub_u32_e32 v0, v0, v3
	s_mov_b64 s[74:75], exec
	s_waitcnt vmcnt(0)
	v_lshl_add_u32 v1, v0, 6, v11
.LBB2_2387:                             ;   in Loop: Header=BB2_1409 Depth=1
	s_or_b64 exec, exec, s[20:21]
	s_and_saveexec_b64 s[20:21], s[74:75]
	s_cbranch_execz .LBB2_2684
.LBB2_2388:                             ;   in Loop: Header=BB2_1409 Depth=1
	buffer_load_dword v2, off, s[0:3], s33 offset:72 ; 4-byte Folded Reload
	v_ashrrev_i32_e32 v0, 31, v1
	v_lshrrev_b32_e32 v0, 26, v0
	v_add_u32_e32 v0, v1, v0
	v_ashrrev_i32_e32 v3, 6, v0
	s_waitcnt vmcnt(0)
	v_lshrrev_b32_e32 v2, 9, v2
	v_sub_u32_e32 v21, v2, v3
	v_cmp_lt_i32_e32 vcc, 0, v21
	s_and_saveexec_b64 s[74:75], vcc
	s_cbranch_execz .LBB2_2648
; %bb.2389:                             ;   in Loop: Header=BB2_1409 Depth=1
	v_and_b32_e32 v0, 0xffffffc0, v0
	v_sub_u32_e32 v0, v1, v0
	v_lshlrev_b32_e32 v2, 9, v3
	v_add3_u32 v0, v10, v0, v2
	s_trap 2
	ds_read_b64 v[12:13], v0
	v_mov_b32_e32 v56, v10
	v_ashrrev_i32_e32 v2, 31, v0
	v_add_co_u32_e32 v10, vcc, v0, v16
	v_addc_co_u32_e32 v11, vcc, v2, v17, vcc
	s_waitcnt lgkmcnt(0)
	v_add_co_u32_e32 v12, vcc, v12, v0
	v_addc_co_u32_e32 v13, vcc, v13, v2, vcc
	v_add_co_u32_e32 v14, vcc, 0x1c0, v14
	v_addc_co_u32_e32 v15, vcc, 0, v15, vcc
	;; [unrolled: 2-line block ×3, first 2 shown]
	s_mov_b64 s[76:77], 0
	s_branch .LBB2_2391
.LBB2_2390:                             ;   in Loop: Header=BB2_2391 Depth=2
	s_or_b64 exec, exec, s[18:19]
	v_add_co_u32_e32 v24, vcc, 0xfffffe40, v14
	v_addc_co_u32_e32 v25, vcc, -1, v15, vcc
	flat_store_byte v[24:25], v31 glc slc
	v_add_co_u32_e32 v24, vcc, 0xfffffe80, v14
	v_addc_co_u32_e32 v25, vcc, -1, v15, vcc
	flat_store_byte v[24:25], v50 glc slc
	;; [unrolled: 3-line block ×7, first 2 shown]
	flat_store_byte v[14:15], v17 glc slc
	buffer_load_dword v0, off, s[0:3], s33 offset:68 ; 4-byte Folded Reload
	v_sub_u32_e32 v21, v21, v47
	s_waitcnt vmcnt(0)
	v_add_co_u32_e32 v10, vcc, v10, v0
	v_addc_co_u32_e32 v11, vcc, 0, v11, vcc
	v_add_co_u32_e32 v12, vcc, v12, v0
	v_addc_co_u32_e32 v13, vcc, 0, v13, vcc
	v_cmp_gt_i32_e32 vcc, 1, v21
	s_or_b64 s[76:77], vcc, s[76:77]
	v_add_co_u32_e32 v14, vcc, v14, v0
	v_addc_co_u32_e32 v15, vcc, 0, v15, vcc
	s_andn2_b64 exec, exec, s[76:77]
	s_cbranch_execz .LBB2_2647
.LBB2_2391:                             ;   Parent Loop BB2_1409 Depth=1
                                        ; =>  This Inner Loop Header: Depth=2
	flat_load_ubyte v48, v[10:11] glc slc
	flat_load_ubyte v42, v[10:11] offset:64 glc slc
	flat_load_ubyte v41, v[10:11] offset:128 glc slc
	;; [unrolled: 1-line block ×7, first 2 shown]
	flat_load_ubyte v17, v[12:13] glc slc
	flat_load_ubyte v50, v[12:13] offset:64 glc slc
	flat_load_ubyte v19, v[12:13] offset:128 glc slc
	;; [unrolled: 1-line block ×7, first 2 shown]
	v_mov_b32_e32 v31, 0
	v_mov_b32_e32 v34, 0
	s_waitcnt vmcnt(0) lgkmcnt(0)
	v_cmp_ne_u16_e32 vcc, 0, v48
	s_and_saveexec_b64 s[18:19], vcc
	s_cbranch_execz .LBB2_2397
; %bb.2392:                             ;   in Loop: Header=BB2_2391 Depth=2
	v_cmp_ne_u16_e32 vcc, s49, v48
	v_bfrev_b32_e32 v34, 1
	s_and_saveexec_b64 s[78:79], vcc
	s_cbranch_execz .LBB2_2396
; %bb.2393:                             ;   in Loop: Header=BB2_2391 Depth=2
	v_and_b32_e32 v16, 0xffff, v48
	v_and_b32_e32 v2, 0x7f, v16
	v_cmp_ne_u32_e32 vcc, s50, v2
	v_mov_b32_e32 v34, 0x7f800001
	s_and_saveexec_b64 s[88:89], vcc
	s_cbranch_execz .LBB2_2395
; %bb.2394:                             ;   in Loop: Header=BB2_2391 Depth=2
	v_and_b32_e32 v34, 7, v16
	v_lshrrev_b32_e32 v49, 3, v2
	v_cmp_gt_u32_e32 vcc, 8, v2
	v_ffbh_u32_e32 v2, v34
	v_min_u32_e32 v2, 32, v2
	v_subrev_u32_e32 v24, 28, v2
	v_lshlrev_b64 v[24:25], v24, v[16:17]
	v_sub_u32_e32 v2, 29, v2
	v_and_b32_e32 v16, 7, v24
	v_cndmask_b32_e32 v2, v49, v2, vcc
	v_cndmask_b32_e32 v16, v34, v16, vcc
	v_lshlrev_b32_e32 v24, 24, v48
	v_lshlrev_b32_e32 v16, 20, v16
	v_and_b32_e32 v24, 0x80000000, v24
	v_lshl_add_u32 v2, v2, 23, v60
	v_or3_b32 v34, v24, v2, v16
.LBB2_2395:                             ;   in Loop: Header=BB2_2391 Depth=2
	s_or_b64 exec, exec, s[88:89]
.LBB2_2396:                             ;   in Loop: Header=BB2_2391 Depth=2
	s_or_b64 exec, exec, s[78:79]
.LBB2_2397:                             ;   in Loop: Header=BB2_2391 Depth=2
	s_or_b64 exec, exec, s[18:19]
	v_and_b32_e32 v16, 0xff, v17
	v_cmp_ne_u16_e32 vcc, 0, v16
	s_and_saveexec_b64 s[18:19], vcc
	s_cbranch_execz .LBB2_2403
; %bb.2398:                             ;   in Loop: Header=BB2_2391 Depth=2
	v_cmp_ne_u16_e32 vcc, s49, v16
	v_bfrev_b32_e32 v31, 1
	s_and_saveexec_b64 s[78:79], vcc
	s_cbranch_execz .LBB2_2402
; %bb.2399:                             ;   in Loop: Header=BB2_2391 Depth=2
	v_and_b32_e32 v2, 0x7f, v17
	v_cmp_ne_u32_e32 vcc, s50, v2
	v_mov_b32_e32 v31, 0x7f800001
	s_and_saveexec_b64 s[88:89], vcc
	s_cbranch_execz .LBB2_2401
; %bb.2400:                             ;   in Loop: Header=BB2_2391 Depth=2
	v_and_b32_e32 v31, 7, v16
	v_lshrrev_b32_e32 v48, 3, v2
	v_cmp_gt_u32_e32 vcc, 8, v2
	v_ffbh_u32_e32 v2, v31
	v_min_u32_e32 v2, 32, v2
	v_subrev_u32_e32 v24, 28, v2
	v_lshlrev_b64 v[24:25], v24, v[16:17]
	v_sub_u32_e32 v2, 29, v2
	v_and_b32_e32 v16, 7, v24
	v_cndmask_b32_e32 v2, v48, v2, vcc
	v_cndmask_b32_e32 v16, v31, v16, vcc
	v_lshlrev_b32_e32 v17, 24, v17
	v_lshlrev_b32_e32 v16, 20, v16
	v_and_b32_e32 v17, 0x80000000, v17
	v_lshl_add_u32 v2, v2, 23, v60
	v_or3_b32 v31, v17, v2, v16
.LBB2_2401:                             ;   in Loop: Header=BB2_2391 Depth=2
	s_or_b64 exec, exec, s[88:89]
.LBB2_2402:                             ;   in Loop: Header=BB2_2391 Depth=2
	s_or_b64 exec, exec, s[78:79]
.LBB2_2403:                             ;   in Loop: Header=BB2_2391 Depth=2
	s_or_b64 exec, exec, s[18:19]
	v_add_f32_e32 v16, v34, v31
	v_and_b32_e32 v34, 0x7f800000, v16
	v_cmp_ne_u64_e32 vcc, s[46:47], v[34:35]
                                        ; implicit-def: $vgpr31
	s_and_saveexec_b64 s[18:19], vcc
	s_xor_b64 s[78:79], exec, s[18:19]
	s_cbranch_execz .LBB2_2421
; %bb.2404:                             ;   in Loop: Header=BB2_2391 Depth=2
	v_and_b32_e32 v34, 0x7fffffff, v16
	v_cmp_gt_u64_e32 vcc, s[56:57], v[34:35]
	v_and_b32_sdwa v43, v16, s49 dst_sel:DWORD dst_unused:UNUSED_PAD src0_sel:BYTE_3 src1_sel:DWORD
                                        ; implicit-def: $vgpr31
	s_and_saveexec_b64 s[18:19], vcc
	s_xor_b64 s[88:89], exec, s[18:19]
	s_cbranch_execz .LBB2_2418
; %bb.2405:                             ;   in Loop: Header=BB2_2391 Depth=2
	v_cmp_ne_u32_e32 vcc, 0, v16
	v_mov_b32_e32 v31, 0
	s_and_saveexec_b64 s[90:91], vcc
	s_cbranch_execz .LBB2_2417
; %bb.2406:                             ;   in Loop: Header=BB2_2391 Depth=2
	v_bfe_u32 v31, v16, 23, 8
	v_cmp_gt_u32_e64 s[18:19], s51, v31
	v_sub_u32_e32 v2, 0x79, v31
	v_and_b32_e32 v17, 0x7fffff, v16
	v_cmp_eq_u32_e32 vcc, 0, v31
	v_cndmask_b32_e64 v2, 0, v2, s[18:19]
	v_or_b32_e32 v16, 0x800000, v17
	v_cndmask_b32_e32 v2, v2, v62, vcc
	v_cndmask_b32_e32 v34, v16, v17, vcc
	v_add_u32_e32 v16, 20, v2
	v_lshlrev_b64 v[16:17], v16, -1
	v_add_u32_e32 v24, 19, v2
	v_lshlrev_b64 v[24:25], v24, 1
	v_bfi_b32 v17, v17, 0, 0
	v_bfi_b32 v16, v16, 0, v34
	v_cmp_eq_u64_e64 s[18:19], v[16:17], v[24:25]
	v_lshrrev_b64 v[16:17], v2, v[34:35]
	v_mov_b32_e32 v49, v17
	v_mov_b32_e32 v48, v16
	s_and_saveexec_b64 s[92:93], s[18:19]
; %bb.2407:                             ;   in Loop: Header=BB2_2391 Depth=2
	v_bfe_u32 v17, v16, 20, 1
	v_add_co_u32_e64 v17, s[18:19], v16, v17
	v_add_co_u32_e64 v48, s[18:19], -1, v17
; %bb.2408:                             ;   in Loop: Header=BB2_2391 Depth=2
	s_or_b64 exec, exec, s[92:93]
	v_add_u32_e32 v17, 0xffffff81, v31
	v_cndmask_b32_e32 v17, v17, v59, vcc
	v_lshrrev_b32_e32 v24, 23, v16
	v_add3_u32 v31, v2, v17, v24
	v_add_u32_e32 v2, 6, v31
	v_and_b32_e32 v17, 0xfffff, v48
	v_add_u32_e32 v34, v17, v16
	v_cmp_ne_u32_e32 vcc, 0, v2
                                        ; implicit-def: $vgpr16_vgpr17
                                        ; implicit-def: $vgpr48
	s_and_saveexec_b64 s[18:19], vcc
	s_xor_b64 s[18:19], exec, s[18:19]
; %bb.2409:                             ;   in Loop: Header=BB2_2391 Depth=2
	v_cmp_lt_u64_e32 vcc, s[58:59], v[34:35]
	v_add_u32_e32 v16, 7, v31
	v_cndmask_b32_e32 v48, v2, v16, vcc
	v_cndmask_b32_e64 v2, 0, 1, vcc
	v_lshrrev_b64 v[16:17], v2, v[34:35]
; %bb.2410:                             ;   in Loop: Header=BB2_2391 Depth=2
	s_andn2_saveexec_b64 s[18:19], s[18:19]
; %bb.2411:                             ;   in Loop: Header=BB2_2391 Depth=2
	v_mov_b32_e32 v16, v34
	v_bfe_u32 v48, v34, 23, 1
	v_mov_b32_e32 v17, v35
; %bb.2412:                             ;   in Loop: Header=BB2_2391 Depth=2
	s_or_b64 exec, exec, s[18:19]
	v_lshrrev_b64 v[16:17], 20, v[16:17]
	v_cmp_gt_i32_e32 vcc, 16, v48
	v_cndmask_b32_e32 v17, 0, v17, vcc
	v_cndmask_b32_e32 v16, 7, v16, vcc
	v_cmp_ne_u64_e32 vcc, 0, v[16:17]
	v_cmp_ne_u32_e64 s[18:19], 0, v48
	s_or_b64 s[18:19], s[18:19], vcc
                                        ; implicit-def: $vgpr31
	s_and_saveexec_b64 s[92:93], s[18:19]
	s_xor_b64 s[18:19], exec, s[92:93]
; %bb.2413:                             ;   in Loop: Header=BB2_2391 Depth=2
	v_min_i32_e32 v2, 15, v48
	v_lshl_or_b32 v2, v2, 3, v43
	v_and_or_b32 v31, v16, 7, v2
                                        ; implicit-def: $vgpr43
; %bb.2414:                             ;   in Loop: Header=BB2_2391 Depth=2
	s_andn2_saveexec_b64 s[18:19], s[18:19]
; %bb.2415:                             ;   in Loop: Header=BB2_2391 Depth=2
	v_mov_b32_e32 v31, v43
; %bb.2416:                             ;   in Loop: Header=BB2_2391 Depth=2
	s_or_b64 exec, exec, s[18:19]
.LBB2_2417:                             ;   in Loop: Header=BB2_2391 Depth=2
	s_or_b64 exec, exec, s[90:91]
                                        ; implicit-def: $vgpr43
.LBB2_2418:                             ;   in Loop: Header=BB2_2391 Depth=2
	s_andn2_saveexec_b64 s[18:19], s[88:89]
; %bb.2419:                             ;   in Loop: Header=BB2_2391 Depth=2
	v_or_b32_e32 v31, 0x7e, v43
; %bb.2420:                             ;   in Loop: Header=BB2_2391 Depth=2
	s_or_b64 exec, exec, s[18:19]
                                        ; implicit-def: $vgpr16
.LBB2_2421:                             ;   in Loop: Header=BB2_2391 Depth=2
	s_andn2_saveexec_b64 s[18:19], s[78:79]
; %bb.2422:                             ;   in Loop: Header=BB2_2391 Depth=2
	v_or_b32_sdwa v31, v16, s50 dst_sel:DWORD dst_unused:UNUSED_PAD src0_sel:BYTE_3 src1_sel:DWORD
; %bb.2423:                             ;   in Loop: Header=BB2_2391 Depth=2
	s_or_b64 exec, exec, s[18:19]
	v_and_b32_e32 v16, 0xff, v42
	v_cmp_ne_u16_e32 vcc, 0, v16
	v_mov_b32_e32 v17, 0
	v_mov_b32_e32 v34, 0
	s_and_saveexec_b64 s[18:19], vcc
	s_cbranch_execz .LBB2_2429
; %bb.2424:                             ;   in Loop: Header=BB2_2391 Depth=2
	v_cmp_ne_u16_e32 vcc, s49, v16
	v_bfrev_b32_e32 v34, 1
	s_and_saveexec_b64 s[78:79], vcc
	s_cbranch_execz .LBB2_2428
; %bb.2425:                             ;   in Loop: Header=BB2_2391 Depth=2
	v_and_b32_e32 v2, 0x7f, v42
	v_cmp_ne_u32_e32 vcc, s50, v2
	v_mov_b32_e32 v34, 0x7f800001
	s_and_saveexec_b64 s[88:89], vcc
	s_cbranch_execz .LBB2_2427
; %bb.2426:                             ;   in Loop: Header=BB2_2391 Depth=2
	v_and_b32_e32 v34, 7, v16
	v_lshrrev_b32_e32 v48, 3, v2
	v_cmp_gt_u32_e32 vcc, 8, v2
	v_ffbh_u32_e32 v2, v34
	v_min_u32_e32 v2, 32, v2
	v_subrev_u32_e32 v24, 28, v2
	v_lshlrev_b64 v[24:25], v24, v[16:17]
	v_sub_u32_e32 v2, 29, v2
	v_and_b32_e32 v16, 7, v24
	v_cndmask_b32_e32 v2, v48, v2, vcc
	v_cndmask_b32_e32 v16, v34, v16, vcc
	v_lshlrev_b32_e32 v24, 24, v42
	v_lshlrev_b32_e32 v16, 20, v16
	v_and_b32_e32 v24, 0x80000000, v24
	v_lshl_add_u32 v2, v2, 23, v60
	v_or3_b32 v34, v24, v2, v16
.LBB2_2427:                             ;   in Loop: Header=BB2_2391 Depth=2
	s_or_b64 exec, exec, s[88:89]
.LBB2_2428:                             ;   in Loop: Header=BB2_2391 Depth=2
	s_or_b64 exec, exec, s[78:79]
.LBB2_2429:                             ;   in Loop: Header=BB2_2391 Depth=2
	s_or_b64 exec, exec, s[18:19]
	v_and_b32_e32 v16, 0xff, v50
	v_cmp_ne_u16_e32 vcc, 0, v16
	s_and_saveexec_b64 s[18:19], vcc
	s_cbranch_execz .LBB2_2435
; %bb.2430:                             ;   in Loop: Header=BB2_2391 Depth=2
	v_cmp_ne_u16_e32 vcc, s49, v16
	v_bfrev_b32_e32 v17, 1
	s_and_saveexec_b64 s[78:79], vcc
	s_cbranch_execz .LBB2_2434
; %bb.2431:                             ;   in Loop: Header=BB2_2391 Depth=2
	v_and_b32_e32 v2, 0x7f, v50
	v_cmp_ne_u32_e32 vcc, s50, v2
	v_mov_b32_e32 v17, 0x7f800001
	s_and_saveexec_b64 s[88:89], vcc
	s_cbranch_execz .LBB2_2433
; %bb.2432:                             ;   in Loop: Header=BB2_2391 Depth=2
	v_and_b32_e32 v24, 7, v16
	v_lshrrev_b32_e32 v25, 3, v2
	v_cmp_gt_u32_e32 vcc, 8, v2
	v_ffbh_u32_e32 v2, v24
	v_min_u32_e32 v2, 32, v2
	v_subrev_u32_e32 v17, 28, v2
	v_lshlrev_b64 v[16:17], v17, v[16:17]
	v_sub_u32_e32 v2, 29, v2
	v_and_b32_e32 v16, 7, v16
	v_cndmask_b32_e32 v2, v25, v2, vcc
	v_cndmask_b32_e32 v16, v24, v16, vcc
	v_lshlrev_b32_e32 v17, 24, v50
	v_lshlrev_b32_e32 v16, 20, v16
	v_and_b32_e32 v17, 0x80000000, v17
	v_lshl_add_u32 v2, v2, 23, v60
	v_or3_b32 v17, v17, v2, v16
.LBB2_2433:                             ;   in Loop: Header=BB2_2391 Depth=2
	s_or_b64 exec, exec, s[88:89]
.LBB2_2434:                             ;   in Loop: Header=BB2_2391 Depth=2
	s_or_b64 exec, exec, s[78:79]
.LBB2_2435:                             ;   in Loop: Header=BB2_2391 Depth=2
	s_or_b64 exec, exec, s[18:19]
	v_add_f32_e32 v16, v34, v17
	v_and_b32_e32 v34, 0x7f800000, v16
	v_cmp_ne_u64_e32 vcc, s[46:47], v[34:35]
                                        ; implicit-def: $vgpr50
	s_and_saveexec_b64 s[18:19], vcc
	s_xor_b64 s[78:79], exec, s[18:19]
	s_cbranch_execz .LBB2_2453
; %bb.2436:                             ;   in Loop: Header=BB2_2391 Depth=2
	v_and_b32_e32 v34, 0x7fffffff, v16
	v_cmp_gt_u64_e32 vcc, s[56:57], v[34:35]
	v_and_b32_sdwa v42, v16, s49 dst_sel:DWORD dst_unused:UNUSED_PAD src0_sel:BYTE_3 src1_sel:DWORD
                                        ; implicit-def: $vgpr50
	s_and_saveexec_b64 s[18:19], vcc
	s_xor_b64 s[88:89], exec, s[18:19]
	s_cbranch_execz .LBB2_2450
; %bb.2437:                             ;   in Loop: Header=BB2_2391 Depth=2
	v_cmp_ne_u32_e32 vcc, 0, v16
	v_mov_b32_e32 v50, 0
	s_and_saveexec_b64 s[90:91], vcc
	s_cbranch_execz .LBB2_2449
; %bb.2438:                             ;   in Loop: Header=BB2_2391 Depth=2
	v_bfe_u32 v50, v16, 23, 8
	v_cmp_gt_u32_e64 s[18:19], s51, v50
	v_sub_u32_e32 v2, 0x79, v50
	v_and_b32_e32 v17, 0x7fffff, v16
	v_cmp_eq_u32_e32 vcc, 0, v50
	v_cndmask_b32_e64 v2, 0, v2, s[18:19]
	v_or_b32_e32 v16, 0x800000, v17
	v_cndmask_b32_e32 v2, v2, v62, vcc
	v_cndmask_b32_e32 v34, v16, v17, vcc
	v_add_u32_e32 v16, 20, v2
	v_lshlrev_b64 v[16:17], v16, -1
	v_add_u32_e32 v24, 19, v2
	v_lshlrev_b64 v[24:25], v24, 1
	v_bfi_b32 v17, v17, 0, 0
	v_bfi_b32 v16, v16, 0, v34
	v_cmp_eq_u64_e64 s[18:19], v[16:17], v[24:25]
	v_lshrrev_b64 v[16:17], v2, v[34:35]
	v_mov_b32_e32 v49, v17
	v_mov_b32_e32 v48, v16
	s_and_saveexec_b64 s[92:93], s[18:19]
; %bb.2439:                             ;   in Loop: Header=BB2_2391 Depth=2
	v_bfe_u32 v17, v16, 20, 1
	v_add_co_u32_e64 v17, s[18:19], v16, v17
	v_add_co_u32_e64 v48, s[18:19], -1, v17
; %bb.2440:                             ;   in Loop: Header=BB2_2391 Depth=2
	s_or_b64 exec, exec, s[92:93]
	v_add_u32_e32 v17, 0xffffff81, v50
	v_cndmask_b32_e32 v17, v17, v59, vcc
	v_lshrrev_b32_e32 v24, 23, v16
	v_add3_u32 v49, v2, v17, v24
	v_add_u32_e32 v2, 6, v49
	v_and_b32_e32 v17, 0xfffff, v48
	v_add_u32_e32 v34, v17, v16
	v_cmp_ne_u32_e32 vcc, 0, v2
                                        ; implicit-def: $vgpr16_vgpr17
                                        ; implicit-def: $vgpr48
	s_and_saveexec_b64 s[18:19], vcc
	s_xor_b64 s[18:19], exec, s[18:19]
; %bb.2441:                             ;   in Loop: Header=BB2_2391 Depth=2
	v_cmp_lt_u64_e32 vcc, s[58:59], v[34:35]
	v_add_u32_e32 v16, 7, v49
	v_cndmask_b32_e32 v48, v2, v16, vcc
	v_cndmask_b32_e64 v2, 0, 1, vcc
	v_lshrrev_b64 v[16:17], v2, v[34:35]
; %bb.2442:                             ;   in Loop: Header=BB2_2391 Depth=2
	s_andn2_saveexec_b64 s[18:19], s[18:19]
; %bb.2443:                             ;   in Loop: Header=BB2_2391 Depth=2
	v_mov_b32_e32 v16, v34
	v_bfe_u32 v48, v34, 23, 1
	v_mov_b32_e32 v17, v35
; %bb.2444:                             ;   in Loop: Header=BB2_2391 Depth=2
	s_or_b64 exec, exec, s[18:19]
	v_lshrrev_b64 v[16:17], 20, v[16:17]
	v_cmp_gt_i32_e32 vcc, 16, v48
	v_cndmask_b32_e32 v17, 0, v17, vcc
	v_cndmask_b32_e32 v16, 7, v16, vcc
	v_cmp_ne_u64_e32 vcc, 0, v[16:17]
	v_cmp_ne_u32_e64 s[18:19], 0, v48
	s_or_b64 s[18:19], s[18:19], vcc
                                        ; implicit-def: $vgpr50
	s_and_saveexec_b64 s[92:93], s[18:19]
	s_xor_b64 s[18:19], exec, s[92:93]
; %bb.2445:                             ;   in Loop: Header=BB2_2391 Depth=2
	v_min_i32_e32 v2, 15, v48
	v_lshl_or_b32 v2, v2, 3, v42
	v_and_or_b32 v50, v16, 7, v2
                                        ; implicit-def: $vgpr42
; %bb.2446:                             ;   in Loop: Header=BB2_2391 Depth=2
	s_andn2_saveexec_b64 s[18:19], s[18:19]
; %bb.2447:                             ;   in Loop: Header=BB2_2391 Depth=2
	v_mov_b32_e32 v50, v42
; %bb.2448:                             ;   in Loop: Header=BB2_2391 Depth=2
	s_or_b64 exec, exec, s[18:19]
.LBB2_2449:                             ;   in Loop: Header=BB2_2391 Depth=2
	s_or_b64 exec, exec, s[90:91]
                                        ; implicit-def: $vgpr42
.LBB2_2450:                             ;   in Loop: Header=BB2_2391 Depth=2
	s_andn2_saveexec_b64 s[18:19], s[88:89]
; %bb.2451:                             ;   in Loop: Header=BB2_2391 Depth=2
	v_or_b32_e32 v50, 0x7e, v42
; %bb.2452:                             ;   in Loop: Header=BB2_2391 Depth=2
	s_or_b64 exec, exec, s[18:19]
                                        ; implicit-def: $vgpr16
.LBB2_2453:                             ;   in Loop: Header=BB2_2391 Depth=2
	s_andn2_saveexec_b64 s[18:19], s[78:79]
; %bb.2454:                             ;   in Loop: Header=BB2_2391 Depth=2
	v_or_b32_sdwa v50, v16, s50 dst_sel:DWORD dst_unused:UNUSED_PAD src0_sel:BYTE_3 src1_sel:DWORD
; %bb.2455:                             ;   in Loop: Header=BB2_2391 Depth=2
	s_or_b64 exec, exec, s[18:19]
	v_and_b32_e32 v16, 0xff, v41
	v_cmp_ne_u16_e32 vcc, 0, v16
	v_mov_b32_e32 v17, 0
	v_mov_b32_e32 v34, 0
	s_and_saveexec_b64 s[18:19], vcc
	s_cbranch_execz .LBB2_2461
; %bb.2456:                             ;   in Loop: Header=BB2_2391 Depth=2
	v_cmp_ne_u16_e32 vcc, s49, v16
	v_bfrev_b32_e32 v34, 1
	s_and_saveexec_b64 s[78:79], vcc
	s_cbranch_execz .LBB2_2460
; %bb.2457:                             ;   in Loop: Header=BB2_2391 Depth=2
	v_and_b32_e32 v2, 0x7f, v41
	v_cmp_ne_u32_e32 vcc, s50, v2
	v_mov_b32_e32 v34, 0x7f800001
	s_and_saveexec_b64 s[88:89], vcc
	s_cbranch_execz .LBB2_2459
; %bb.2458:                             ;   in Loop: Header=BB2_2391 Depth=2
	v_and_b32_e32 v34, 7, v16
	v_lshrrev_b32_e32 v48, 3, v2
	v_cmp_gt_u32_e32 vcc, 8, v2
	v_ffbh_u32_e32 v2, v34
	v_min_u32_e32 v2, 32, v2
	v_subrev_u32_e32 v24, 28, v2
	v_lshlrev_b64 v[24:25], v24, v[16:17]
	v_sub_u32_e32 v2, 29, v2
	v_and_b32_e32 v16, 7, v24
	v_cndmask_b32_e32 v2, v48, v2, vcc
	v_cndmask_b32_e32 v16, v34, v16, vcc
	v_lshlrev_b32_e32 v24, 24, v41
	v_lshlrev_b32_e32 v16, 20, v16
	v_and_b32_e32 v24, 0x80000000, v24
	v_lshl_add_u32 v2, v2, 23, v60
	v_or3_b32 v34, v24, v2, v16
.LBB2_2459:                             ;   in Loop: Header=BB2_2391 Depth=2
	s_or_b64 exec, exec, s[88:89]
.LBB2_2460:                             ;   in Loop: Header=BB2_2391 Depth=2
	s_or_b64 exec, exec, s[78:79]
.LBB2_2461:                             ;   in Loop: Header=BB2_2391 Depth=2
	s_or_b64 exec, exec, s[18:19]
	v_and_b32_e32 v16, 0xff, v19
	v_cmp_ne_u16_e32 vcc, 0, v16
	s_and_saveexec_b64 s[18:19], vcc
	s_cbranch_execz .LBB2_2467
; %bb.2462:                             ;   in Loop: Header=BB2_2391 Depth=2
	v_cmp_ne_u16_e32 vcc, s49, v16
	v_bfrev_b32_e32 v17, 1
	s_and_saveexec_b64 s[78:79], vcc
	s_cbranch_execz .LBB2_2466
; %bb.2463:                             ;   in Loop: Header=BB2_2391 Depth=2
	v_and_b32_e32 v2, 0x7f, v19
	v_cmp_ne_u32_e32 vcc, s50, v2
	v_mov_b32_e32 v17, 0x7f800001
	s_and_saveexec_b64 s[88:89], vcc
	s_cbranch_execz .LBB2_2465
; %bb.2464:                             ;   in Loop: Header=BB2_2391 Depth=2
	v_and_b32_e32 v24, 7, v16
	v_lshrrev_b32_e32 v25, 3, v2
	v_cmp_gt_u32_e32 vcc, 8, v2
	v_ffbh_u32_e32 v2, v24
	v_min_u32_e32 v2, 32, v2
	v_subrev_u32_e32 v17, 28, v2
	v_lshlrev_b64 v[16:17], v17, v[16:17]
	v_sub_u32_e32 v2, 29, v2
	v_and_b32_e32 v16, 7, v16
	v_cndmask_b32_e32 v2, v25, v2, vcc
	v_cndmask_b32_e32 v16, v24, v16, vcc
	v_lshlrev_b32_e32 v17, 24, v19
	v_lshlrev_b32_e32 v16, 20, v16
	v_and_b32_e32 v17, 0x80000000, v17
	v_lshl_add_u32 v2, v2, 23, v60
	v_or3_b32 v17, v17, v2, v16
.LBB2_2465:                             ;   in Loop: Header=BB2_2391 Depth=2
	s_or_b64 exec, exec, s[88:89]
.LBB2_2466:                             ;   in Loop: Header=BB2_2391 Depth=2
	s_or_b64 exec, exec, s[78:79]
.LBB2_2467:                             ;   in Loop: Header=BB2_2391 Depth=2
	s_or_b64 exec, exec, s[18:19]
	v_add_f32_e32 v16, v34, v17
	v_and_b32_e32 v34, 0x7f800000, v16
	v_cmp_ne_u64_e32 vcc, s[46:47], v[34:35]
                                        ; implicit-def: $vgpr19
	s_and_saveexec_b64 s[18:19], vcc
	s_xor_b64 s[78:79], exec, s[18:19]
	s_cbranch_execz .LBB2_2485
; %bb.2468:                             ;   in Loop: Header=BB2_2391 Depth=2
	v_and_b32_e32 v34, 0x7fffffff, v16
	v_cmp_gt_u64_e32 vcc, s[56:57], v[34:35]
	v_and_b32_sdwa v41, v16, s49 dst_sel:DWORD dst_unused:UNUSED_PAD src0_sel:BYTE_3 src1_sel:DWORD
                                        ; implicit-def: $vgpr19
	s_and_saveexec_b64 s[18:19], vcc
	s_xor_b64 s[88:89], exec, s[18:19]
	s_cbranch_execz .LBB2_2482
; %bb.2469:                             ;   in Loop: Header=BB2_2391 Depth=2
	v_cmp_ne_u32_e32 vcc, 0, v16
	v_mov_b32_e32 v19, 0
	s_and_saveexec_b64 s[90:91], vcc
	s_cbranch_execz .LBB2_2481
; %bb.2470:                             ;   in Loop: Header=BB2_2391 Depth=2
	v_bfe_u32 v19, v16, 23, 8
	v_cmp_gt_u32_e64 s[18:19], s51, v19
	v_sub_u32_e32 v2, 0x79, v19
	v_and_b32_e32 v17, 0x7fffff, v16
	v_cmp_eq_u32_e32 vcc, 0, v19
	v_cndmask_b32_e64 v2, 0, v2, s[18:19]
	v_or_b32_e32 v16, 0x800000, v17
	v_cndmask_b32_e32 v2, v2, v62, vcc
	v_cndmask_b32_e32 v34, v16, v17, vcc
	v_add_u32_e32 v16, 20, v2
	v_lshlrev_b64 v[16:17], v16, -1
	v_add_u32_e32 v24, 19, v2
	v_lshlrev_b64 v[24:25], v24, 1
	v_bfi_b32 v17, v17, 0, 0
	v_bfi_b32 v16, v16, 0, v34
	v_cmp_eq_u64_e64 s[18:19], v[16:17], v[24:25]
	v_lshrrev_b64 v[16:17], v2, v[34:35]
	v_mov_b32_e32 v49, v17
	v_mov_b32_e32 v48, v16
	s_and_saveexec_b64 s[92:93], s[18:19]
; %bb.2471:                             ;   in Loop: Header=BB2_2391 Depth=2
	v_bfe_u32 v17, v16, 20, 1
	v_add_co_u32_e64 v17, s[18:19], v16, v17
	v_add_co_u32_e64 v48, s[18:19], -1, v17
; %bb.2472:                             ;   in Loop: Header=BB2_2391 Depth=2
	s_or_b64 exec, exec, s[92:93]
	v_add_u32_e32 v17, 0xffffff81, v19
	v_cndmask_b32_e32 v17, v17, v59, vcc
	v_lshrrev_b32_e32 v19, 23, v16
	v_add3_u32 v19, v2, v17, v19
	v_add_u32_e32 v2, 6, v19
	v_and_b32_e32 v17, 0xfffff, v48
	v_add_u32_e32 v34, v17, v16
	v_cmp_ne_u32_e32 vcc, 0, v2
                                        ; implicit-def: $vgpr16_vgpr17
                                        ; implicit-def: $vgpr48
	s_and_saveexec_b64 s[18:19], vcc
	s_xor_b64 s[18:19], exec, s[18:19]
; %bb.2473:                             ;   in Loop: Header=BB2_2391 Depth=2
	v_cmp_lt_u64_e32 vcc, s[58:59], v[34:35]
	v_add_u32_e32 v16, 7, v19
	v_cndmask_b32_e32 v48, v2, v16, vcc
	v_cndmask_b32_e64 v2, 0, 1, vcc
	v_lshrrev_b64 v[16:17], v2, v[34:35]
; %bb.2474:                             ;   in Loop: Header=BB2_2391 Depth=2
	s_andn2_saveexec_b64 s[18:19], s[18:19]
; %bb.2475:                             ;   in Loop: Header=BB2_2391 Depth=2
	v_mov_b32_e32 v16, v34
	v_bfe_u32 v48, v34, 23, 1
	v_mov_b32_e32 v17, v35
; %bb.2476:                             ;   in Loop: Header=BB2_2391 Depth=2
	s_or_b64 exec, exec, s[18:19]
	v_lshrrev_b64 v[16:17], 20, v[16:17]
	v_cmp_gt_i32_e32 vcc, 16, v48
	v_cndmask_b32_e32 v17, 0, v17, vcc
	v_cndmask_b32_e32 v16, 7, v16, vcc
	v_cmp_ne_u64_e32 vcc, 0, v[16:17]
	v_cmp_ne_u32_e64 s[18:19], 0, v48
	s_or_b64 s[18:19], s[18:19], vcc
                                        ; implicit-def: $vgpr19
	s_and_saveexec_b64 s[92:93], s[18:19]
	s_xor_b64 s[18:19], exec, s[92:93]
; %bb.2477:                             ;   in Loop: Header=BB2_2391 Depth=2
	v_min_i32_e32 v2, 15, v48
	v_lshl_or_b32 v2, v2, 3, v41
	v_and_or_b32 v19, v16, 7, v2
                                        ; implicit-def: $vgpr41
; %bb.2478:                             ;   in Loop: Header=BB2_2391 Depth=2
	s_andn2_saveexec_b64 s[18:19], s[18:19]
; %bb.2479:                             ;   in Loop: Header=BB2_2391 Depth=2
	v_mov_b32_e32 v19, v41
; %bb.2480:                             ;   in Loop: Header=BB2_2391 Depth=2
	s_or_b64 exec, exec, s[18:19]
.LBB2_2481:                             ;   in Loop: Header=BB2_2391 Depth=2
	s_or_b64 exec, exec, s[90:91]
                                        ; implicit-def: $vgpr41
.LBB2_2482:                             ;   in Loop: Header=BB2_2391 Depth=2
	s_andn2_saveexec_b64 s[18:19], s[88:89]
; %bb.2483:                             ;   in Loop: Header=BB2_2391 Depth=2
	v_or_b32_e32 v19, 0x7e, v41
; %bb.2484:                             ;   in Loop: Header=BB2_2391 Depth=2
	s_or_b64 exec, exec, s[18:19]
                                        ; implicit-def: $vgpr16
.LBB2_2485:                             ;   in Loop: Header=BB2_2391 Depth=2
	s_andn2_saveexec_b64 s[18:19], s[78:79]
; %bb.2486:                             ;   in Loop: Header=BB2_2391 Depth=2
	v_or_b32_sdwa v19, v16, s50 dst_sel:DWORD dst_unused:UNUSED_PAD src0_sel:BYTE_3 src1_sel:DWORD
; %bb.2487:                             ;   in Loop: Header=BB2_2391 Depth=2
	s_or_b64 exec, exec, s[18:19]
	v_and_b32_e32 v16, 0xff, v40
	v_cmp_ne_u16_e32 vcc, 0, v16
	v_mov_b32_e32 v17, 0
	v_mov_b32_e32 v34, 0
	s_and_saveexec_b64 s[18:19], vcc
	s_cbranch_execz .LBB2_2493
; %bb.2488:                             ;   in Loop: Header=BB2_2391 Depth=2
	v_cmp_ne_u16_e32 vcc, s49, v16
	v_bfrev_b32_e32 v34, 1
	s_and_saveexec_b64 s[78:79], vcc
	s_cbranch_execz .LBB2_2492
; %bb.2489:                             ;   in Loop: Header=BB2_2391 Depth=2
	v_and_b32_e32 v2, 0x7f, v40
	v_cmp_ne_u32_e32 vcc, s50, v2
	v_mov_b32_e32 v34, 0x7f800001
	s_and_saveexec_b64 s[88:89], vcc
	s_cbranch_execz .LBB2_2491
; %bb.2490:                             ;   in Loop: Header=BB2_2391 Depth=2
	v_and_b32_e32 v34, 7, v16
	v_lshrrev_b32_e32 v48, 3, v2
	v_cmp_gt_u32_e32 vcc, 8, v2
	v_ffbh_u32_e32 v2, v34
	v_min_u32_e32 v2, 32, v2
	v_subrev_u32_e32 v24, 28, v2
	v_lshlrev_b64 v[24:25], v24, v[16:17]
	v_sub_u32_e32 v2, 29, v2
	v_and_b32_e32 v16, 7, v24
	v_cndmask_b32_e32 v2, v48, v2, vcc
	v_cndmask_b32_e32 v16, v34, v16, vcc
	v_lshlrev_b32_e32 v24, 24, v40
	v_lshlrev_b32_e32 v16, 20, v16
	v_and_b32_e32 v24, 0x80000000, v24
	v_lshl_add_u32 v2, v2, 23, v60
	v_or3_b32 v34, v24, v2, v16
.LBB2_2491:                             ;   in Loop: Header=BB2_2391 Depth=2
	s_or_b64 exec, exec, s[88:89]
.LBB2_2492:                             ;   in Loop: Header=BB2_2391 Depth=2
	s_or_b64 exec, exec, s[78:79]
.LBB2_2493:                             ;   in Loop: Header=BB2_2391 Depth=2
	s_or_b64 exec, exec, s[18:19]
	v_and_b32_e32 v16, 0xff, v53
	v_cmp_ne_u16_e32 vcc, 0, v16
	s_and_saveexec_b64 s[18:19], vcc
	s_cbranch_execz .LBB2_2499
; %bb.2494:                             ;   in Loop: Header=BB2_2391 Depth=2
	v_cmp_ne_u16_e32 vcc, s49, v16
	v_bfrev_b32_e32 v17, 1
	s_and_saveexec_b64 s[78:79], vcc
	s_cbranch_execz .LBB2_2498
; %bb.2495:                             ;   in Loop: Header=BB2_2391 Depth=2
	v_and_b32_e32 v2, 0x7f, v53
	v_cmp_ne_u32_e32 vcc, s50, v2
	v_mov_b32_e32 v17, 0x7f800001
	s_and_saveexec_b64 s[88:89], vcc
	s_cbranch_execz .LBB2_2497
; %bb.2496:                             ;   in Loop: Header=BB2_2391 Depth=2
	v_and_b32_e32 v24, 7, v16
	v_lshrrev_b32_e32 v25, 3, v2
	v_cmp_gt_u32_e32 vcc, 8, v2
	v_ffbh_u32_e32 v2, v24
	v_min_u32_e32 v2, 32, v2
	v_subrev_u32_e32 v17, 28, v2
	v_lshlrev_b64 v[16:17], v17, v[16:17]
	v_sub_u32_e32 v2, 29, v2
	v_and_b32_e32 v16, 7, v16
	v_cndmask_b32_e32 v2, v25, v2, vcc
	v_cndmask_b32_e32 v16, v24, v16, vcc
	v_lshlrev_b32_e32 v17, 24, v53
	v_lshlrev_b32_e32 v16, 20, v16
	v_and_b32_e32 v17, 0x80000000, v17
	v_lshl_add_u32 v2, v2, 23, v60
	v_or3_b32 v17, v17, v2, v16
.LBB2_2497:                             ;   in Loop: Header=BB2_2391 Depth=2
	s_or_b64 exec, exec, s[88:89]
.LBB2_2498:                             ;   in Loop: Header=BB2_2391 Depth=2
	s_or_b64 exec, exec, s[78:79]
.LBB2_2499:                             ;   in Loop: Header=BB2_2391 Depth=2
	s_or_b64 exec, exec, s[18:19]
	v_add_f32_e32 v16, v34, v17
	v_and_b32_e32 v34, 0x7f800000, v16
	v_cmp_ne_u64_e32 vcc, s[46:47], v[34:35]
                                        ; implicit-def: $vgpr53
	s_and_saveexec_b64 s[18:19], vcc
	s_xor_b64 s[78:79], exec, s[18:19]
	s_cbranch_execz .LBB2_2517
; %bb.2500:                             ;   in Loop: Header=BB2_2391 Depth=2
	v_and_b32_e32 v34, 0x7fffffff, v16
	v_cmp_gt_u64_e32 vcc, s[56:57], v[34:35]
	v_and_b32_sdwa v40, v16, s49 dst_sel:DWORD dst_unused:UNUSED_PAD src0_sel:BYTE_3 src1_sel:DWORD
                                        ; implicit-def: $vgpr53
	s_and_saveexec_b64 s[18:19], vcc
	s_xor_b64 s[88:89], exec, s[18:19]
	s_cbranch_execz .LBB2_2514
; %bb.2501:                             ;   in Loop: Header=BB2_2391 Depth=2
	v_cmp_ne_u32_e32 vcc, 0, v16
	v_mov_b32_e32 v53, 0
	s_and_saveexec_b64 s[90:91], vcc
	s_cbranch_execz .LBB2_2513
; %bb.2502:                             ;   in Loop: Header=BB2_2391 Depth=2
	v_bfe_u32 v53, v16, 23, 8
	v_cmp_gt_u32_e64 s[18:19], s51, v53
	v_sub_u32_e32 v2, 0x79, v53
	v_and_b32_e32 v17, 0x7fffff, v16
	v_cmp_eq_u32_e32 vcc, 0, v53
	v_cndmask_b32_e64 v2, 0, v2, s[18:19]
	v_or_b32_e32 v16, 0x800000, v17
	v_cndmask_b32_e32 v2, v2, v62, vcc
	v_cndmask_b32_e32 v34, v16, v17, vcc
	v_add_u32_e32 v16, 20, v2
	v_lshlrev_b64 v[16:17], v16, -1
	v_add_u32_e32 v24, 19, v2
	v_lshlrev_b64 v[24:25], v24, 1
	v_bfi_b32 v17, v17, 0, 0
	v_bfi_b32 v16, v16, 0, v34
	v_cmp_eq_u64_e64 s[18:19], v[16:17], v[24:25]
	v_lshrrev_b64 v[16:17], v2, v[34:35]
	v_mov_b32_e32 v49, v17
	v_mov_b32_e32 v48, v16
	s_and_saveexec_b64 s[92:93], s[18:19]
; %bb.2503:                             ;   in Loop: Header=BB2_2391 Depth=2
	v_bfe_u32 v17, v16, 20, 1
	v_add_co_u32_e64 v17, s[18:19], v16, v17
	v_add_co_u32_e64 v48, s[18:19], -1, v17
; %bb.2504:                             ;   in Loop: Header=BB2_2391 Depth=2
	s_or_b64 exec, exec, s[92:93]
	v_add_u32_e32 v17, 0xffffff81, v53
	v_cndmask_b32_e32 v17, v17, v59, vcc
	v_lshrrev_b32_e32 v24, 23, v16
	v_add3_u32 v49, v2, v17, v24
	v_add_u32_e32 v2, 6, v49
	v_and_b32_e32 v17, 0xfffff, v48
	v_add_u32_e32 v34, v17, v16
	v_cmp_ne_u32_e32 vcc, 0, v2
                                        ; implicit-def: $vgpr16_vgpr17
                                        ; implicit-def: $vgpr48
	s_and_saveexec_b64 s[18:19], vcc
	s_xor_b64 s[18:19], exec, s[18:19]
; %bb.2505:                             ;   in Loop: Header=BB2_2391 Depth=2
	v_cmp_lt_u64_e32 vcc, s[58:59], v[34:35]
	v_add_u32_e32 v16, 7, v49
	v_cndmask_b32_e32 v48, v2, v16, vcc
	v_cndmask_b32_e64 v2, 0, 1, vcc
	v_lshrrev_b64 v[16:17], v2, v[34:35]
; %bb.2506:                             ;   in Loop: Header=BB2_2391 Depth=2
	s_andn2_saveexec_b64 s[18:19], s[18:19]
; %bb.2507:                             ;   in Loop: Header=BB2_2391 Depth=2
	v_mov_b32_e32 v16, v34
	v_bfe_u32 v48, v34, 23, 1
	v_mov_b32_e32 v17, v35
; %bb.2508:                             ;   in Loop: Header=BB2_2391 Depth=2
	s_or_b64 exec, exec, s[18:19]
	v_lshrrev_b64 v[16:17], 20, v[16:17]
	v_cmp_gt_i32_e32 vcc, 16, v48
	v_cndmask_b32_e32 v17, 0, v17, vcc
	v_cndmask_b32_e32 v16, 7, v16, vcc
	v_cmp_ne_u64_e32 vcc, 0, v[16:17]
	v_cmp_ne_u32_e64 s[18:19], 0, v48
	s_or_b64 s[18:19], s[18:19], vcc
                                        ; implicit-def: $vgpr53
	s_and_saveexec_b64 s[92:93], s[18:19]
	s_xor_b64 s[18:19], exec, s[92:93]
; %bb.2509:                             ;   in Loop: Header=BB2_2391 Depth=2
	v_min_i32_e32 v2, 15, v48
	v_lshl_or_b32 v2, v2, 3, v40
	v_and_or_b32 v53, v16, 7, v2
                                        ; implicit-def: $vgpr40
; %bb.2510:                             ;   in Loop: Header=BB2_2391 Depth=2
	s_andn2_saveexec_b64 s[18:19], s[18:19]
; %bb.2511:                             ;   in Loop: Header=BB2_2391 Depth=2
	v_mov_b32_e32 v53, v40
; %bb.2512:                             ;   in Loop: Header=BB2_2391 Depth=2
	s_or_b64 exec, exec, s[18:19]
.LBB2_2513:                             ;   in Loop: Header=BB2_2391 Depth=2
	s_or_b64 exec, exec, s[90:91]
                                        ; implicit-def: $vgpr40
.LBB2_2514:                             ;   in Loop: Header=BB2_2391 Depth=2
	s_andn2_saveexec_b64 s[18:19], s[88:89]
; %bb.2515:                             ;   in Loop: Header=BB2_2391 Depth=2
	v_or_b32_e32 v53, 0x7e, v40
; %bb.2516:                             ;   in Loop: Header=BB2_2391 Depth=2
	s_or_b64 exec, exec, s[18:19]
                                        ; implicit-def: $vgpr16
.LBB2_2517:                             ;   in Loop: Header=BB2_2391 Depth=2
	s_andn2_saveexec_b64 s[18:19], s[78:79]
; %bb.2518:                             ;   in Loop: Header=BB2_2391 Depth=2
	v_or_b32_sdwa v53, v16, s50 dst_sel:DWORD dst_unused:UNUSED_PAD src0_sel:BYTE_3 src1_sel:DWORD
; %bb.2519:                             ;   in Loop: Header=BB2_2391 Depth=2
	s_or_b64 exec, exec, s[18:19]
	v_and_b32_e32 v16, 0xff, v55
	v_cmp_ne_u16_e32 vcc, 0, v16
	v_mov_b32_e32 v17, 0
	v_mov_b32_e32 v34, 0
	s_and_saveexec_b64 s[18:19], vcc
	s_cbranch_execz .LBB2_2525
; %bb.2520:                             ;   in Loop: Header=BB2_2391 Depth=2
	v_cmp_ne_u16_e32 vcc, s49, v16
	v_bfrev_b32_e32 v34, 1
	s_and_saveexec_b64 s[78:79], vcc
	s_cbranch_execz .LBB2_2524
; %bb.2521:                             ;   in Loop: Header=BB2_2391 Depth=2
	v_and_b32_e32 v2, 0x7f, v55
	v_cmp_ne_u32_e32 vcc, s50, v2
	v_mov_b32_e32 v34, 0x7f800001
	s_and_saveexec_b64 s[88:89], vcc
	s_cbranch_execz .LBB2_2523
; %bb.2522:                             ;   in Loop: Header=BB2_2391 Depth=2
	v_and_b32_e32 v34, 7, v16
	v_lshrrev_b32_e32 v48, 3, v2
	v_cmp_gt_u32_e32 vcc, 8, v2
	v_ffbh_u32_e32 v2, v34
	v_min_u32_e32 v2, 32, v2
	v_subrev_u32_e32 v24, 28, v2
	v_lshlrev_b64 v[24:25], v24, v[16:17]
	v_sub_u32_e32 v2, 29, v2
	v_and_b32_e32 v16, 7, v24
	v_cndmask_b32_e32 v2, v48, v2, vcc
	v_cndmask_b32_e32 v16, v34, v16, vcc
	v_lshlrev_b32_e32 v24, 24, v55
	v_lshlrev_b32_e32 v16, 20, v16
	v_and_b32_e32 v24, 0x80000000, v24
	v_lshl_add_u32 v2, v2, 23, v60
	v_or3_b32 v34, v24, v2, v16
.LBB2_2523:                             ;   in Loop: Header=BB2_2391 Depth=2
	s_or_b64 exec, exec, s[88:89]
.LBB2_2524:                             ;   in Loop: Header=BB2_2391 Depth=2
	s_or_b64 exec, exec, s[78:79]
.LBB2_2525:                             ;   in Loop: Header=BB2_2391 Depth=2
	s_or_b64 exec, exec, s[18:19]
	v_and_b32_e32 v16, 0xff, v54
	v_cmp_ne_u16_e32 vcc, 0, v16
	s_and_saveexec_b64 s[18:19], vcc
	s_cbranch_execz .LBB2_2531
; %bb.2526:                             ;   in Loop: Header=BB2_2391 Depth=2
	v_cmp_ne_u16_e32 vcc, s49, v16
	v_bfrev_b32_e32 v17, 1
	s_and_saveexec_b64 s[78:79], vcc
	s_cbranch_execz .LBB2_2530
; %bb.2527:                             ;   in Loop: Header=BB2_2391 Depth=2
	v_and_b32_e32 v2, 0x7f, v54
	v_cmp_ne_u32_e32 vcc, s50, v2
	v_mov_b32_e32 v17, 0x7f800001
	s_and_saveexec_b64 s[88:89], vcc
	s_cbranch_execz .LBB2_2529
; %bb.2528:                             ;   in Loop: Header=BB2_2391 Depth=2
	v_and_b32_e32 v24, 7, v16
	v_lshrrev_b32_e32 v25, 3, v2
	v_cmp_gt_u32_e32 vcc, 8, v2
	v_ffbh_u32_e32 v2, v24
	v_min_u32_e32 v2, 32, v2
	v_subrev_u32_e32 v17, 28, v2
	v_lshlrev_b64 v[16:17], v17, v[16:17]
	v_sub_u32_e32 v2, 29, v2
	v_and_b32_e32 v16, 7, v16
	v_cndmask_b32_e32 v2, v25, v2, vcc
	v_cndmask_b32_e32 v16, v24, v16, vcc
	v_lshlrev_b32_e32 v17, 24, v54
	v_lshlrev_b32_e32 v16, 20, v16
	v_and_b32_e32 v17, 0x80000000, v17
	v_lshl_add_u32 v2, v2, 23, v60
	v_or3_b32 v17, v17, v2, v16
.LBB2_2529:                             ;   in Loop: Header=BB2_2391 Depth=2
	s_or_b64 exec, exec, s[88:89]
.LBB2_2530:                             ;   in Loop: Header=BB2_2391 Depth=2
	s_or_b64 exec, exec, s[78:79]
.LBB2_2531:                             ;   in Loop: Header=BB2_2391 Depth=2
	s_or_b64 exec, exec, s[18:19]
	v_add_f32_e32 v16, v34, v17
	v_and_b32_e32 v34, 0x7f800000, v16
	v_cmp_ne_u64_e32 vcc, s[46:47], v[34:35]
                                        ; implicit-def: $vgpr54
	s_and_saveexec_b64 s[18:19], vcc
	s_xor_b64 s[78:79], exec, s[18:19]
	s_cbranch_execz .LBB2_2549
; %bb.2532:                             ;   in Loop: Header=BB2_2391 Depth=2
	v_and_b32_e32 v34, 0x7fffffff, v16
	v_cmp_gt_u64_e32 vcc, s[56:57], v[34:35]
	v_and_b32_sdwa v55, v16, s49 dst_sel:DWORD dst_unused:UNUSED_PAD src0_sel:BYTE_3 src1_sel:DWORD
                                        ; implicit-def: $vgpr54
	s_and_saveexec_b64 s[18:19], vcc
	s_xor_b64 s[88:89], exec, s[18:19]
	s_cbranch_execz .LBB2_2546
; %bb.2533:                             ;   in Loop: Header=BB2_2391 Depth=2
	v_cmp_ne_u32_e32 vcc, 0, v16
	v_mov_b32_e32 v54, 0
	s_and_saveexec_b64 s[90:91], vcc
	s_cbranch_execz .LBB2_2545
; %bb.2534:                             ;   in Loop: Header=BB2_2391 Depth=2
	v_bfe_u32 v54, v16, 23, 8
	v_cmp_gt_u32_e64 s[18:19], s51, v54
	v_sub_u32_e32 v2, 0x79, v54
	v_and_b32_e32 v17, 0x7fffff, v16
	v_cmp_eq_u32_e32 vcc, 0, v54
	v_cndmask_b32_e64 v2, 0, v2, s[18:19]
	v_or_b32_e32 v16, 0x800000, v17
	v_cndmask_b32_e32 v2, v2, v62, vcc
	v_cndmask_b32_e32 v34, v16, v17, vcc
	v_add_u32_e32 v16, 20, v2
	v_lshlrev_b64 v[16:17], v16, -1
	v_add_u32_e32 v24, 19, v2
	v_lshlrev_b64 v[24:25], v24, 1
	v_bfi_b32 v17, v17, 0, 0
	v_bfi_b32 v16, v16, 0, v34
	v_cmp_eq_u64_e64 s[18:19], v[16:17], v[24:25]
	v_lshrrev_b64 v[16:17], v2, v[34:35]
	v_mov_b32_e32 v49, v17
	v_mov_b32_e32 v48, v16
	s_and_saveexec_b64 s[92:93], s[18:19]
; %bb.2535:                             ;   in Loop: Header=BB2_2391 Depth=2
	v_bfe_u32 v17, v16, 20, 1
	v_add_co_u32_e64 v17, s[18:19], v16, v17
	v_add_co_u32_e64 v48, s[18:19], -1, v17
; %bb.2536:                             ;   in Loop: Header=BB2_2391 Depth=2
	s_or_b64 exec, exec, s[92:93]
	v_add_u32_e32 v17, 0xffffff81, v54
	v_cndmask_b32_e32 v17, v17, v59, vcc
	v_lshrrev_b32_e32 v24, 23, v16
	v_add3_u32 v49, v2, v17, v24
	v_add_u32_e32 v2, 6, v49
	v_and_b32_e32 v17, 0xfffff, v48
	v_add_u32_e32 v34, v17, v16
	v_cmp_ne_u32_e32 vcc, 0, v2
                                        ; implicit-def: $vgpr16_vgpr17
                                        ; implicit-def: $vgpr48
	s_and_saveexec_b64 s[18:19], vcc
	s_xor_b64 s[18:19], exec, s[18:19]
; %bb.2537:                             ;   in Loop: Header=BB2_2391 Depth=2
	v_cmp_lt_u64_e32 vcc, s[58:59], v[34:35]
	v_add_u32_e32 v16, 7, v49
	v_cndmask_b32_e32 v48, v2, v16, vcc
	v_cndmask_b32_e64 v2, 0, 1, vcc
	v_lshrrev_b64 v[16:17], v2, v[34:35]
; %bb.2538:                             ;   in Loop: Header=BB2_2391 Depth=2
	s_andn2_saveexec_b64 s[18:19], s[18:19]
; %bb.2539:                             ;   in Loop: Header=BB2_2391 Depth=2
	v_mov_b32_e32 v16, v34
	v_bfe_u32 v48, v34, 23, 1
	v_mov_b32_e32 v17, v35
; %bb.2540:                             ;   in Loop: Header=BB2_2391 Depth=2
	s_or_b64 exec, exec, s[18:19]
	v_lshrrev_b64 v[16:17], 20, v[16:17]
	v_cmp_gt_i32_e32 vcc, 16, v48
	v_cndmask_b32_e32 v17, 0, v17, vcc
	v_cndmask_b32_e32 v16, 7, v16, vcc
	v_cmp_ne_u64_e32 vcc, 0, v[16:17]
	v_cmp_ne_u32_e64 s[18:19], 0, v48
	s_or_b64 s[18:19], s[18:19], vcc
                                        ; implicit-def: $vgpr54
	s_and_saveexec_b64 s[92:93], s[18:19]
	s_xor_b64 s[18:19], exec, s[92:93]
; %bb.2541:                             ;   in Loop: Header=BB2_2391 Depth=2
	v_min_i32_e32 v2, 15, v48
	v_lshl_or_b32 v2, v2, 3, v55
	v_and_or_b32 v54, v16, 7, v2
                                        ; implicit-def: $vgpr55
; %bb.2542:                             ;   in Loop: Header=BB2_2391 Depth=2
	s_andn2_saveexec_b64 s[18:19], s[18:19]
; %bb.2543:                             ;   in Loop: Header=BB2_2391 Depth=2
	v_mov_b32_e32 v54, v55
; %bb.2544:                             ;   in Loop: Header=BB2_2391 Depth=2
	s_or_b64 exec, exec, s[18:19]
.LBB2_2545:                             ;   in Loop: Header=BB2_2391 Depth=2
	s_or_b64 exec, exec, s[90:91]
                                        ; implicit-def: $vgpr55
.LBB2_2546:                             ;   in Loop: Header=BB2_2391 Depth=2
	s_andn2_saveexec_b64 s[18:19], s[88:89]
; %bb.2547:                             ;   in Loop: Header=BB2_2391 Depth=2
	v_or_b32_e32 v54, 0x7e, v55
; %bb.2548:                             ;   in Loop: Header=BB2_2391 Depth=2
	s_or_b64 exec, exec, s[18:19]
                                        ; implicit-def: $vgpr16
.LBB2_2549:                             ;   in Loop: Header=BB2_2391 Depth=2
	s_andn2_saveexec_b64 s[18:19], s[78:79]
; %bb.2550:                             ;   in Loop: Header=BB2_2391 Depth=2
	v_or_b32_sdwa v54, v16, s50 dst_sel:DWORD dst_unused:UNUSED_PAD src0_sel:BYTE_3 src1_sel:DWORD
; %bb.2551:                             ;   in Loop: Header=BB2_2391 Depth=2
	s_or_b64 exec, exec, s[18:19]
	v_and_b32_e32 v16, 0xff, v52
	v_cmp_ne_u16_e32 vcc, 0, v16
	v_mov_b32_e32 v17, 0
	v_mov_b32_e32 v34, 0
	s_and_saveexec_b64 s[18:19], vcc
	s_cbranch_execz .LBB2_2557
; %bb.2552:                             ;   in Loop: Header=BB2_2391 Depth=2
	v_cmp_ne_u16_e32 vcc, s49, v16
	v_bfrev_b32_e32 v34, 1
	s_and_saveexec_b64 s[78:79], vcc
	s_cbranch_execz .LBB2_2556
; %bb.2553:                             ;   in Loop: Header=BB2_2391 Depth=2
	v_and_b32_e32 v2, 0x7f, v52
	v_cmp_ne_u32_e32 vcc, s50, v2
	v_mov_b32_e32 v34, 0x7f800001
	s_and_saveexec_b64 s[88:89], vcc
	s_cbranch_execz .LBB2_2555
; %bb.2554:                             ;   in Loop: Header=BB2_2391 Depth=2
	v_and_b32_e32 v34, 7, v16
	v_lshrrev_b32_e32 v48, 3, v2
	v_cmp_gt_u32_e32 vcc, 8, v2
	v_ffbh_u32_e32 v2, v34
	v_min_u32_e32 v2, 32, v2
	v_subrev_u32_e32 v24, 28, v2
	v_lshlrev_b64 v[24:25], v24, v[16:17]
	v_sub_u32_e32 v2, 29, v2
	v_and_b32_e32 v16, 7, v24
	v_cndmask_b32_e32 v2, v48, v2, vcc
	v_cndmask_b32_e32 v16, v34, v16, vcc
	v_lshlrev_b32_e32 v24, 24, v52
	v_lshlrev_b32_e32 v16, 20, v16
	v_and_b32_e32 v24, 0x80000000, v24
	v_lshl_add_u32 v2, v2, 23, v60
	v_or3_b32 v34, v24, v2, v16
.LBB2_2555:                             ;   in Loop: Header=BB2_2391 Depth=2
	s_or_b64 exec, exec, s[88:89]
.LBB2_2556:                             ;   in Loop: Header=BB2_2391 Depth=2
	s_or_b64 exec, exec, s[78:79]
.LBB2_2557:                             ;   in Loop: Header=BB2_2391 Depth=2
	s_or_b64 exec, exec, s[18:19]
	v_and_b32_e32 v16, 0xff, v18
	v_cmp_ne_u16_e32 vcc, 0, v16
	s_and_saveexec_b64 s[18:19], vcc
	s_cbranch_execz .LBB2_2563
; %bb.2558:                             ;   in Loop: Header=BB2_2391 Depth=2
	v_cmp_ne_u16_e32 vcc, s49, v16
	v_bfrev_b32_e32 v17, 1
	s_and_saveexec_b64 s[78:79], vcc
	s_cbranch_execz .LBB2_2562
; %bb.2559:                             ;   in Loop: Header=BB2_2391 Depth=2
	v_and_b32_e32 v2, 0x7f, v18
	v_cmp_ne_u32_e32 vcc, s50, v2
	v_mov_b32_e32 v17, 0x7f800001
	s_and_saveexec_b64 s[88:89], vcc
	s_cbranch_execz .LBB2_2561
; %bb.2560:                             ;   in Loop: Header=BB2_2391 Depth=2
	v_and_b32_e32 v24, 7, v16
	v_lshrrev_b32_e32 v25, 3, v2
	v_cmp_gt_u32_e32 vcc, 8, v2
	v_ffbh_u32_e32 v2, v24
	v_min_u32_e32 v2, 32, v2
	v_subrev_u32_e32 v17, 28, v2
	v_lshlrev_b64 v[16:17], v17, v[16:17]
	v_sub_u32_e32 v2, 29, v2
	v_and_b32_e32 v16, 7, v16
	v_cndmask_b32_e32 v2, v25, v2, vcc
	v_cndmask_b32_e32 v16, v24, v16, vcc
	v_lshlrev_b32_e32 v17, 24, v18
	v_lshlrev_b32_e32 v16, 20, v16
	v_and_b32_e32 v17, 0x80000000, v17
	v_lshl_add_u32 v2, v2, 23, v60
	v_or3_b32 v17, v17, v2, v16
.LBB2_2561:                             ;   in Loop: Header=BB2_2391 Depth=2
	s_or_b64 exec, exec, s[88:89]
.LBB2_2562:                             ;   in Loop: Header=BB2_2391 Depth=2
	s_or_b64 exec, exec, s[78:79]
.LBB2_2563:                             ;   in Loop: Header=BB2_2391 Depth=2
	s_or_b64 exec, exec, s[18:19]
	v_add_f32_e32 v16, v34, v17
	v_and_b32_e32 v34, 0x7f800000, v16
	v_cmp_ne_u64_e32 vcc, s[46:47], v[34:35]
                                        ; implicit-def: $vgpr18
	s_and_saveexec_b64 s[18:19], vcc
	s_xor_b64 s[78:79], exec, s[18:19]
	s_cbranch_execz .LBB2_2581
; %bb.2564:                             ;   in Loop: Header=BB2_2391 Depth=2
	v_and_b32_e32 v34, 0x7fffffff, v16
	v_cmp_gt_u64_e32 vcc, s[56:57], v[34:35]
	v_and_b32_sdwa v52, v16, s49 dst_sel:DWORD dst_unused:UNUSED_PAD src0_sel:BYTE_3 src1_sel:DWORD
                                        ; implicit-def: $vgpr18
	s_and_saveexec_b64 s[18:19], vcc
	s_xor_b64 s[88:89], exec, s[18:19]
	s_cbranch_execz .LBB2_2578
; %bb.2565:                             ;   in Loop: Header=BB2_2391 Depth=2
	v_cmp_ne_u32_e32 vcc, 0, v16
	v_mov_b32_e32 v18, 0
	s_and_saveexec_b64 s[90:91], vcc
	s_cbranch_execz .LBB2_2577
; %bb.2566:                             ;   in Loop: Header=BB2_2391 Depth=2
	v_bfe_u32 v18, v16, 23, 8
	v_cmp_gt_u32_e64 s[18:19], s51, v18
	v_sub_u32_e32 v2, 0x79, v18
	v_and_b32_e32 v17, 0x7fffff, v16
	v_cmp_eq_u32_e32 vcc, 0, v18
	v_cndmask_b32_e64 v2, 0, v2, s[18:19]
	v_or_b32_e32 v16, 0x800000, v17
	v_cndmask_b32_e32 v2, v2, v62, vcc
	v_cndmask_b32_e32 v34, v16, v17, vcc
	v_add_u32_e32 v16, 20, v2
	v_lshlrev_b64 v[16:17], v16, -1
	v_add_u32_e32 v24, 19, v2
	v_lshlrev_b64 v[24:25], v24, 1
	v_bfi_b32 v17, v17, 0, 0
	v_bfi_b32 v16, v16, 0, v34
	v_cmp_eq_u64_e64 s[18:19], v[16:17], v[24:25]
	v_lshrrev_b64 v[16:17], v2, v[34:35]
	v_mov_b32_e32 v49, v17
	v_mov_b32_e32 v48, v16
	s_and_saveexec_b64 s[92:93], s[18:19]
; %bb.2567:                             ;   in Loop: Header=BB2_2391 Depth=2
	v_bfe_u32 v17, v16, 20, 1
	v_add_co_u32_e64 v17, s[18:19], v16, v17
	v_add_co_u32_e64 v48, s[18:19], -1, v17
; %bb.2568:                             ;   in Loop: Header=BB2_2391 Depth=2
	s_or_b64 exec, exec, s[92:93]
	v_add_u32_e32 v17, 0xffffff81, v18
	v_cndmask_b32_e32 v17, v17, v59, vcc
	v_lshrrev_b32_e32 v18, 23, v16
	v_add3_u32 v18, v2, v17, v18
	v_add_u32_e32 v2, 6, v18
	v_and_b32_e32 v17, 0xfffff, v48
	v_add_u32_e32 v34, v17, v16
	v_cmp_ne_u32_e32 vcc, 0, v2
                                        ; implicit-def: $vgpr16_vgpr17
                                        ; implicit-def: $vgpr48
	s_and_saveexec_b64 s[18:19], vcc
	s_xor_b64 s[18:19], exec, s[18:19]
; %bb.2569:                             ;   in Loop: Header=BB2_2391 Depth=2
	v_cmp_lt_u64_e32 vcc, s[58:59], v[34:35]
	v_add_u32_e32 v16, 7, v18
	v_cndmask_b32_e32 v48, v2, v16, vcc
	v_cndmask_b32_e64 v2, 0, 1, vcc
	v_lshrrev_b64 v[16:17], v2, v[34:35]
; %bb.2570:                             ;   in Loop: Header=BB2_2391 Depth=2
	s_andn2_saveexec_b64 s[18:19], s[18:19]
; %bb.2571:                             ;   in Loop: Header=BB2_2391 Depth=2
	v_mov_b32_e32 v16, v34
	v_bfe_u32 v48, v34, 23, 1
	v_mov_b32_e32 v17, v35
; %bb.2572:                             ;   in Loop: Header=BB2_2391 Depth=2
	s_or_b64 exec, exec, s[18:19]
	v_lshrrev_b64 v[16:17], 20, v[16:17]
	v_cmp_gt_i32_e32 vcc, 16, v48
	v_cndmask_b32_e32 v17, 0, v17, vcc
	v_cndmask_b32_e32 v16, 7, v16, vcc
	v_cmp_ne_u64_e32 vcc, 0, v[16:17]
	v_cmp_ne_u32_e64 s[18:19], 0, v48
	s_or_b64 s[18:19], s[18:19], vcc
                                        ; implicit-def: $vgpr18
	s_and_saveexec_b64 s[92:93], s[18:19]
	s_xor_b64 s[18:19], exec, s[92:93]
; %bb.2573:                             ;   in Loop: Header=BB2_2391 Depth=2
	v_min_i32_e32 v2, 15, v48
	v_lshl_or_b32 v2, v2, 3, v52
	v_and_or_b32 v18, v16, 7, v2
                                        ; implicit-def: $vgpr52
; %bb.2574:                             ;   in Loop: Header=BB2_2391 Depth=2
	s_andn2_saveexec_b64 s[18:19], s[18:19]
; %bb.2575:                             ;   in Loop: Header=BB2_2391 Depth=2
	v_mov_b32_e32 v18, v52
; %bb.2576:                             ;   in Loop: Header=BB2_2391 Depth=2
	s_or_b64 exec, exec, s[18:19]
.LBB2_2577:                             ;   in Loop: Header=BB2_2391 Depth=2
	s_or_b64 exec, exec, s[90:91]
                                        ; implicit-def: $vgpr52
.LBB2_2578:                             ;   in Loop: Header=BB2_2391 Depth=2
	s_andn2_saveexec_b64 s[18:19], s[88:89]
; %bb.2579:                             ;   in Loop: Header=BB2_2391 Depth=2
	v_or_b32_e32 v18, 0x7e, v52
; %bb.2580:                             ;   in Loop: Header=BB2_2391 Depth=2
	s_or_b64 exec, exec, s[18:19]
                                        ; implicit-def: $vgpr16
.LBB2_2581:                             ;   in Loop: Header=BB2_2391 Depth=2
	s_andn2_saveexec_b64 s[18:19], s[78:79]
; %bb.2582:                             ;   in Loop: Header=BB2_2391 Depth=2
	v_or_b32_sdwa v18, v16, s50 dst_sel:DWORD dst_unused:UNUSED_PAD src0_sel:BYTE_3 src1_sel:DWORD
; %bb.2583:                             ;   in Loop: Header=BB2_2391 Depth=2
	s_or_b64 exec, exec, s[18:19]
	v_and_b32_e32 v16, 0xff, v51
	v_cmp_ne_u16_e32 vcc, 0, v16
	v_mov_b32_e32 v17, 0
	v_mov_b32_e32 v34, 0
	s_and_saveexec_b64 s[18:19], vcc
	s_cbranch_execz .LBB2_2589
; %bb.2584:                             ;   in Loop: Header=BB2_2391 Depth=2
	v_cmp_ne_u16_e32 vcc, s49, v16
	v_bfrev_b32_e32 v34, 1
	s_and_saveexec_b64 s[78:79], vcc
	s_cbranch_execz .LBB2_2588
; %bb.2585:                             ;   in Loop: Header=BB2_2391 Depth=2
	v_and_b32_e32 v2, 0x7f, v51
	v_cmp_ne_u32_e32 vcc, s50, v2
	v_mov_b32_e32 v34, 0x7f800001
	s_and_saveexec_b64 s[88:89], vcc
	s_cbranch_execz .LBB2_2587
; %bb.2586:                             ;   in Loop: Header=BB2_2391 Depth=2
	v_and_b32_e32 v34, 7, v16
	v_lshrrev_b32_e32 v48, 3, v2
	v_cmp_gt_u32_e32 vcc, 8, v2
	v_ffbh_u32_e32 v2, v34
	v_min_u32_e32 v2, 32, v2
	v_subrev_u32_e32 v24, 28, v2
	v_lshlrev_b64 v[24:25], v24, v[16:17]
	v_sub_u32_e32 v2, 29, v2
	v_and_b32_e32 v16, 7, v24
	v_cndmask_b32_e32 v2, v48, v2, vcc
	v_cndmask_b32_e32 v16, v34, v16, vcc
	v_lshlrev_b32_e32 v24, 24, v51
	v_lshlrev_b32_e32 v16, 20, v16
	v_and_b32_e32 v24, 0x80000000, v24
	v_lshl_add_u32 v2, v2, 23, v60
	v_or3_b32 v34, v24, v2, v16
.LBB2_2587:                             ;   in Loop: Header=BB2_2391 Depth=2
	s_or_b64 exec, exec, s[88:89]
.LBB2_2588:                             ;   in Loop: Header=BB2_2391 Depth=2
	s_or_b64 exec, exec, s[78:79]
.LBB2_2589:                             ;   in Loop: Header=BB2_2391 Depth=2
	s_or_b64 exec, exec, s[18:19]
	v_and_b32_e32 v16, 0xff, v0
	v_cmp_ne_u16_e32 vcc, 0, v16
	s_and_saveexec_b64 s[18:19], vcc
	s_cbranch_execz .LBB2_2595
; %bb.2590:                             ;   in Loop: Header=BB2_2391 Depth=2
	v_cmp_ne_u16_e32 vcc, s49, v16
	v_bfrev_b32_e32 v17, 1
	s_and_saveexec_b64 s[78:79], vcc
	s_cbranch_execz .LBB2_2594
; %bb.2591:                             ;   in Loop: Header=BB2_2391 Depth=2
	v_and_b32_e32 v2, 0x7f, v0
	v_cmp_ne_u32_e32 vcc, s50, v2
	v_mov_b32_e32 v17, 0x7f800001
	s_and_saveexec_b64 s[88:89], vcc
	s_cbranch_execz .LBB2_2593
; %bb.2592:                             ;   in Loop: Header=BB2_2391 Depth=2
	v_and_b32_e32 v24, 7, v16
	v_lshrrev_b32_e32 v25, 3, v2
	v_cmp_gt_u32_e32 vcc, 8, v2
	v_ffbh_u32_e32 v2, v24
	v_min_u32_e32 v2, 32, v2
	v_subrev_u32_e32 v17, 28, v2
	v_lshlrev_b64 v[16:17], v17, v[16:17]
	v_sub_u32_e32 v2, 29, v2
	v_and_b32_e32 v16, 7, v16
	v_cndmask_b32_e32 v2, v25, v2, vcc
	v_cndmask_b32_e32 v16, v24, v16, vcc
	v_lshlrev_b32_e32 v0, 24, v0
	v_lshlrev_b32_e32 v16, 20, v16
	v_and_b32_e32 v0, 0x80000000, v0
	v_lshl_add_u32 v2, v2, 23, v60
	v_or3_b32 v17, v0, v2, v16
.LBB2_2593:                             ;   in Loop: Header=BB2_2391 Depth=2
	s_or_b64 exec, exec, s[88:89]
.LBB2_2594:                             ;   in Loop: Header=BB2_2391 Depth=2
	s_or_b64 exec, exec, s[78:79]
.LBB2_2595:                             ;   in Loop: Header=BB2_2391 Depth=2
	s_or_b64 exec, exec, s[18:19]
	v_add_f32_e32 v16, v34, v17
	v_and_b32_e32 v34, 0x7f800000, v16
	v_cmp_ne_u64_e32 vcc, s[46:47], v[34:35]
                                        ; implicit-def: $vgpr0
	s_and_saveexec_b64 s[18:19], vcc
	s_xor_b64 s[78:79], exec, s[18:19]
	s_cbranch_execz .LBB2_2613
; %bb.2596:                             ;   in Loop: Header=BB2_2391 Depth=2
	v_and_b32_e32 v34, 0x7fffffff, v16
	v_cmp_gt_u64_e32 vcc, s[56:57], v[34:35]
	v_and_b32_sdwa v51, v16, s49 dst_sel:DWORD dst_unused:UNUSED_PAD src0_sel:BYTE_3 src1_sel:DWORD
                                        ; implicit-def: $vgpr0
	s_and_saveexec_b64 s[18:19], vcc
	s_xor_b64 s[88:89], exec, s[18:19]
	s_cbranch_execz .LBB2_2610
; %bb.2597:                             ;   in Loop: Header=BB2_2391 Depth=2
	v_cmp_ne_u32_e32 vcc, 0, v16
	v_mov_b32_e32 v0, 0
	s_and_saveexec_b64 s[90:91], vcc
	s_cbranch_execz .LBB2_2609
; %bb.2598:                             ;   in Loop: Header=BB2_2391 Depth=2
	v_bfe_u32 v0, v16, 23, 8
	v_cmp_gt_u32_e64 s[18:19], s51, v0
	v_sub_u32_e32 v2, 0x79, v0
	v_and_b32_e32 v17, 0x7fffff, v16
	v_cmp_eq_u32_e32 vcc, 0, v0
	v_cndmask_b32_e64 v2, 0, v2, s[18:19]
	v_or_b32_e32 v16, 0x800000, v17
	v_cndmask_b32_e32 v2, v2, v62, vcc
	v_cndmask_b32_e32 v34, v16, v17, vcc
	v_add_u32_e32 v16, 20, v2
	v_lshlrev_b64 v[16:17], v16, -1
	v_add_u32_e32 v24, 19, v2
	v_lshlrev_b64 v[24:25], v24, 1
	v_bfi_b32 v17, v17, 0, 0
	v_bfi_b32 v16, v16, 0, v34
	v_cmp_eq_u64_e64 s[18:19], v[16:17], v[24:25]
	v_lshrrev_b64 v[16:17], v2, v[34:35]
	v_mov_b32_e32 v49, v17
	v_mov_b32_e32 v48, v16
	s_and_saveexec_b64 s[92:93], s[18:19]
; %bb.2599:                             ;   in Loop: Header=BB2_2391 Depth=2
	v_bfe_u32 v17, v16, 20, 1
	v_add_co_u32_e64 v17, s[18:19], v16, v17
	v_add_co_u32_e64 v48, s[18:19], -1, v17
; %bb.2600:                             ;   in Loop: Header=BB2_2391 Depth=2
	s_or_b64 exec, exec, s[92:93]
	v_add_u32_e32 v0, 0xffffff81, v0
	v_cndmask_b32_e32 v0, v0, v59, vcc
	v_lshrrev_b32_e32 v17, 23, v16
	v_add3_u32 v2, v2, v0, v17
	v_add_u32_e32 v0, 6, v2
	v_and_b32_e32 v17, 0xfffff, v48
	v_add_u32_e32 v34, v17, v16
	v_cmp_ne_u32_e32 vcc, 0, v0
                                        ; implicit-def: $vgpr16_vgpr17
                                        ; implicit-def: $vgpr48
	s_and_saveexec_b64 s[18:19], vcc
	s_xor_b64 s[18:19], exec, s[18:19]
; %bb.2601:                             ;   in Loop: Header=BB2_2391 Depth=2
	v_cmp_lt_u64_e32 vcc, s[58:59], v[34:35]
	v_add_u32_e32 v2, 7, v2
	v_cndmask_b32_e32 v48, v0, v2, vcc
	v_cndmask_b32_e64 v0, 0, 1, vcc
	v_lshrrev_b64 v[16:17], v0, v[34:35]
; %bb.2602:                             ;   in Loop: Header=BB2_2391 Depth=2
	s_andn2_saveexec_b64 s[18:19], s[18:19]
; %bb.2603:                             ;   in Loop: Header=BB2_2391 Depth=2
	v_mov_b32_e32 v16, v34
	v_bfe_u32 v48, v34, 23, 1
	v_mov_b32_e32 v17, v35
; %bb.2604:                             ;   in Loop: Header=BB2_2391 Depth=2
	s_or_b64 exec, exec, s[18:19]
	v_lshrrev_b64 v[16:17], 20, v[16:17]
	v_cmp_gt_i32_e32 vcc, 16, v48
	v_cndmask_b32_e32 v17, 0, v17, vcc
	v_cndmask_b32_e32 v16, 7, v16, vcc
	v_cmp_ne_u64_e32 vcc, 0, v[16:17]
	v_cmp_ne_u32_e64 s[18:19], 0, v48
	s_or_b64 s[18:19], s[18:19], vcc
                                        ; implicit-def: $vgpr0
	s_and_saveexec_b64 s[92:93], s[18:19]
	s_xor_b64 s[18:19], exec, s[92:93]
; %bb.2605:                             ;   in Loop: Header=BB2_2391 Depth=2
	v_min_i32_e32 v0, 15, v48
	v_lshl_or_b32 v0, v0, 3, v51
	v_and_or_b32 v0, v16, 7, v0
                                        ; implicit-def: $vgpr51
; %bb.2606:                             ;   in Loop: Header=BB2_2391 Depth=2
	s_andn2_saveexec_b64 s[18:19], s[18:19]
; %bb.2607:                             ;   in Loop: Header=BB2_2391 Depth=2
	v_mov_b32_e32 v0, v51
; %bb.2608:                             ;   in Loop: Header=BB2_2391 Depth=2
	s_or_b64 exec, exec, s[18:19]
.LBB2_2609:                             ;   in Loop: Header=BB2_2391 Depth=2
	s_or_b64 exec, exec, s[90:91]
                                        ; implicit-def: $vgpr51
.LBB2_2610:                             ;   in Loop: Header=BB2_2391 Depth=2
	s_andn2_saveexec_b64 s[18:19], s[88:89]
; %bb.2611:                             ;   in Loop: Header=BB2_2391 Depth=2
	v_or_b32_e32 v0, 0x7e, v51
; %bb.2612:                             ;   in Loop: Header=BB2_2391 Depth=2
	s_or_b64 exec, exec, s[18:19]
                                        ; implicit-def: $vgpr16
.LBB2_2613:                             ;   in Loop: Header=BB2_2391 Depth=2
	s_andn2_saveexec_b64 s[18:19], s[78:79]
; %bb.2614:                             ;   in Loop: Header=BB2_2391 Depth=2
	v_or_b32_sdwa v0, v16, s50 dst_sel:DWORD dst_unused:UNUSED_PAD src0_sel:BYTE_3 src1_sel:DWORD
; %bb.2615:                             ;   in Loop: Header=BB2_2391 Depth=2
	s_or_b64 exec, exec, s[18:19]
	v_and_b32_e32 v16, 0xff, v39
	v_cmp_ne_u16_e32 vcc, 0, v16
	v_mov_b32_e32 v17, 0
	v_mov_b32_e32 v34, 0
	s_and_saveexec_b64 s[18:19], vcc
	s_cbranch_execz .LBB2_2621
; %bb.2616:                             ;   in Loop: Header=BB2_2391 Depth=2
	v_cmp_ne_u16_e32 vcc, s49, v16
	v_bfrev_b32_e32 v34, 1
	s_and_saveexec_b64 s[78:79], vcc
	s_cbranch_execz .LBB2_2620
; %bb.2617:                             ;   in Loop: Header=BB2_2391 Depth=2
	v_and_b32_e32 v2, 0x7f, v39
	v_cmp_ne_u32_e32 vcc, s50, v2
	v_mov_b32_e32 v34, 0x7f800001
	s_and_saveexec_b64 s[88:89], vcc
	s_cbranch_execz .LBB2_2619
; %bb.2618:                             ;   in Loop: Header=BB2_2391 Depth=2
	v_and_b32_e32 v34, 7, v16
	v_lshrrev_b32_e32 v48, 3, v2
	v_cmp_gt_u32_e32 vcc, 8, v2
	v_ffbh_u32_e32 v2, v34
	v_min_u32_e32 v2, 32, v2
	v_subrev_u32_e32 v24, 28, v2
	v_lshlrev_b64 v[24:25], v24, v[16:17]
	v_sub_u32_e32 v2, 29, v2
	v_and_b32_e32 v16, 7, v24
	v_cndmask_b32_e32 v2, v48, v2, vcc
	v_cndmask_b32_e32 v16, v34, v16, vcc
	v_lshlrev_b32_e32 v24, 24, v39
	v_lshlrev_b32_e32 v16, 20, v16
	v_and_b32_e32 v24, 0x80000000, v24
	v_lshl_add_u32 v2, v2, 23, v60
	v_or3_b32 v34, v24, v2, v16
.LBB2_2619:                             ;   in Loop: Header=BB2_2391 Depth=2
	s_or_b64 exec, exec, s[88:89]
.LBB2_2620:                             ;   in Loop: Header=BB2_2391 Depth=2
	s_or_b64 exec, exec, s[78:79]
.LBB2_2621:                             ;   in Loop: Header=BB2_2391 Depth=2
	s_or_b64 exec, exec, s[18:19]
	v_and_b32_e32 v16, 0xff, v30
	v_cmp_ne_u16_e32 vcc, 0, v16
	s_and_saveexec_b64 s[18:19], vcc
	s_cbranch_execz .LBB2_2627
; %bb.2622:                             ;   in Loop: Header=BB2_2391 Depth=2
	v_cmp_ne_u16_e32 vcc, s49, v16
	v_bfrev_b32_e32 v17, 1
	s_and_saveexec_b64 s[78:79], vcc
	s_cbranch_execz .LBB2_2626
; %bb.2623:                             ;   in Loop: Header=BB2_2391 Depth=2
	v_and_b32_e32 v2, 0x7f, v30
	v_cmp_ne_u32_e32 vcc, s50, v2
	v_mov_b32_e32 v17, 0x7f800001
	s_and_saveexec_b64 s[88:89], vcc
	s_cbranch_execz .LBB2_2625
; %bb.2624:                             ;   in Loop: Header=BB2_2391 Depth=2
	v_and_b32_e32 v24, 7, v16
	v_lshrrev_b32_e32 v25, 3, v2
	v_cmp_gt_u32_e32 vcc, 8, v2
	v_ffbh_u32_e32 v2, v24
	v_min_u32_e32 v2, 32, v2
	v_subrev_u32_e32 v17, 28, v2
	v_lshlrev_b64 v[16:17], v17, v[16:17]
	v_sub_u32_e32 v2, 29, v2
	v_and_b32_e32 v16, 7, v16
	v_cndmask_b32_e32 v2, v25, v2, vcc
	v_cndmask_b32_e32 v16, v24, v16, vcc
	v_lshlrev_b32_e32 v17, 24, v30
	v_lshlrev_b32_e32 v16, 20, v16
	v_and_b32_e32 v17, 0x80000000, v17
	v_lshl_add_u32 v2, v2, 23, v60
	v_or3_b32 v17, v17, v2, v16
.LBB2_2625:                             ;   in Loop: Header=BB2_2391 Depth=2
	s_or_b64 exec, exec, s[88:89]
.LBB2_2626:                             ;   in Loop: Header=BB2_2391 Depth=2
	s_or_b64 exec, exec, s[78:79]
.LBB2_2627:                             ;   in Loop: Header=BB2_2391 Depth=2
	s_or_b64 exec, exec, s[18:19]
	v_add_f32_e32 v16, v34, v17
	v_and_b32_e32 v34, 0x7f800000, v16
	v_cmp_ne_u64_e32 vcc, s[46:47], v[34:35]
                                        ; implicit-def: $vgpr17
	s_and_saveexec_b64 s[18:19], vcc
	s_xor_b64 s[78:79], exec, s[18:19]
	s_cbranch_execz .LBB2_2645
; %bb.2628:                             ;   in Loop: Header=BB2_2391 Depth=2
	v_and_b32_e32 v34, 0x7fffffff, v16
	v_cmp_gt_u64_e32 vcc, s[56:57], v[34:35]
	v_and_b32_sdwa v30, v16, s49 dst_sel:DWORD dst_unused:UNUSED_PAD src0_sel:BYTE_3 src1_sel:DWORD
                                        ; implicit-def: $vgpr17
	s_and_saveexec_b64 s[18:19], vcc
	s_xor_b64 s[88:89], exec, s[18:19]
	s_cbranch_execz .LBB2_2642
; %bb.2629:                             ;   in Loop: Header=BB2_2391 Depth=2
	v_cmp_ne_u32_e32 vcc, 0, v16
	v_mov_b32_e32 v17, 0
	s_and_saveexec_b64 s[90:91], vcc
	s_cbranch_execz .LBB2_2641
; %bb.2630:                             ;   in Loop: Header=BB2_2391 Depth=2
	v_bfe_u32 v39, v16, 23, 8
	v_cmp_gt_u32_e64 s[18:19], s51, v39
	v_sub_u32_e32 v2, 0x79, v39
	v_and_b32_e32 v17, 0x7fffff, v16
	v_cmp_eq_u32_e32 vcc, 0, v39
	v_cndmask_b32_e64 v2, 0, v2, s[18:19]
	v_or_b32_e32 v16, 0x800000, v17
	v_cndmask_b32_e32 v2, v2, v62, vcc
	v_cndmask_b32_e32 v34, v16, v17, vcc
	v_add_u32_e32 v16, 20, v2
	v_lshlrev_b64 v[16:17], v16, -1
	v_add_u32_e32 v24, 19, v2
	v_lshlrev_b64 v[24:25], v24, 1
	v_bfi_b32 v17, v17, 0, 0
	v_bfi_b32 v16, v16, 0, v34
	v_cmp_eq_u64_e64 s[18:19], v[16:17], v[24:25]
	v_lshrrev_b64 v[16:17], v2, v[34:35]
	v_mov_b32_e32 v49, v17
	v_mov_b32_e32 v48, v16
	s_and_saveexec_b64 s[92:93], s[18:19]
; %bb.2631:                             ;   in Loop: Header=BB2_2391 Depth=2
	v_bfe_u32 v17, v16, 20, 1
	v_add_co_u32_e64 v17, s[18:19], v16, v17
	v_add_co_u32_e64 v48, s[18:19], -1, v17
; %bb.2632:                             ;   in Loop: Header=BB2_2391 Depth=2
	s_or_b64 exec, exec, s[92:93]
	v_add_u32_e32 v17, 0xffffff81, v39
	v_cndmask_b32_e32 v17, v17, v59, vcc
	v_lshrrev_b32_e32 v24, 23, v16
	v_add3_u32 v49, v2, v17, v24
	v_add_u32_e32 v2, 6, v49
	v_and_b32_e32 v17, 0xfffff, v48
	v_add_u32_e32 v34, v17, v16
	v_cmp_ne_u32_e32 vcc, 0, v2
                                        ; implicit-def: $vgpr16_vgpr17
                                        ; implicit-def: $vgpr39
	s_and_saveexec_b64 s[18:19], vcc
	s_xor_b64 s[18:19], exec, s[18:19]
; %bb.2633:                             ;   in Loop: Header=BB2_2391 Depth=2
	v_cmp_lt_u64_e32 vcc, s[58:59], v[34:35]
	v_add_u32_e32 v16, 7, v49
	v_cndmask_b32_e32 v39, v2, v16, vcc
	v_cndmask_b32_e64 v2, 0, 1, vcc
	v_lshrrev_b64 v[16:17], v2, v[34:35]
; %bb.2634:                             ;   in Loop: Header=BB2_2391 Depth=2
	s_andn2_saveexec_b64 s[18:19], s[18:19]
; %bb.2635:                             ;   in Loop: Header=BB2_2391 Depth=2
	v_mov_b32_e32 v16, v34
	v_bfe_u32 v39, v34, 23, 1
	v_mov_b32_e32 v17, v35
; %bb.2636:                             ;   in Loop: Header=BB2_2391 Depth=2
	s_or_b64 exec, exec, s[18:19]
	v_lshrrev_b64 v[16:17], 20, v[16:17]
	v_cmp_gt_i32_e32 vcc, 16, v39
	v_cndmask_b32_e32 v17, 0, v17, vcc
	v_cndmask_b32_e32 v16, 7, v16, vcc
	v_cmp_ne_u64_e32 vcc, 0, v[16:17]
	v_cmp_ne_u32_e64 s[18:19], 0, v39
	s_or_b64 s[18:19], s[18:19], vcc
                                        ; implicit-def: $vgpr17
	s_and_saveexec_b64 s[92:93], s[18:19]
	s_xor_b64 s[18:19], exec, s[92:93]
; %bb.2637:                             ;   in Loop: Header=BB2_2391 Depth=2
	v_min_i32_e32 v2, 15, v39
	v_lshl_or_b32 v2, v2, 3, v30
	v_and_or_b32 v17, v16, 7, v2
                                        ; implicit-def: $vgpr30
; %bb.2638:                             ;   in Loop: Header=BB2_2391 Depth=2
	s_andn2_saveexec_b64 s[18:19], s[18:19]
; %bb.2639:                             ;   in Loop: Header=BB2_2391 Depth=2
	v_mov_b32_e32 v17, v30
; %bb.2640:                             ;   in Loop: Header=BB2_2391 Depth=2
	s_or_b64 exec, exec, s[18:19]
.LBB2_2641:                             ;   in Loop: Header=BB2_2391 Depth=2
	s_or_b64 exec, exec, s[90:91]
                                        ; implicit-def: $vgpr30
.LBB2_2642:                             ;   in Loop: Header=BB2_2391 Depth=2
	s_andn2_saveexec_b64 s[18:19], s[88:89]
; %bb.2643:                             ;   in Loop: Header=BB2_2391 Depth=2
	v_or_b32_e32 v17, 0x7e, v30
; %bb.2644:                             ;   in Loop: Header=BB2_2391 Depth=2
	s_or_b64 exec, exec, s[18:19]
                                        ; implicit-def: $vgpr16
.LBB2_2645:                             ;   in Loop: Header=BB2_2391 Depth=2
	s_andn2_saveexec_b64 s[18:19], s[78:79]
	s_cbranch_execz .LBB2_2390
; %bb.2646:                             ;   in Loop: Header=BB2_2391 Depth=2
	v_or_b32_sdwa v17, v16, s50 dst_sel:DWORD dst_unused:UNUSED_PAD src0_sel:BYTE_3 src1_sel:DWORD
	s_branch .LBB2_2390
.LBB2_2647:                             ;   in Loop: Header=BB2_1409 Depth=1
	s_or_b64 exec, exec, s[76:77]
	buffer_load_dword v55, off, s[0:3], s33 offset:92 ; 4-byte Folded Reload
	buffer_load_dword v24, off, s[0:3], s33 offset:100 ; 4-byte Folded Reload
	v_mov_b32_e32 v10, v56
.LBB2_2648:                             ;   in Loop: Header=BB2_1409 Depth=1
	s_or_b64 exec, exec, s[74:75]
	buffer_load_dword v0, off, s[0:3], s33 offset:72 ; 4-byte Folded Reload
	s_waitcnt vmcnt(0)
	v_and_b32_e32 v2, 0x7ffffe00, v0
	v_cmp_ne_u32_e32 vcc, v0, v2
	s_and_b64 exec, exec, vcc
	s_cbranch_execz .LBB2_2684
; %bb.2649:                             ;   in Loop: Header=BB2_1409 Depth=1
	v_lshlrev_b32_e32 v0, 6, v3
	v_sub_u32_e32 v0, v1, v0
	v_lshlrev_b32_e32 v1, 6, v21
	v_sub_u32_e32 v1, v0, v1
	buffer_load_dword v0, off, s[0:3], s33 offset:72 ; 4-byte Folded Reload
	s_waitcnt vmcnt(0)
	v_and_b32_e32 v0, 0x1ff, v0
	v_sub_u32_e32 v0, v0, v1
	v_cmp_lt_i32_e32 vcc, 0, v0
	s_and_b64 exec, exec, vcc
	s_cbranch_execz .LBB2_2684
; %bb.2650:                             ;   in Loop: Header=BB2_1409 Depth=1
	s_trap 2
	v_mov_b32_e32 v3, v10
	ds_read_b128 v[10:13], v0
	v_add3_u32 v3, v2, v3, v1
	ds_read_b64 v[1:2], v0
	v_ashrrev_i32_e32 v15, 31, v3
	s_mov_b64 s[74:75], 0
	s_waitcnt lgkmcnt(0)
	v_add_co_u32_e32 v10, vcc, v10, v3
	v_addc_co_u32_e32 v11, vcc, v11, v15, vcc
	v_add_co_u32_e32 v12, vcc, v12, v3
	v_addc_co_u32_e32 v13, vcc, v13, v15, vcc
	;; [unrolled: 2-line block ×3, first 2 shown]
	s_branch .LBB2_2652
.LBB2_2651:                             ;   in Loop: Header=BB2_2652 Depth=2
	s_or_b64 exec, exec, s[18:19]
	v_add_co_u32_e32 v10, vcc, v10, v24
	v_addc_co_u32_e32 v11, vcc, 0, v11, vcc
	v_add_co_u32_e32 v12, vcc, v12, v24
	v_addc_co_u32_e32 v13, vcc, 0, v13, vcc
	v_sub_u32_e32 v0, v0, v24
	v_cmp_gt_i32_e32 vcc, 1, v0
	flat_store_byte v[14:15], v3 glc slc
	s_or_b64 s[74:75], vcc, s[74:75]
	v_add_co_u32_e32 v14, vcc, v14, v24
	v_addc_co_u32_e32 v15, vcc, 0, v15, vcc
	s_andn2_b64 exec, exec, s[74:75]
	s_cbranch_execz .LBB2_2684
.LBB2_2652:                             ;   Parent Loop BB2_1409 Depth=1
                                        ; =>  This Inner Loop Header: Depth=2
	flat_load_ubyte v18, v[10:11] glc slc
	flat_load_ubyte v3, v[12:13] glc slc
	v_mov_b32_e32 v1, 0
	v_mov_b32_e32 v17, 0
	s_waitcnt vmcnt(0) lgkmcnt(0)
	v_cmp_ne_u16_e32 vcc, 0, v18
	s_and_saveexec_b64 s[18:19], vcc
	s_cbranch_execz .LBB2_2658
; %bb.2653:                             ;   in Loop: Header=BB2_2652 Depth=2
	v_cmp_ne_u16_e32 vcc, s49, v18
	v_bfrev_b32_e32 v17, 1
	s_and_saveexec_b64 s[76:77], vcc
	s_cbranch_execz .LBB2_2657
; %bb.2654:                             ;   in Loop: Header=BB2_2652 Depth=2
	v_and_b32_e32 v16, 0xffff, v18
	v_and_b32_e32 v2, 0x7f, v16
	v_cmp_ne_u32_e32 vcc, s50, v2
	v_mov_b32_e32 v17, 0x7f800001
	s_and_saveexec_b64 s[78:79], vcc
	s_cbranch_execz .LBB2_2656
; %bb.2655:                             ;   in Loop: Header=BB2_2652 Depth=2
	v_and_b32_e32 v19, 7, v16
	v_lshrrev_b32_e32 v21, 3, v2
	v_cmp_gt_u32_e32 vcc, 8, v2
	v_ffbh_u32_e32 v2, v19
	v_min_u32_e32 v2, 32, v2
	v_subrev_u32_e32 v17, 28, v2
	v_lshlrev_b64 v[16:17], v17, v[16:17]
	v_sub_u32_e32 v2, 29, v2
	v_and_b32_e32 v16, 7, v16
	v_cndmask_b32_e32 v2, v21, v2, vcc
	v_cndmask_b32_e32 v16, v19, v16, vcc
	v_lshlrev_b32_e32 v17, 24, v18
	v_lshlrev_b32_e32 v16, 20, v16
	v_and_b32_e32 v17, 0x80000000, v17
	v_lshl_add_u32 v2, v2, 23, v60
	v_or3_b32 v17, v17, v2, v16
.LBB2_2656:                             ;   in Loop: Header=BB2_2652 Depth=2
	s_or_b64 exec, exec, s[78:79]
.LBB2_2657:                             ;   in Loop: Header=BB2_2652 Depth=2
	s_or_b64 exec, exec, s[76:77]
.LBB2_2658:                             ;   in Loop: Header=BB2_2652 Depth=2
	s_or_b64 exec, exec, s[18:19]
	v_and_b32_e32 v16, 0xff, v3
	v_cmp_ne_u16_e32 vcc, 0, v16
	s_and_saveexec_b64 s[18:19], vcc
	s_cbranch_execz .LBB2_2664
; %bb.2659:                             ;   in Loop: Header=BB2_2652 Depth=2
	v_cmp_ne_u16_e32 vcc, s49, v16
	v_bfrev_b32_e32 v1, 1
	s_and_saveexec_b64 s[76:77], vcc
	s_cbranch_execz .LBB2_2663
; %bb.2660:                             ;   in Loop: Header=BB2_2652 Depth=2
	v_and_b32_e32 v2, 0x7f, v3
	v_cmp_ne_u32_e32 vcc, s50, v2
	v_mov_b32_e32 v1, 0x7f800001
	s_and_saveexec_b64 s[78:79], vcc
	s_cbranch_execz .LBB2_2662
; %bb.2661:                             ;   in Loop: Header=BB2_2652 Depth=2
	v_and_b32_e32 v18, 7, v16
	v_lshlrev_b32_e32 v1, 24, v3
	v_and_b32_e32 v3, 0x80000000, v1
	v_ffbh_u32_e32 v1, v18
	v_min_u32_e32 v21, 32, v1
	v_subrev_u32_e32 v1, 28, v21
	v_lshrrev_b32_e32 v19, 3, v2
	v_cmp_gt_u32_e32 vcc, 8, v2
	v_lshlrev_b64 v[1:2], v1, v[16:17]
	v_sub_u32_e32 v2, 29, v21
	v_and_b32_e32 v1, 7, v1
	v_cndmask_b32_e32 v2, v19, v2, vcc
	v_cndmask_b32_e32 v1, v18, v1, vcc
	v_lshlrev_b32_e32 v1, 20, v1
	v_lshl_add_u32 v2, v2, 23, v60
	v_or3_b32 v1, v3, v2, v1
.LBB2_2662:                             ;   in Loop: Header=BB2_2652 Depth=2
	s_or_b64 exec, exec, s[78:79]
.LBB2_2663:                             ;   in Loop: Header=BB2_2652 Depth=2
	s_or_b64 exec, exec, s[76:77]
.LBB2_2664:                             ;   in Loop: Header=BB2_2652 Depth=2
	s_or_b64 exec, exec, s[18:19]
	v_add_f32_e32 v16, v17, v1
	v_and_b32_e32 v34, 0x7f800000, v16
	v_cmp_ne_u64_e32 vcc, s[46:47], v[34:35]
                                        ; implicit-def: $vgpr3
	s_and_saveexec_b64 s[18:19], vcc
	s_xor_b64 s[76:77], exec, s[18:19]
	s_cbranch_execz .LBB2_2682
; %bb.2665:                             ;   in Loop: Header=BB2_2652 Depth=2
	v_and_b32_e32 v34, 0x7fffffff, v16
	v_cmp_gt_u64_e32 vcc, s[56:57], v[34:35]
	v_and_b32_sdwa v1, v16, s49 dst_sel:DWORD dst_unused:UNUSED_PAD src0_sel:BYTE_3 src1_sel:DWORD
                                        ; implicit-def: $vgpr3
	s_and_saveexec_b64 s[18:19], vcc
	s_xor_b64 s[78:79], exec, s[18:19]
	s_cbranch_execz .LBB2_2679
; %bb.2666:                             ;   in Loop: Header=BB2_2652 Depth=2
	v_cmp_ne_u32_e32 vcc, 0, v16
	v_mov_b32_e32 v3, 0
	s_and_saveexec_b64 s[88:89], vcc
	s_cbranch_execz .LBB2_2678
; %bb.2667:                             ;   in Loop: Header=BB2_2652 Depth=2
	v_bfe_u32 v3, v16, 23, 8
	v_cmp_gt_u32_e64 s[18:19], s51, v3
	v_sub_u32_e32 v2, 0x79, v3
	v_and_b32_e32 v17, 0x7fffff, v16
	v_cmp_eq_u32_e32 vcc, 0, v3
	v_cndmask_b32_e64 v2, 0, v2, s[18:19]
	v_or_b32_e32 v16, 0x800000, v17
	v_cndmask_b32_e32 v2, v2, v62, vcc
	v_cndmask_b32_e32 v34, v16, v17, vcc
	v_add_u32_e32 v16, 20, v2
	v_lshlrev_b64 v[16:17], v16, -1
	v_add_u32_e32 v18, 19, v2
	v_lshlrev_b64 v[18:19], v18, 1
	v_bfi_b32 v17, v17, 0, 0
	v_bfi_b32 v16, v16, 0, v34
	v_cmp_eq_u64_e64 s[18:19], v[16:17], v[18:19]
	v_lshrrev_b64 v[16:17], v2, v[34:35]
	v_mov_b32_e32 v49, v17
	v_mov_b32_e32 v48, v16
	s_and_saveexec_b64 s[90:91], s[18:19]
; %bb.2668:                             ;   in Loop: Header=BB2_2652 Depth=2
	v_bfe_u32 v17, v16, 20, 1
	v_add_co_u32_e64 v17, s[18:19], v16, v17
	v_add_co_u32_e64 v48, s[18:19], -1, v17
; %bb.2669:                             ;   in Loop: Header=BB2_2652 Depth=2
	s_or_b64 exec, exec, s[90:91]
	v_add_u32_e32 v3, 0xffffff81, v3
	v_cndmask_b32_e32 v3, v3, v59, vcc
	v_lshrrev_b32_e32 v17, 23, v16
	v_add3_u32 v3, v2, v3, v17
	v_add_u32_e32 v2, 6, v3
	v_and_b32_e32 v17, 0xfffff, v48
	v_add_u32_e32 v34, v17, v16
	v_cmp_ne_u32_e32 vcc, 0, v2
                                        ; implicit-def: $vgpr16_vgpr17
                                        ; implicit-def: $vgpr18
	s_and_saveexec_b64 s[18:19], vcc
	s_xor_b64 s[18:19], exec, s[18:19]
; %bb.2670:                             ;   in Loop: Header=BB2_2652 Depth=2
	v_cmp_lt_u64_e32 vcc, s[58:59], v[34:35]
	v_add_u32_e32 v3, 7, v3
	v_cndmask_b32_e32 v18, v2, v3, vcc
	v_cndmask_b32_e64 v2, 0, 1, vcc
	v_lshrrev_b64 v[16:17], v2, v[34:35]
; %bb.2671:                             ;   in Loop: Header=BB2_2652 Depth=2
	s_andn2_saveexec_b64 s[18:19], s[18:19]
; %bb.2672:                             ;   in Loop: Header=BB2_2652 Depth=2
	v_mov_b32_e32 v16, v34
	v_bfe_u32 v18, v34, 23, 1
	v_mov_b32_e32 v17, v35
; %bb.2673:                             ;   in Loop: Header=BB2_2652 Depth=2
	s_or_b64 exec, exec, s[18:19]
	v_lshrrev_b64 v[2:3], 20, v[16:17]
	v_cmp_gt_i32_e32 vcc, 16, v18
	v_cndmask_b32_e32 v17, 0, v3, vcc
	v_cndmask_b32_e32 v16, 7, v2, vcc
	v_cmp_ne_u64_e32 vcc, 0, v[16:17]
	v_cmp_ne_u32_e64 s[18:19], 0, v18
	s_or_b64 s[18:19], s[18:19], vcc
                                        ; implicit-def: $vgpr3
	s_and_saveexec_b64 s[90:91], s[18:19]
	s_xor_b64 s[18:19], exec, s[90:91]
; %bb.2674:                             ;   in Loop: Header=BB2_2652 Depth=2
	v_min_i32_e32 v2, 15, v18
	v_lshl_or_b32 v1, v2, 3, v1
	v_and_or_b32 v3, v16, 7, v1
                                        ; implicit-def: $vgpr1
; %bb.2675:                             ;   in Loop: Header=BB2_2652 Depth=2
	s_andn2_saveexec_b64 s[18:19], s[18:19]
; %bb.2676:                             ;   in Loop: Header=BB2_2652 Depth=2
	v_mov_b32_e32 v3, v1
; %bb.2677:                             ;   in Loop: Header=BB2_2652 Depth=2
	s_or_b64 exec, exec, s[18:19]
.LBB2_2678:                             ;   in Loop: Header=BB2_2652 Depth=2
	s_or_b64 exec, exec, s[88:89]
                                        ; implicit-def: $vgpr1
.LBB2_2679:                             ;   in Loop: Header=BB2_2652 Depth=2
	s_andn2_saveexec_b64 s[18:19], s[78:79]
; %bb.2680:                             ;   in Loop: Header=BB2_2652 Depth=2
	v_or_b32_e32 v3, 0x7e, v1
; %bb.2681:                             ;   in Loop: Header=BB2_2652 Depth=2
	s_or_b64 exec, exec, s[18:19]
                                        ; implicit-def: $vgpr16
.LBB2_2682:                             ;   in Loop: Header=BB2_2652 Depth=2
	s_andn2_saveexec_b64 s[18:19], s[76:77]
	s_cbranch_execz .LBB2_2651
; %bb.2683:                             ;   in Loop: Header=BB2_2652 Depth=2
	v_or_b32_sdwa v3, v16, s50 dst_sel:DWORD dst_unused:UNUSED_PAD src0_sel:BYTE_3 src1_sel:DWORD
	s_branch .LBB2_2651
.LBB2_2684:                             ;   in Loop: Header=BB2_1409 Depth=1
	s_or_b64 exec, exec, s[20:21]
	v_cmp_ne_u32_e64 s[18:19], 0, v44
	s_and_saveexec_b64 s[20:21], s[10:11]
	s_cbranch_execz .LBB2_2703
.LBB2_2685:                             ;   in Loop: Header=BB2_1409 Depth=1
	s_and_saveexec_b64 s[74:75], s[40:41]
	s_xor_b64 s[74:75], exec, s[74:75]
	s_cbranch_execz .LBB2_2700
; %bb.2686:                             ;   in Loop: Header=BB2_1409 Depth=1
	s_and_saveexec_b64 s[76:77], s[12:13]
	s_cbranch_execz .LBB2_2699
; %bb.2687:                             ;   in Loop: Header=BB2_1409 Depth=1
	s_mov_b64 s[88:89], exec
	v_mbcnt_lo_u32_b32 v0, s88, 0
	v_mbcnt_hi_u32_b32 v0, s89, v0
	v_cmp_eq_u32_e32 vcc, 0, v0
	s_waitcnt vmcnt(0) lgkmcnt(0)
	buffer_wbinvl1_vol
	s_and_saveexec_b64 s[78:79], vcc
	s_cbranch_execz .LBB2_2689
; %bb.2688:                             ;   in Loop: Header=BB2_1409 Depth=1
	s_bcnt1_i32_b64 s88, s[88:89]
	v_mov_b32_e32 v34, s88
	ds_add_u64 v0, v[34:35]
	s_trap 2
.LBB2_2689:                             ;   in Loop: Header=BB2_1409 Depth=1
	s_or_b64 exec, exec, s[78:79]
	s_trap 2
	ds_read_b64 v[0:1], v0
	s_waitcnt lgkmcnt(0)
	v_add_co_u32_e32 v26, vcc, v26, v47
	v_addc_co_u32_e32 v27, vcc, 0, v27, vcc
	v_cmp_lt_u64_e32 vcc, v[0:1], v[26:27]
	s_and_saveexec_b64 s[78:79], vcc
	s_cbranch_execz .LBB2_2698
; %bb.2690:                             ;   in Loop: Header=BB2_1409 Depth=1
	s_mov_b32 s34, 0
	s_mov_b64 s[88:89], 0
                                        ; implicit-def: $sgpr90_sgpr91
                                        ; implicit-def: $sgpr92_sgpr93
	s_branch .LBB2_2692
.LBB2_2691:                             ;   in Loop: Header=BB2_2692 Depth=2
	s_or_b64 exec, exec, s[30:31]
	s_and_b64 s[94:95], exec, vcc
	s_or_b64 s[88:89], s[94:95], s[88:89]
	s_andn2_b64 s[90:91], s[90:91], exec
	s_and_b64 s[94:95], s[92:93], exec
	s_or_b64 s[90:91], s[90:91], s[94:95]
	s_andn2_b64 exec, exec, s[88:89]
	s_cbranch_execz .LBB2_2696
.LBB2_2692:                             ;   Parent Loop BB2_1409 Depth=1
                                        ; =>  This Inner Loop Header: Depth=2
	s_add_i32 s34, s34, 1
	s_cmpk_lg_i32 s34, 0x2710
	s_cselect_b64 s[94:95], -1, 0
	s_and_b64 vcc, exec, s[94:95]
	s_cbranch_vccz .LBB2_2694
; %bb.2693:                             ;   in Loop: Header=BB2_2692 Depth=2
	s_mov_b64 vcc, -1
	s_or_b64 s[92:93], s[92:93], exec
	s_and_saveexec_b64 s[30:31], s[94:95]
	s_cbranch_execz .LBB2_2691
	s_branch .LBB2_2695
.LBB2_2694:                             ;   in Loop: Header=BB2_2692 Depth=2
	s_trap 2
	ds_read_b64 v[0:1], v0
	s_andn2_b64 s[94:95], s[94:95], exec
	s_mov_b32 s34, 0
	s_waitcnt lgkmcnt(0)
	flat_load_dword v0, v[0:1] glc
	s_waitcnt vmcnt(0) lgkmcnt(0)
	buffer_wbinvl1_vol
	v_cmp_eq_u32_e32 vcc, 0, v0
	s_and_b64 vcc, vcc, exec
	s_or_b64 s[94:95], s[94:95], vcc
	s_mov_b64 vcc, -1
	s_or_b64 s[92:93], s[92:93], exec
	s_and_saveexec_b64 s[30:31], s[94:95]
	s_cbranch_execz .LBB2_2691
.LBB2_2695:                             ;   in Loop: Header=BB2_2692 Depth=2
	s_sleep 1
	s_trap 2
	ds_read_b64 v[0:1], v0
	s_waitcnt lgkmcnt(0)
	s_andn2_b64 s[92:93], s[92:93], exec
	v_cmp_ge_u64_e32 vcc, v[0:1], v[26:27]
	s_orn2_b64 vcc, vcc, exec
	s_branch .LBB2_2691
.LBB2_2696:                             ;   in Loop: Header=BB2_1409 Depth=1
	s_or_b64 exec, exec, s[88:89]
	s_and_saveexec_b64 s[88:89], s[90:91]
	s_xor_b64 s[88:89], exec, s[88:89]
	s_cbranch_execz .LBB2_2698
; %bb.2697:                             ;   in Loop: Header=BB2_1409 Depth=1
	v_mov_b32_e32 v0, 1
	ds_write_b32 v0, v0
	s_trap 2
.LBB2_2698:                             ;   in Loop: Header=BB2_1409 Depth=1
	s_or_b64 exec, exec, s[78:79]
	;;#ASMSTART
	s_wakeup
	;;#ASMEND
.LBB2_2699:                             ;   in Loop: Header=BB2_1409 Depth=1
	s_or_b64 exec, exec, s[76:77]
.LBB2_2700:                             ;   in Loop: Header=BB2_1409 Depth=1
	s_andn2_saveexec_b64 s[74:75], s[74:75]
	s_cbranch_execz .LBB2_2702
; %bb.2701:                             ;   in Loop: Header=BB2_1409 Depth=1
	s_waitcnt vmcnt(0) lgkmcnt(0)
	buffer_wbinvl1_vol
	s_barrier
.LBB2_2702:                             ;   in Loop: Header=BB2_1409 Depth=1
	s_or_b64 exec, exec, s[74:75]
.LBB2_2703:                             ;   in Loop: Header=BB2_1409 Depth=1
	s_or_b64 exec, exec, s[20:21]
	v_and_b32_e32 v0, 16, v57
	v_cmp_ne_u32_e32 vcc, 0, v0
	s_and_b64 s[20:21], vcc, s[18:19]
	s_and_saveexec_b64 s[18:19], s[20:21]
	s_cbranch_execz .LBB2_2705
; %bb.2704:                             ;   in Loop: Header=BB2_1409 Depth=1
	s_waitcnt vmcnt(0) lgkmcnt(0)
	buffer_wbinvl1_vol
.LBB2_2705:                             ;   in Loop: Header=BB2_1409 Depth=1
	s_or_b64 exec, exec, s[18:19]
	v_and_b32_e32 v0, 32, v57
	v_cmp_ne_u32_e32 vcc, 0, v0
	s_and_saveexec_b64 s[18:19], vcc
	s_cbranch_execz .LBB2_2707
; %bb.2706:                             ;   in Loop: Header=BB2_1409 Depth=1
	v_add_co_u32_e32 v8, vcc, 1, v8
	v_addc_co_u32_e32 v9, vcc, 0, v9, vcc
	flat_store_dwordx2 v[22:23], v[8:9]
.LBB2_2707:                             ;   in Loop: Header=BB2_1409 Depth=1
	s_or_b64 exec, exec, s[18:19]
	v_mov_b32_e32 v0, v20
.LBB2_2708:                             ;   in Loop: Header=BB2_1409 Depth=1
	s_or_b64 exec, exec, s[72:73]
	s_and_saveexec_b64 s[20:21], s[62:63]
	s_cbranch_execz .LBB2_1408
; %bb.2709:                             ;   in Loop: Header=BB2_1409 Depth=1
	v_and_b32_e32 v1, 4, v57
	v_cmp_ne_u32_e32 vcc, 0, v1
	s_and_saveexec_b64 s[62:63], vcc
	s_cbranch_execz .LBB2_2731
; %bb.2710:                             ;   in Loop: Header=BB2_1409 Depth=1
	s_waitcnt lgkmcnt(0)
	v_add_co_u32_e32 v10, vcc, 1, v8
	v_addc_co_u32_e32 v11, vcc, 0, v9, vcc
	v_cmp_lt_u64_e32 vcc, v[28:29], v[10:11]
	s_and_saveexec_b64 s[72:73], vcc
	s_cbranch_execz .LBB2_2722
; %bb.2711:                             ;   in Loop: Header=BB2_1409 Depth=1
	v_and_b32_e32 v1, 64, v57
	s_mov_b32 s36, 0
	v_cmp_eq_u32_e32 vcc, 0, v1
	s_mov_b64 s[74:75], 0
                                        ; implicit-def: $sgpr76_sgpr77
                                        ; implicit-def: $sgpr78_sgpr79
                                        ; implicit-def: $sgpr88_sgpr89
	s_branch .LBB2_2715
.LBB2_2712:                             ;   in Loop: Header=BB2_2715 Depth=2
	s_waitcnt vmcnt(0) lgkmcnt(0)
	v_cmp_ge_u64_e64 s[18:19], v[28:29], v[10:11]
	s_or_b64 s[94:95], s[94:95], exec
	s_orn2_b64 s[92:93], s[18:19], exec
.LBB2_2713:                             ;   in Loop: Header=BB2_2715 Depth=2
	s_or_b64 exec, exec, s[34:35]
	s_andn2_b64 s[18:19], s[88:89], exec
	s_and_b64 s[88:89], s[94:95], exec
	s_or_b64 s[88:89], s[18:19], s[88:89]
	s_andn2_b64 s[18:19], s[78:79], exec
	s_and_b64 s[78:79], s[92:93], exec
	s_or_b64 s[78:79], s[18:19], s[78:79]
.LBB2_2714:                             ;   in Loop: Header=BB2_2715 Depth=2
	s_or_b64 exec, exec, s[90:91]
	s_and_b64 s[18:19], exec, s[78:79]
	s_or_b64 s[74:75], s[18:19], s[74:75]
	s_andn2_b64 s[18:19], s[76:77], exec
	s_and_b64 s[76:77], s[88:89], exec
	s_or_b64 s[76:77], s[18:19], s[76:77]
	s_andn2_b64 exec, exec, s[74:75]
	s_cbranch_execz .LBB2_2719
.LBB2_2715:                             ;   Parent Loop BB2_1409 Depth=1
                                        ; =>  This Inner Loop Header: Depth=2
	s_sleep 1
	s_waitcnt vmcnt(0) lgkmcnt(0)
	flat_load_dwordx2 v[28:29], v[22:23] glc
	s_or_b64 s[88:89], s[88:89], exec
	s_or_b64 s[78:79], s[78:79], exec
                                        ; implicit-def: $vgpr1
	s_and_saveexec_b64 s[90:91], vcc
	s_cbranch_execz .LBB2_2714
; %bb.2716:                             ;   in Loop: Header=BB2_2715 Depth=2
	s_cmpk_lt_i32 s36, 0x270f
	s_cselect_b64 s[30:31], -1, 0
	s_cmpk_gt_i32 s36, 0x270e
	s_mov_b64 s[92:93], -1
	s_cbranch_scc0 .LBB2_2718
; %bb.2717:                             ;   in Loop: Header=BB2_2715 Depth=2
	s_trap 2
	ds_read_b64 v[1:2], v0
	s_andn2_b64 s[30:31], s[30:31], exec
	s_mov_b32 s36, 0
	s_mov_b64 s[94:95], 0
	s_waitcnt vmcnt(0) lgkmcnt(0)
	flat_load_dword v1, v[1:2] glc
	s_waitcnt vmcnt(0) lgkmcnt(0)
	buffer_wbinvl1_vol
	v_cmp_eq_u32_e64 s[18:19], 0, v1
	s_and_b64 s[18:19], s[18:19], exec
	s_or_b64 s[30:31], s[30:31], s[18:19]
	s_and_saveexec_b64 s[34:35], s[30:31]
	s_cbranch_execz .LBB2_2713
	s_branch .LBB2_2712
.LBB2_2718:                             ;   in Loop: Header=BB2_2715 Depth=2
	s_add_i32 s36, s36, 1
	s_mov_b64 s[94:95], -1
                                        ; implicit-def: $vgpr1
	s_and_saveexec_b64 s[34:35], s[30:31]
	s_cbranch_execz .LBB2_2713
	s_branch .LBB2_2712
.LBB2_2719:                             ;   in Loop: Header=BB2_1409 Depth=1
	s_or_b64 exec, exec, s[74:75]
	s_xor_b64 s[18:19], s[76:77], -1
	s_and_saveexec_b64 s[74:75], s[18:19]
	s_xor_b64 s[18:19], exec, s[74:75]
	s_cbranch_execz .LBB2_2721
; %bb.2720:                             ;   in Loop: Header=BB2_1409 Depth=1
	v_or_b32_e32 v57, 64, v57
	s_waitcnt lgkmcnt(0)
	ds_write_b32 v0, v1
	s_trap 2
.LBB2_2721:                             ;   in Loop: Header=BB2_1409 Depth=1
	s_or_b64 exec, exec, s[18:19]
.LBB2_2722:                             ;   in Loop: Header=BB2_1409 Depth=1
	s_or_b64 exec, exec, s[72:73]
	v_and_b32_e32 v1, 0x100, v57
	v_cmp_ne_u32_e32 vcc, 0, v1
	v_and_b32_e32 v1, 7, v8
	s_mov_b64 s[18:19], -1
	;;#ASMSTART
	s_wakeup
	;;#ASMEND
                                        ; implicit-def: $vgpr8_vgpr9
	s_and_saveexec_b64 s[72:73], vcc
	s_cbranch_execz .LBB2_2726
; %bb.2723:                             ;   in Loop: Header=BB2_1409 Depth=1
	v_mad_u64_u32 v[12:13], s[18:19], v1, 24, v[6:7]
                                        ; implicit-def: $vgpr8_vgpr9
	flat_load_dword v2, v[12:13]
	s_waitcnt vmcnt(0) lgkmcnt(0)
	v_cmp_ne_u32_e32 vcc, 1, v2
	v_cmp_eq_u32_e64 s[18:19], 1, v2
	s_and_saveexec_b64 s[74:75], s[18:19]
	s_cbranch_execz .LBB2_2725
; %bb.2724:                             ;   in Loop: Header=BB2_1409 Depth=1
	flat_load_dword v8, v[12:13] offset:4 glc
	s_waitcnt vmcnt(0) lgkmcnt(0)
	v_ashrrev_i32_e32 v9, 31, v8
.LBB2_2725:                             ;   in Loop: Header=BB2_1409 Depth=1
	s_or_b64 exec, exec, s[74:75]
	s_orn2_b64 s[18:19], vcc, exec
.LBB2_2726:                             ;   in Loop: Header=BB2_1409 Depth=1
	s_or_b64 exec, exec, s[72:73]
	s_and_saveexec_b64 s[72:73], s[18:19]
	s_cbranch_execz .LBB2_2728
; %bb.2727:                             ;   in Loop: Header=BB2_1409 Depth=1
	buffer_load_dword v2, off, s[0:3], s33 offset:88 ; 4-byte Folded Reload
	s_waitcnt vmcnt(0)
	v_mad_i64_i32 v[8:9], s[18:19], v1, v2, 0
.LBB2_2728:                             ;   in Loop: Header=BB2_1409 Depth=1
	s_or_b64 exec, exec, s[72:73]
	buffer_load_dword v1, off, s[0:3], s33 offset:60 ; 4-byte Folded Reload
	buffer_load_dword v2, off, s[0:3], s33 offset:64 ; 4-byte Folded Reload
	s_waitcnt vmcnt(0)
	v_add_co_u32_e32 v1, vcc, v1, v8
	v_addc_co_u32_e32 v2, vcc, v2, v9, vcc
	ds_write_b64 v0, v[1:2] offset:728
	v_and_b32_e32 v1, 0x2000, v57
	v_cmp_ne_u32_e32 vcc, 0, v1
	s_and_saveexec_b64 s[18:19], vcc
	s_cbranch_execz .LBB2_2730
; %bb.2729:                             ;   in Loop: Header=BB2_1409 Depth=1
	ds_read_b64 v[1:2], v0 offset:872
	s_waitcnt lgkmcnt(0)
	v_add_co_u32_e32 v1, vcc, 1, v1
	v_addc_co_u32_e32 v2, vcc, 0, v2, vcc
	ds_write_b64 v0, v[1:2] offset:872
.LBB2_2730:                             ;   in Loop: Header=BB2_1409 Depth=1
	s_or_b64 exec, exec, s[18:19]
	v_mov_b32_e32 v8, v10
	v_mov_b32_e32 v9, v11
.LBB2_2731:                             ;   in Loop: Header=BB2_1409 Depth=1
	s_or_b64 exec, exec, s[62:63]
	s_and_saveexec_b64 s[18:19], s[10:11]
	s_cbranch_execz .LBB2_2750
; %bb.2732:                             ;   in Loop: Header=BB2_1409 Depth=1
	s_and_saveexec_b64 s[62:63], s[40:41]
	s_xor_b64 s[62:63], exec, s[62:63]
	s_cbranch_execz .LBB2_2747
; %bb.2733:                             ;   in Loop: Header=BB2_1409 Depth=1
	s_and_saveexec_b64 s[72:73], s[12:13]
	s_cbranch_execz .LBB2_2746
; %bb.2734:                             ;   in Loop: Header=BB2_1409 Depth=1
	s_mov_b64 s[76:77], exec
	v_mbcnt_lo_u32_b32 v1, s76, 0
	v_mbcnt_hi_u32_b32 v1, s77, v1
	v_cmp_eq_u32_e32 vcc, 0, v1
	s_waitcnt vmcnt(0) lgkmcnt(0)
	buffer_wbinvl1_vol
	s_and_saveexec_b64 s[74:75], vcc
	s_cbranch_execz .LBB2_2736
; %bb.2735:                             ;   in Loop: Header=BB2_1409 Depth=1
	s_bcnt1_i32_b64 s76, s[76:77]
	v_mov_b32_e32 v34, s76
	ds_add_u64 v0, v[34:35]
	s_trap 2
.LBB2_2736:                             ;   in Loop: Header=BB2_1409 Depth=1
	s_or_b64 exec, exec, s[74:75]
	s_trap 2
	ds_read_b64 v[1:2], v0
	s_waitcnt lgkmcnt(0)
	v_add_co_u32_e32 v26, vcc, v26, v47
	v_addc_co_u32_e32 v27, vcc, 0, v27, vcc
	v_cmp_lt_u64_e32 vcc, v[1:2], v[26:27]
	s_and_saveexec_b64 s[74:75], vcc
	s_cbranch_execz .LBB2_2745
; %bb.2737:                             ;   in Loop: Header=BB2_1409 Depth=1
	s_mov_b32 s30, 0
	s_mov_b64 s[76:77], 0
                                        ; implicit-def: $sgpr78_sgpr79
                                        ; implicit-def: $sgpr88_sgpr89
	s_branch .LBB2_2739
.LBB2_2738:                             ;   in Loop: Header=BB2_2739 Depth=2
	s_or_b64 exec, exec, s[92:93]
	s_and_b64 s[90:91], exec, s[94:95]
	s_or_b64 s[76:77], s[90:91], s[76:77]
	s_andn2_b64 s[78:79], s[78:79], exec
	s_and_b64 s[90:91], s[88:89], exec
	s_or_b64 s[78:79], s[78:79], s[90:91]
	s_andn2_b64 exec, exec, s[76:77]
	s_cbranch_execz .LBB2_2743
.LBB2_2739:                             ;   Parent Loop BB2_1409 Depth=1
                                        ; =>  This Inner Loop Header: Depth=2
	s_add_i32 s30, s30, 1
	s_cmpk_lg_i32 s30, 0x2710
	s_cselect_b64 s[90:91], -1, 0
	s_and_b64 vcc, exec, s[90:91]
	s_cbranch_vccz .LBB2_2741
; %bb.2740:                             ;   in Loop: Header=BB2_2739 Depth=2
	s_mov_b64 s[94:95], -1
	s_or_b64 s[88:89], s[88:89], exec
	s_and_saveexec_b64 s[92:93], s[90:91]
	s_cbranch_execz .LBB2_2738
	s_branch .LBB2_2742
.LBB2_2741:                             ;   in Loop: Header=BB2_2739 Depth=2
	s_trap 2
	ds_read_b64 v[1:2], v0
	s_andn2_b64 s[90:91], s[90:91], exec
	s_mov_b32 s30, 0
	s_waitcnt lgkmcnt(0)
	flat_load_dword v1, v[1:2] glc
	s_waitcnt vmcnt(0) lgkmcnt(0)
	buffer_wbinvl1_vol
	v_cmp_eq_u32_e32 vcc, 0, v1
	s_and_b64 s[92:93], vcc, exec
	s_or_b64 s[90:91], s[90:91], s[92:93]
	s_mov_b64 s[94:95], -1
	s_or_b64 s[88:89], s[88:89], exec
	s_and_saveexec_b64 s[92:93], s[90:91]
	s_cbranch_execz .LBB2_2738
.LBB2_2742:                             ;   in Loop: Header=BB2_2739 Depth=2
	s_sleep 1
	s_trap 2
	ds_read_b64 v[1:2], v0
	s_waitcnt lgkmcnt(0)
	s_andn2_b64 s[88:89], s[88:89], exec
	v_cmp_ge_u64_e32 vcc, v[1:2], v[26:27]
	s_orn2_b64 s[94:95], vcc, exec
	s_branch .LBB2_2738
.LBB2_2743:                             ;   in Loop: Header=BB2_1409 Depth=1
	s_or_b64 exec, exec, s[76:77]
	s_and_saveexec_b64 s[76:77], s[78:79]
	s_xor_b64 s[76:77], exec, s[76:77]
	s_cbranch_execz .LBB2_2745
; %bb.2744:                             ;   in Loop: Header=BB2_1409 Depth=1
	v_mov_b32_e32 v1, 1
	ds_write_b32 v0, v1
	s_trap 2
.LBB2_2745:                             ;   in Loop: Header=BB2_1409 Depth=1
	s_or_b64 exec, exec, s[74:75]
	;;#ASMSTART
	s_wakeup
	;;#ASMEND
.LBB2_2746:                             ;   in Loop: Header=BB2_1409 Depth=1
	s_or_b64 exec, exec, s[72:73]
.LBB2_2747:                             ;   in Loop: Header=BB2_1409 Depth=1
	s_andn2_saveexec_b64 s[62:63], s[62:63]
	s_cbranch_execz .LBB2_2749
; %bb.2748:                             ;   in Loop: Header=BB2_1409 Depth=1
	s_waitcnt vmcnt(0) lgkmcnt(0)
	buffer_wbinvl1_vol
	s_barrier
.LBB2_2749:                             ;   in Loop: Header=BB2_1409 Depth=1
	s_or_b64 exec, exec, s[62:63]
.LBB2_2750:                             ;   in Loop: Header=BB2_1409 Depth=1
	s_or_b64 exec, exec, s[18:19]
	s_trap 2
	ds_read_b32 v1, v0
	v_sub_u32_e32 v0, v38, v0
	v_min_i32_e32 v0, v20, v0
	v_cmp_lt_i32_e32 vcc, 0, v0
	v_and_b32_e32 v0, 16, v57
	s_waitcnt lgkmcnt(0)
	v_readfirstlane_b32 s18, v1
	s_cmp_eq_u32 s18, 0
	s_cselect_b64 s[18:19], -1, 0
	s_and_b64 s[18:19], vcc, s[18:19]
	v_cmp_ne_u32_e32 vcc, 0, v0
	s_and_b64 s[62:63], vcc, s[18:19]
	s_and_saveexec_b64 s[18:19], s[62:63]
	s_cbranch_execz .LBB2_2752
; %bb.2751:                             ;   in Loop: Header=BB2_1409 Depth=1
	s_waitcnt vmcnt(0)
	buffer_wbinvl1_vol
.LBB2_2752:                             ;   in Loop: Header=BB2_1409 Depth=1
	s_or_b64 exec, exec, s[18:19]
	v_and_b32_e32 v0, 32, v57
	v_cmp_ne_u32_e32 vcc, 0, v0
	s_and_saveexec_b64 s[18:19], vcc
	s_cbranch_execz .LBB2_1407
; %bb.2753:                             ;   in Loop: Header=BB2_1409 Depth=1
	v_add_co_u32_e32 v8, vcc, 1, v8
	v_addc_co_u32_e32 v9, vcc, 0, v9, vcc
	flat_store_dwordx2 v[22:23], v[8:9]
	s_branch .LBB2_1407
.LBB2_2754:
	s_or_b64 exec, exec, s[42:43]
	buffer_load_dword v44, off, s[0:3], s33 offset:108 ; 4-byte Folded Reload
	buffer_load_dword v45, off, s[0:3], s33 offset:112 ; 4-byte Folded Reload
	;; [unrolled: 1-line block ×5, first 2 shown]
.LBB2_2755:
	s_or_b64 exec, exec, s[28:29]
.LBB2_2756:
	s_or_b64 exec, exec, s[22:23]
                                        ; implicit-def: $vgpr0_vgpr1
                                        ; implicit-def: $vgpr58_vgpr59
                                        ; implicit-def: $vgpr4_vgpr5
                                        ; kill: killed $vgpr0_vgpr1
                                        ; implicit-def: $vgpr47
                                        ; implicit-def: $vgpr28_vgpr29
                                        ; implicit-def: $vgpr22_vgpr23
                                        ; implicit-def: $vgpr55
                                        ; implicit-def: $vgpr18
                                        ; implicit-def: $vgpr32
                                        ; implicit-def: $vgpr0_vgpr1
                                        ; kill: killed $vgpr0_vgpr1
.LBB2_2757:
	s_andn2_saveexec_b64 s[22:23], s[26:27]
	s_cbranch_execz .LBB2_2931
; %bb.2758:
	v_mov_b32_e32 v26, 0
	v_cmp_ne_u64_e32 vcc, 0, v[4:5]
	v_mov_b32_e32 v27, 0
	s_and_saveexec_b64 s[26:27], vcc
	s_cbranch_execz .LBB2_2930
; %bb.2759:
	s_trap 2
	buffer_load_dword v14, off, s[0:3], s33 offset:72 ; 4-byte Folded Reload
	buffer_load_dword v15, off, s[0:3], s33 offset:76 ; 4-byte Folded Reload
	s_waitcnt vmcnt(0)
	v_ashrrev_i32_e32 v1, 31, v55
	v_lshrrev_b32_e32 v1, 26, v1
	v_add_u32_e32 v2, v55, v1
	s_ashr_i32 s6, s48, 31
	v_and_b32_e32 v1, 0xffffffc0, v2
	v_ashrrev_i32_e32 v2, 6, v2
	s_lshr_b32 s6, s6, 24
	v_and_b32_e32 v0, 63, v45
	v_sub_u32_e32 v1, v55, v1
	v_lshlrev_b32_e32 v3, 11, v2
	s_add_i32 s48, s48, s6
	v_cmp_eq_u32_e32 vcc, 64, v44
	v_cmp_eq_u32_e64 s[12:13], 0, v0
	v_lshrrev_b32_e32 v0, 6, v44
	v_lshl_add_u32 v12, v1, 4, v3
	v_mov_b32_e32 v26, 0
	s_ashr_i32 s94, s48, 8
	v_cmp_ge_i32_e64 s[6:7], v55, v44
	v_cmp_ne_u32_e64 s[10:11], 64, v44
	v_cmp_ne_u32_sdwa s[28:29], v44, v46 src0_sel:DWORD src1_sel:WORD_0
	v_mov_b32_e32 v11, 0
	v_cmp_gt_i32_e64 s[14:15], 1, v1
	v_cmp_lt_i32_e64 s[16:17], v1, v18
	v_ashrrev_i32_e32 v13, 31, v12
	v_lshlrev_b32_e32 v3, 10, v0
	v_lshlrev_b32_e32 v18, 9, v0
	v_and_b32_e32 v19, 0x3fc0, v44
	s_mov_b64 s[40:41], 0
	v_mov_b32_e32 v27, 0
	v_mov_b32_e32 v20, 1
	s_xor_b64 s[42:43], vcc, -1
	s_mov_b32 s95, 0x3ffffc00
	v_cmp_ne_u64_e64 s[18:19], 0, v[14:15]
	v_mov_b32_e32 v14, 0
	v_mov_b32_e32 v15, 0
	s_branch .LBB2_2763
.LBB2_2760:                             ;   in Loop: Header=BB2_2763 Depth=1
	s_or_b64 exec, exec, s[44:45]
	v_add_co_u32_e32 v8, vcc, 1, v8
	v_addc_co_u32_e32 v9, vcc, 0, v9, vcc
	flat_store_dwordx2 v[22:23], v[8:9]
.LBB2_2761:                             ;   in Loop: Header=BB2_2763 Depth=1
	s_or_b64 exec, exec, s[20:21]
.LBB2_2762:                             ;   in Loop: Header=BB2_2763 Depth=1
	s_or_b64 exec, exec, s[46:47]
	v_add_co_u32_e32 v14, vcc, v14, v32
	v_addc_co_u32_e32 v15, vcc, 0, v15, vcc
	v_cmp_ge_u64_e32 vcc, v[14:15], v[4:5]
	s_or_b64 s[40:41], vcc, s[40:41]
	s_andn2_b64 exec, exec, s[40:41]
	s_cbranch_execz .LBB2_2929
.LBB2_2763:                             ; =>This Loop Header: Depth=1
                                        ;     Child Loop BB2_2772 Depth 2
                                        ;     Child Loop BB2_2796 Depth 2
	;; [unrolled: 1-line block ×10, first 2 shown]
	v_sub_co_u32_e32 v16, vcc, v4, v14
	v_subb_co_u32_e32 v17, vcc, v5, v15, vcc
	v_cmp_lt_u64_e32 vcc, v[32:33], v[16:17]
	v_cndmask_b32_e64 v17, v17, 0, vcc
	v_cndmask_b32_e32 v16, v16, v32, vcc
	v_cmp_eq_u64_e32 vcc, 0, v[16:17]
	v_add_u32_e32 v10, 15, v16
	v_and_b32_e32 v10, 0x7ffffff0, v10
	s_or_b64 s[44:45], s[6:7], vcc
	v_max_i32_e32 v10, s94, v10
	s_xor_b64 s[20:21], s[44:45], -1
	v_mov_b32_e32 v17, 0
	s_and_saveexec_b64 s[46:47], s[20:21]
	s_cbranch_execz .LBB2_2882
; %bb.2764:                             ;   in Loop: Header=BB2_2763 Depth=1
	s_and_saveexec_b64 s[20:21], s[4:5]
	s_cbranch_execz .LBB2_2766
; %bb.2765:                             ;   in Loop: Header=BB2_2763 Depth=1
	s_trap 2
	ds_read_b64 v[30:31], v0
	s_waitcnt lgkmcnt(0)
	v_add_co_u32_e32 v17, vcc, v30, v58
	v_addc_co_u32_e32 v21, vcc, v31, v59, vcc
	v_add_co_u32_e32 v30, vcc, v17, v14
	v_addc_co_u32_e32 v31, vcc, v21, v15, vcc
	ds_write_b64 v0, v[30:31]
	v_mov_b32_e32 v30, v11
	v_mov_b32_e32 v31, v11
	ds_write_b64 v0, v[30:31]
.LBB2_2766:                             ;   in Loop: Header=BB2_2763 Depth=1
	s_or_b64 exec, exec, s[20:21]
	v_and_b32_e32 v17, 8, v57
	v_min_u32_e32 v10, v10, v16
	v_cmp_ne_u32_e32 vcc, 0, v17
	s_and_saveexec_b64 s[56:57], vcc
	s_cbranch_execz .LBB2_2788
; %bb.2767:                             ;   in Loop: Header=BB2_2763 Depth=1
	v_add_co_u32_e32 v30, vcc, 8, v28
	v_addc_co_u32_e32 v31, vcc, 0, v29, vcc
	s_waitcnt lgkmcnt(0)
	v_add_co_u32_e32 v36, vcc, 1, v8
	v_addc_co_u32_e32 v37, vcc, 0, v9, vcc
	v_cmp_lt_u64_e32 vcc, v[30:31], v[36:37]
	s_and_saveexec_b64 s[58:59], vcc
	s_cbranch_execz .LBB2_2779
; %bb.2768:                             ;   in Loop: Header=BB2_2763 Depth=1
	v_and_b32_e32 v9, 64, v57
	s_mov_b32 s30, 0
	v_cmp_eq_u32_e32 vcc, 0, v9
	s_mov_b64 s[60:61], 0
                                        ; implicit-def: $sgpr62_sgpr63
                                        ; implicit-def: $sgpr72_sgpr73
                                        ; implicit-def: $sgpr74_sgpr75
	s_branch .LBB2_2772
.LBB2_2769:                             ;   in Loop: Header=BB2_2772 Depth=2
	s_waitcnt vmcnt(0) lgkmcnt(0)
	v_add_co_u32_e64 v30, s[20:21], 8, v28
	v_addc_co_u32_e64 v31, s[20:21], 0, v29, s[20:21]
	v_cmp_ge_u64_e64 s[20:21], v[30:31], v[36:37]
	s_or_b64 s[88:89], s[88:89], exec
	s_orn2_b64 s[78:79], s[20:21], exec
.LBB2_2770:                             ;   in Loop: Header=BB2_2772 Depth=2
	s_or_b64 exec, exec, s[92:93]
	s_andn2_b64 s[20:21], s[74:75], exec
	s_and_b64 s[74:75], s[88:89], exec
	s_or_b64 s[74:75], s[20:21], s[74:75]
	s_andn2_b64 s[20:21], s[72:73], exec
	s_and_b64 s[72:73], s[78:79], exec
	s_or_b64 s[72:73], s[20:21], s[72:73]
.LBB2_2771:                             ;   in Loop: Header=BB2_2772 Depth=2
	s_or_b64 exec, exec, s[76:77]
	s_and_b64 s[20:21], exec, s[72:73]
	s_or_b64 s[60:61], s[20:21], s[60:61]
	s_andn2_b64 s[20:21], s[62:63], exec
	s_and_b64 s[62:63], s[74:75], exec
	s_or_b64 s[62:63], s[20:21], s[62:63]
	s_andn2_b64 exec, exec, s[60:61]
	s_cbranch_execz .LBB2_2776
.LBB2_2772:                             ;   Parent Loop BB2_2763 Depth=1
                                        ; =>  This Inner Loop Header: Depth=2
	s_sleep 1
	s_waitcnt vmcnt(0) lgkmcnt(0)
	flat_load_dwordx2 v[28:29], v[22:23] glc
	s_or_b64 s[74:75], s[74:75], exec
	s_or_b64 s[72:73], s[72:73], exec
                                        ; implicit-def: $vgpr9
	s_and_saveexec_b64 s[76:77], vcc
	s_cbranch_execz .LBB2_2771
; %bb.2773:                             ;   in Loop: Header=BB2_2772 Depth=2
	s_cmpk_lt_i32 s30, 0x270f
	s_cselect_b64 s[90:91], -1, 0
	s_cmpk_gt_i32 s30, 0x270e
	s_mov_b64 s[78:79], -1
	s_cbranch_scc0 .LBB2_2775
; %bb.2774:                             ;   in Loop: Header=BB2_2772 Depth=2
	s_trap 2
	ds_read_b64 v[30:31], v0
	s_andn2_b64 s[90:91], s[90:91], exec
	s_mov_b32 s30, 0
	s_mov_b64 s[88:89], 0
	s_waitcnt vmcnt(0) lgkmcnt(0)
	flat_load_dword v9, v[30:31] glc
	s_waitcnt vmcnt(0) lgkmcnt(0)
	buffer_wbinvl1_vol
	v_cmp_eq_u32_e64 s[20:21], 0, v9
	s_and_b64 s[20:21], s[20:21], exec
	s_or_b64 s[90:91], s[90:91], s[20:21]
	s_and_saveexec_b64 s[92:93], s[90:91]
	s_cbranch_execz .LBB2_2770
	s_branch .LBB2_2769
.LBB2_2775:                             ;   in Loop: Header=BB2_2772 Depth=2
	s_add_i32 s30, s30, 1
	s_mov_b64 s[88:89], -1
                                        ; implicit-def: $vgpr9
	s_and_saveexec_b64 s[92:93], s[90:91]
	s_cbranch_execz .LBB2_2770
	s_branch .LBB2_2769
.LBB2_2776:                             ;   in Loop: Header=BB2_2763 Depth=1
	s_or_b64 exec, exec, s[60:61]
	s_xor_b64 s[20:21], s[62:63], -1
	s_and_saveexec_b64 s[60:61], s[20:21]
	s_xor_b64 s[20:21], exec, s[60:61]
	s_cbranch_execz .LBB2_2778
; %bb.2777:                             ;   in Loop: Header=BB2_2763 Depth=1
	v_or_b32_e32 v57, 64, v57
	s_waitcnt lgkmcnt(0)
	ds_write_b32 v0, v9
	s_trap 2
.LBB2_2778:                             ;   in Loop: Header=BB2_2763 Depth=1
	s_or_b64 exec, exec, s[20:21]
.LBB2_2779:                             ;   in Loop: Header=BB2_2763 Depth=1
	s_or_b64 exec, exec, s[58:59]
	v_and_b32_e32 v9, 0x100, v57
	v_cmp_ne_u32_e32 vcc, 0, v9
	v_and_b32_e32 v17, 7, v8
	s_mov_b64 s[20:21], -1
	;;#ASMSTART
	s_wakeup
	;;#ASMEND
                                        ; implicit-def: $vgpr8_vgpr9
	s_and_saveexec_b64 s[58:59], vcc
	s_cbranch_execz .LBB2_2783
; %bb.2780:                             ;   in Loop: Header=BB2_2763 Depth=1
	v_mad_u64_u32 v[38:39], s[20:21], v17, 24, v[6:7]
	flat_load_dword v8, v[38:39]
	s_nop 0
	flat_store_dwordx2 v[38:39], v[10:11] offset:8
	s_waitcnt vmcnt(0) lgkmcnt(0)
	v_cmp_ne_u32_e32 vcc, 1, v8
	v_cmp_eq_u32_e64 s[20:21], 1, v8
                                        ; implicit-def: $vgpr8_vgpr9
	s_and_saveexec_b64 s[60:61], s[20:21]
	s_cbranch_execz .LBB2_2782
; %bb.2781:                             ;   in Loop: Header=BB2_2763 Depth=1
	flat_load_dword v8, v[38:39] offset:4 glc
	s_waitcnt vmcnt(0) lgkmcnt(0)
	v_ashrrev_i32_e32 v9, 31, v8
.LBB2_2782:                             ;   in Loop: Header=BB2_2763 Depth=1
	s_or_b64 exec, exec, s[60:61]
	s_orn2_b64 s[20:21], vcc, exec
.LBB2_2783:                             ;   in Loop: Header=BB2_2763 Depth=1
	s_or_b64 exec, exec, s[58:59]
	s_and_saveexec_b64 s[58:59], s[20:21]
; %bb.2784:                             ;   in Loop: Header=BB2_2763 Depth=1
	v_mad_i64_i32 v[8:9], s[20:21], v17, v47, 0
; %bb.2785:                             ;   in Loop: Header=BB2_2763 Depth=1
	s_or_b64 exec, exec, s[58:59]
	buffer_load_dword v24, off, s[0:3], s33 offset:60 ; 4-byte Folded Reload
	buffer_load_dword v25, off, s[0:3], s33 offset:64 ; 4-byte Folded Reload
	s_waitcnt vmcnt(0)
	v_add_co_u32_e32 v8, vcc, v24, v8
	v_addc_co_u32_e32 v9, vcc, v25, v9, vcc
	ds_write_b64 v0, v[8:9] offset:784
	v_and_b32_e32 v8, 0x2000, v57
	v_cmp_ne_u32_e32 vcc, 0, v8
	s_and_saveexec_b64 s[20:21], vcc
	s_cbranch_execz .LBB2_2787
; %bb.2786:                             ;   in Loop: Header=BB2_2763 Depth=1
	ds_read_b64 v[8:9], v0 offset:872
	s_waitcnt lgkmcnt(0)
	v_add_co_u32_e32 v8, vcc, 1, v8
	v_addc_co_u32_e32 v9, vcc, 0, v9, vcc
	ds_write_b64 v0, v[8:9] offset:872
.LBB2_2787:                             ;   in Loop: Header=BB2_2763 Depth=1
	s_or_b64 exec, exec, s[20:21]
	v_mov_b32_e32 v8, v36
	v_mov_b32_e32 v9, v37
.LBB2_2788:                             ;   in Loop: Header=BB2_2763 Depth=1
	s_or_b64 exec, exec, s[56:57]
	s_and_saveexec_b64 s[20:21], s[10:11]
	s_cbranch_execz .LBB2_2807
; %bb.2789:                             ;   in Loop: Header=BB2_2763 Depth=1
	s_and_saveexec_b64 s[56:57], s[28:29]
	s_xor_b64 s[56:57], exec, s[56:57]
	s_cbranch_execz .LBB2_2804
; %bb.2790:                             ;   in Loop: Header=BB2_2763 Depth=1
	s_and_saveexec_b64 s[58:59], s[12:13]
	s_cbranch_execz .LBB2_2803
; %bb.2791:                             ;   in Loop: Header=BB2_2763 Depth=1
	s_mov_b64 s[62:63], exec
	v_mbcnt_lo_u32_b32 v17, s62, 0
	v_mbcnt_hi_u32_b32 v17, s63, v17
	v_cmp_eq_u32_e32 vcc, 0, v17
	s_waitcnt vmcnt(0) lgkmcnt(0)
	buffer_wbinvl1_vol
	s_and_saveexec_b64 s[60:61], vcc
	s_cbranch_execz .LBB2_2793
; %bb.2792:                             ;   in Loop: Header=BB2_2763 Depth=1
	s_bcnt1_i32_b64 s62, s[62:63]
	v_mov_b32_e32 v30, s62
	v_mov_b32_e32 v31, v11
	ds_add_u64 v0, v[30:31]
	s_trap 2
.LBB2_2793:                             ;   in Loop: Header=BB2_2763 Depth=1
	s_or_b64 exec, exec, s[60:61]
	s_trap 2
	ds_read_b64 v[30:31], v0
	s_waitcnt lgkmcnt(0)
	v_add_co_u32_e32 v26, vcc, v26, v0
	v_addc_co_u32_e32 v27, vcc, 0, v27, vcc
	v_cmp_lt_u64_e32 vcc, v[30:31], v[26:27]
	s_and_saveexec_b64 s[60:61], vcc
	s_cbranch_execz .LBB2_2802
; %bb.2794:                             ;   in Loop: Header=BB2_2763 Depth=1
	s_mov_b32 s90, 0
	s_mov_b64 s[62:63], 0
                                        ; implicit-def: $sgpr72_sgpr73
                                        ; implicit-def: $sgpr74_sgpr75
	s_branch .LBB2_2796
.LBB2_2795:                             ;   in Loop: Header=BB2_2796 Depth=2
	s_or_b64 exec, exec, s[78:79]
	s_and_b64 s[76:77], exec, s[88:89]
	s_or_b64 s[62:63], s[76:77], s[62:63]
	s_andn2_b64 s[72:73], s[72:73], exec
	s_and_b64 s[76:77], s[74:75], exec
	s_or_b64 s[72:73], s[72:73], s[76:77]
	s_andn2_b64 exec, exec, s[62:63]
	s_cbranch_execz .LBB2_2800
.LBB2_2796:                             ;   Parent Loop BB2_2763 Depth=1
                                        ; =>  This Inner Loop Header: Depth=2
	s_add_i32 s90, s90, 1
	s_cmpk_lg_i32 s90, 0x2710
	s_cselect_b64 s[76:77], -1, 0
	s_and_b64 vcc, exec, s[76:77]
	s_cbranch_vccz .LBB2_2798
; %bb.2797:                             ;   in Loop: Header=BB2_2796 Depth=2
	s_mov_b64 s[88:89], -1
	s_or_b64 s[74:75], s[74:75], exec
	s_and_saveexec_b64 s[78:79], s[76:77]
	s_cbranch_execz .LBB2_2795
	s_branch .LBB2_2799
.LBB2_2798:                             ;   in Loop: Header=BB2_2796 Depth=2
	s_trap 2
	ds_read_b64 v[30:31], v0
	s_andn2_b64 s[76:77], s[76:77], exec
	s_mov_b32 s90, 0
	s_waitcnt lgkmcnt(0)
	flat_load_dword v17, v[30:31] glc
	s_waitcnt vmcnt(0) lgkmcnt(0)
	buffer_wbinvl1_vol
	v_cmp_eq_u32_e32 vcc, 0, v17
	s_and_b64 s[78:79], vcc, exec
	s_or_b64 s[76:77], s[76:77], s[78:79]
	s_mov_b64 s[88:89], -1
	s_or_b64 s[74:75], s[74:75], exec
	s_and_saveexec_b64 s[78:79], s[76:77]
	s_cbranch_execz .LBB2_2795
.LBB2_2799:                             ;   in Loop: Header=BB2_2796 Depth=2
	s_sleep 1
	s_trap 2
	ds_read_b64 v[30:31], v0
	s_waitcnt lgkmcnt(0)
	s_andn2_b64 s[74:75], s[74:75], exec
	v_cmp_ge_u64_e32 vcc, v[30:31], v[26:27]
	s_orn2_b64 s[88:89], vcc, exec
	s_branch .LBB2_2795
.LBB2_2800:                             ;   in Loop: Header=BB2_2763 Depth=1
	s_or_b64 exec, exec, s[62:63]
	s_and_saveexec_b64 s[62:63], s[72:73]
	s_xor_b64 s[62:63], exec, s[62:63]
	s_cbranch_execz .LBB2_2802
; %bb.2801:                             ;   in Loop: Header=BB2_2763 Depth=1
	ds_write_b32 v0, v20
	s_trap 2
.LBB2_2802:                             ;   in Loop: Header=BB2_2763 Depth=1
	s_or_b64 exec, exec, s[60:61]
	;;#ASMSTART
	s_wakeup
	;;#ASMEND
.LBB2_2803:                             ;   in Loop: Header=BB2_2763 Depth=1
	s_or_b64 exec, exec, s[58:59]
.LBB2_2804:                             ;   in Loop: Header=BB2_2763 Depth=1
	s_andn2_saveexec_b64 s[56:57], s[56:57]
	s_cbranch_execz .LBB2_2806
; %bb.2805:                             ;   in Loop: Header=BB2_2763 Depth=1
	s_waitcnt vmcnt(0) lgkmcnt(0)
	buffer_wbinvl1_vol
	s_barrier
.LBB2_2806:                             ;   in Loop: Header=BB2_2763 Depth=1
	s_or_b64 exec, exec, s[56:57]
.LBB2_2807:                             ;   in Loop: Header=BB2_2763 Depth=1
	s_or_b64 exec, exec, s[20:21]
	s_trap 2
	ds_read_b32 v17, v0
	v_and_b32_e32 v21, 0x4000, v57
	v_cmp_ne_u32_e32 vcc, 0, v21
	s_and_b64 s[56:57], s[42:43], vcc
	s_and_saveexec_b64 s[20:21], s[56:57]
	s_cbranch_execz .LBB2_2826
; %bb.2808:                             ;   in Loop: Header=BB2_2763 Depth=1
	s_and_saveexec_b64 s[56:57], s[28:29]
	s_xor_b64 s[56:57], exec, s[56:57]
	s_cbranch_execz .LBB2_2823
; %bb.2809:                             ;   in Loop: Header=BB2_2763 Depth=1
	s_and_saveexec_b64 s[58:59], s[12:13]
	s_cbranch_execz .LBB2_2822
; %bb.2810:                             ;   in Loop: Header=BB2_2763 Depth=1
	s_mov_b64 s[62:63], exec
	v_mbcnt_lo_u32_b32 v21, s62, 0
	v_mbcnt_hi_u32_b32 v21, s63, v21
	v_cmp_eq_u32_e32 vcc, 0, v21
	s_waitcnt vmcnt(0) lgkmcnt(0)
	buffer_wbinvl1_vol
	s_and_saveexec_b64 s[60:61], vcc
	s_cbranch_execz .LBB2_2812
; %bb.2811:                             ;   in Loop: Header=BB2_2763 Depth=1
	s_bcnt1_i32_b64 s62, s[62:63]
	v_mov_b32_e32 v30, s62
	v_mov_b32_e32 v31, v11
	ds_add_u64 v0, v[30:31]
	s_trap 2
.LBB2_2812:                             ;   in Loop: Header=BB2_2763 Depth=1
	s_or_b64 exec, exec, s[60:61]
	s_trap 2
	ds_read_b64 v[30:31], v0
	s_waitcnt lgkmcnt(0)
	v_add_co_u32_e32 v26, vcc, v26, v0
	v_addc_co_u32_e32 v27, vcc, 0, v27, vcc
	v_cmp_lt_u64_e32 vcc, v[30:31], v[26:27]
	s_and_saveexec_b64 s[60:61], vcc
	s_cbranch_execz .LBB2_2821
; %bb.2813:                             ;   in Loop: Header=BB2_2763 Depth=1
	s_mov_b32 s90, 0
	s_mov_b64 s[62:63], 0
                                        ; implicit-def: $sgpr72_sgpr73
                                        ; implicit-def: $sgpr74_sgpr75
	s_branch .LBB2_2815
.LBB2_2814:                             ;   in Loop: Header=BB2_2815 Depth=2
	s_or_b64 exec, exec, s[78:79]
	s_and_b64 s[76:77], exec, s[88:89]
	s_or_b64 s[62:63], s[76:77], s[62:63]
	s_andn2_b64 s[72:73], s[72:73], exec
	s_and_b64 s[76:77], s[74:75], exec
	s_or_b64 s[72:73], s[72:73], s[76:77]
	s_andn2_b64 exec, exec, s[62:63]
	s_cbranch_execz .LBB2_2819
.LBB2_2815:                             ;   Parent Loop BB2_2763 Depth=1
                                        ; =>  This Inner Loop Header: Depth=2
	s_add_i32 s90, s90, 1
	s_cmpk_lg_i32 s90, 0x2710
	s_cselect_b64 s[76:77], -1, 0
	s_and_b64 vcc, exec, s[76:77]
	s_cbranch_vccz .LBB2_2817
; %bb.2816:                             ;   in Loop: Header=BB2_2815 Depth=2
	s_mov_b64 s[88:89], -1
	s_or_b64 s[74:75], s[74:75], exec
	s_and_saveexec_b64 s[78:79], s[76:77]
	s_cbranch_execz .LBB2_2814
	s_branch .LBB2_2818
.LBB2_2817:                             ;   in Loop: Header=BB2_2815 Depth=2
	s_trap 2
	ds_read_b64 v[30:31], v0
	s_andn2_b64 s[76:77], s[76:77], exec
	s_mov_b32 s90, 0
	s_waitcnt lgkmcnt(0)
	flat_load_dword v21, v[30:31] glc
	s_waitcnt vmcnt(0) lgkmcnt(0)
	buffer_wbinvl1_vol
	v_cmp_eq_u32_e32 vcc, 0, v21
	s_and_b64 s[78:79], vcc, exec
	s_or_b64 s[76:77], s[76:77], s[78:79]
	s_mov_b64 s[88:89], -1
	s_or_b64 s[74:75], s[74:75], exec
	s_and_saveexec_b64 s[78:79], s[76:77]
	s_cbranch_execz .LBB2_2814
.LBB2_2818:                             ;   in Loop: Header=BB2_2815 Depth=2
	s_sleep 1
	s_trap 2
	ds_read_b64 v[30:31], v0
	s_waitcnt lgkmcnt(0)
	s_andn2_b64 s[74:75], s[74:75], exec
	v_cmp_ge_u64_e32 vcc, v[30:31], v[26:27]
	s_orn2_b64 s[88:89], vcc, exec
	s_branch .LBB2_2814
.LBB2_2819:                             ;   in Loop: Header=BB2_2763 Depth=1
	s_or_b64 exec, exec, s[62:63]
	s_and_saveexec_b64 s[62:63], s[72:73]
	s_xor_b64 s[62:63], exec, s[62:63]
	s_cbranch_execz .LBB2_2821
; %bb.2820:                             ;   in Loop: Header=BB2_2763 Depth=1
	ds_write_b32 v0, v20
	s_trap 2
.LBB2_2821:                             ;   in Loop: Header=BB2_2763 Depth=1
	s_or_b64 exec, exec, s[60:61]
	;;#ASMSTART
	s_wakeup
	;;#ASMEND
.LBB2_2822:                             ;   in Loop: Header=BB2_2763 Depth=1
	s_or_b64 exec, exec, s[58:59]
.LBB2_2823:                             ;   in Loop: Header=BB2_2763 Depth=1
	s_andn2_saveexec_b64 s[56:57], s[56:57]
	s_cbranch_execz .LBB2_2825
; %bb.2824:                             ;   in Loop: Header=BB2_2763 Depth=1
	s_waitcnt vmcnt(0) lgkmcnt(0)
	buffer_wbinvl1_vol
	s_barrier
.LBB2_2825:                             ;   in Loop: Header=BB2_2763 Depth=1
	s_or_b64 exec, exec, s[56:57]
.LBB2_2826:                             ;   in Loop: Header=BB2_2763 Depth=1
	s_or_b64 exec, exec, s[20:21]
	s_trap 2
	ds_read_b64 v[36:37], v0
	s_waitcnt lgkmcnt(0)
	v_cmp_eq_u64_e32 vcc, 0, v[36:37]
	s_cbranch_vccnz .LBB2_2834
; %bb.2827:                             ;   in Loop: Header=BB2_2763 Depth=1
	s_trap 2
	ds_read_b64 v[38:39], v0
	s_waitcnt lgkmcnt(0)
	v_cmp_eq_u64_e32 vcc, 0, v[38:39]
	s_cbranch_vccnz .LBB2_2834
; %bb.2828:                             ;   in Loop: Header=BB2_2763 Depth=1
	s_mov_b64 s[20:21], -1
	s_and_saveexec_b64 s[56:57], s[14:15]
	s_cbranch_execz .LBB2_2830
; %bb.2829:                             ;   in Loop: Header=BB2_2763 Depth=1
	ds_read_b32 v21, v0 offset:720
	s_waitcnt lgkmcnt(0)
	v_and_b32_e32 v21, 15, v21
	v_cmp_eq_u32_e32 vcc, 0, v21
	s_orn2_b64 s[20:21], vcc, exec
.LBB2_2830:                             ;   in Loop: Header=BB2_2763 Depth=1
	s_or_b64 exec, exec, s[56:57]
	s_and_saveexec_b64 s[56:57], s[16:17]
	s_cbranch_execz .LBB2_2832
; %bb.2831:                             ;   in Loop: Header=BB2_2763 Depth=1
	ds_read_b32 v21, v0 offset:784
	s_waitcnt lgkmcnt(0)
	v_and_b32_e32 v21, 15, v21
	v_cmp_eq_u32_e32 vcc, 0, v21
	s_and_b64 s[58:59], s[20:21], vcc
	s_andn2_b64 s[20:21], s[20:21], exec
	s_and_b64 s[58:59], s[58:59], exec
	s_or_b64 s[20:21], s[20:21], s[58:59]
.LBB2_2832:                             ;   in Loop: Header=BB2_2763 Depth=1
	s_or_b64 exec, exec, s[56:57]
	v_cmp_eq_u32_e32 vcc, 0, v17
	s_xor_b64 s[20:21], s[20:21], -1
	v_cndmask_b32_e32 v17, 0, v10, vcc
	v_cndmask_b32_e64 v21, 0, 1, s[20:21]
	s_mov_b64 s[58:59], -1
	v_cmp_ne_u32_e32 vcc, 0, v21
	v_mov_b32_e32 v21, 0
	v_mov_b32_e32 v30, v17
	;; [unrolled: 1-line block ×4, first 2 shown]
	s_cbranch_vccz .LBB2_2835
; %bb.2833:                             ;   in Loop: Header=BB2_2763 Depth=1
	s_and_saveexec_b64 s[20:21], s[58:59]
	s_cbranch_execnz .LBB2_2848
	s_branch .LBB2_2856
.LBB2_2834:                             ;   in Loop: Header=BB2_2763 Depth=1
	s_mov_b64 s[20:21], 0
	s_and_saveexec_b64 s[56:57], s[10:11]
	s_cbranch_execnz .LBB2_2857
	s_branch .LBB2_2875
.LBB2_2835:                             ;   in Loop: Header=BB2_2763 Depth=1
	v_lshrrev_b32_e32 v21, 11, v17
	v_sub_u32_e32 v34, v21, v2
	v_cmp_lt_i32_e32 vcc, 0, v34
	s_and_saveexec_b64 s[20:21], vcc
	s_cbranch_execz .LBB2_2839
; %bb.2836:                             ;   in Loop: Header=BB2_2763 Depth=1
	v_mov_b32_e32 v49, v13
	s_mov_b64 s[56:57], 0
	v_mov_b32_e32 v48, v12
.LBB2_2837:                             ;   Parent Loop BB2_2763 Depth=1
                                        ; =>  This Inner Loop Header: Depth=2
	v_add_co_u32_e32 v30, vcc, v36, v48
	v_addc_co_u32_e32 v31, vcc, v37, v49, vcc
	global_load_dwordx4 v[50:53], v[30:31], off glc slc
	global_load_dwordx4 v[40:43], v[30:31], off offset:1024 glc slc
	v_add_co_u32_e32 v30, vcc, v38, v48
	v_addc_co_u32_e32 v31, vcc, v39, v49, vcc
	v_lshlrev_b32_e32 v21, 11, v0
	v_add_co_u32_e32 v48, vcc, v48, v21
	v_sub_u32_e32 v34, v34, v0
	v_addc_co_u32_e32 v49, vcc, 0, v49, vcc
	v_cmp_gt_i32_e32 vcc, 1, v34
	s_or_b64 s[56:57], vcc, s[56:57]
	s_waitcnt vmcnt(0)
	global_store_dwordx4 v[30:31], v[50:53], off glc slc
	s_waitcnt vmcnt(1)
	global_store_dwordx4 v[30:31], v[40:43], off offset:1024 glc slc
	s_andn2_b64 exec, exec, s[56:57]
	s_cbranch_execnz .LBB2_2837
; %bb.2838:                             ;   in Loop: Header=BB2_2763 Depth=1
	s_or_b64 exec, exec, s[56:57]
.LBB2_2839:                             ;   in Loop: Header=BB2_2763 Depth=1
	s_or_b64 exec, exec, s[20:21]
	v_and_b32_e32 v49, 0x3ffff800, v17
	v_cmp_ne_u32_e32 vcc, v17, v49
	s_mov_b64 s[58:59], 0
	v_mov_b32_e32 v21, 0
                                        ; implicit-def: $vgpr30
                                        ; implicit-def: $vgpr31
                                        ; implicit-def: $vgpr48
	s_and_saveexec_b64 s[56:57], vcc
	s_cbranch_execz .LBB2_2847
; %bb.2840:                             ;   in Loop: Header=BB2_2763 Depth=1
	v_lshlrev_b32_e32 v24, 6, v34
	v_sub_u32_e32 v24, v1, v24
	v_ashrrev_i32_e32 v25, 31, v24
	v_lshrrev_b32_e32 v25, 26, v25
	v_add_u32_e32 v25, v24, v25
	v_ashrrev_i32_e32 v35, 6, v25
	v_and_b32_e32 v25, 0xffffffc0, v25
	v_sub_u32_e32 v34, v24, v25
	v_lshlrev_b32_e32 v24, 4, v34
	v_and_b32_e32 v21, 0x7ff, v17
	v_lshl_add_u32 v31, v35, 10, v24
	v_sub_u32_e32 v30, v21, v31
	v_and_b32_e32 v21, 0x3ff, v17
	v_bfe_u32 v24, v17, 10, 1
	v_cmp_lt_u32_e32 vcc, 15, v21
	v_addc_co_u32_e64 v24, s[20:21], 0, v24, vcc
	v_sub_u32_e32 v35, v24, v35
	v_cmp_lt_i32_e64 s[20:21], 15, v30
	s_and_saveexec_b64 s[58:59], s[20:21]
	s_cbranch_execz .LBB2_2844
; %bb.2841:                             ;   in Loop: Header=BB2_2763 Depth=1
	v_add_u32_e32 v31, v31, v49
	v_ashrrev_i32_e32 v48, 31, v31
	s_mov_b64 s[60:61], 0
.LBB2_2842:                             ;   Parent Loop BB2_2763 Depth=1
                                        ; =>  This Inner Loop Header: Depth=2
	v_add_co_u32_e64 v49, s[20:21], v36, v31
	v_addc_co_u32_e64 v50, s[20:21], v37, v48, s[20:21]
	global_load_dwordx4 v[49:52], v[49:50], off glc slc
	v_add_co_u32_e64 v53, s[20:21], v38, v31
	v_addc_co_u32_e64 v54, s[20:21], v39, v48, s[20:21]
	v_add_co_u32_e64 v31, s[20:21], v31, v3
	v_sub_u32_e32 v30, v30, v3
	v_addc_co_u32_e64 v48, s[20:21], 0, v48, s[20:21]
	v_cmp_gt_i32_e64 s[20:21], 16, v30
	v_sub_u32_e32 v35, v35, v0
	s_or_b64 s[60:61], s[20:21], s[60:61]
	s_waitcnt vmcnt(0)
	global_store_dwordx4 v[53:54], v[49:52], off glc slc
	s_andn2_b64 exec, exec, s[60:61]
	s_cbranch_execnz .LBB2_2842
; %bb.2843:                             ;   in Loop: Header=BB2_2763 Depth=1
	s_or_b64 exec, exec, s[60:61]
.LBB2_2844:                             ;   in Loop: Header=BB2_2763 Depth=1
	s_or_b64 exec, exec, s[58:59]
	v_and_b32_e32 v24, 15, v17
	v_cndmask_b32_e32 v30, v21, v24, vcc
	v_mov_b32_e32 v21, 0
	v_cmp_ne_u32_e64 s[20:21], 0, v30
	s_mov_b64 s[58:59], 0
                                        ; implicit-def: $vgpr31
                                        ; implicit-def: $vgpr48
	s_and_saveexec_b64 s[60:61], s[20:21]
	s_cbranch_execz .LBB2_2846
; %bb.2845:                             ;   in Loop: Header=BB2_2763 Depth=1
	v_and_b32_e32 v21, 0x3f0, v17
	v_cndmask_b32_e32 v21, 0, v21, vcc
	v_cmp_lt_i32_e32 vcc, 0, v35
	v_cndmask_b32_e32 v24, 0, v0, vcc
	v_sub_u32_e32 v24, v24, v35
	v_lshl_add_u32 v31, v24, 6, v34
	v_ashrrev_i32_e32 v24, 31, v31
	v_lshrrev_b32_e32 v24, 26, v24
	v_add_u32_e32 v24, v31, v24
	s_mov_b64 s[58:59], exec
	v_and_or_b32 v21, v17, s95, v21
	v_ashrrev_i32_e32 v48, 6, v24
.LBB2_2846:                             ;   in Loop: Header=BB2_2763 Depth=1
	s_or_b64 exec, exec, s[60:61]
	s_and_b64 s[58:59], s[58:59], exec
.LBB2_2847:                             ;   in Loop: Header=BB2_2763 Depth=1
	s_or_b64 exec, exec, s[56:57]
	s_and_saveexec_b64 s[20:21], s[58:59]
	s_cbranch_execz .LBB2_2856
.LBB2_2848:                             ;   in Loop: Header=BB2_2763 Depth=1
	v_lshrrev_b32_e32 v24, 9, v30
	v_sub_u32_e32 v34, v24, v48
	v_ashrrev_i32_e32 v24, 31, v31
	v_cmp_lt_i32_e32 vcc, 0, v34
	v_lshrrev_b32_e32 v35, 26, v24
	s_and_saveexec_b64 s[56:57], vcc
	s_cbranch_execz .LBB2_2852
; %bb.2849:                             ;   in Loop: Header=BB2_2763 Depth=1
	v_add_u32_e32 v24, v31, v35
	v_and_b32_e32 v24, 0xffffffc0, v24
	v_sub_u32_e32 v24, v31, v24
	v_lshlrev_b32_e32 v25, 9, v48
	v_add3_u32 v48, v21, v24, v25
	v_mov_b32_e32 v42, v55
	v_ashrrev_i32_e32 v49, 31, v48
	s_mov_b64 s[58:59], 0
.LBB2_2850:                             ;   Parent Loop BB2_2763 Depth=1
                                        ; =>  This Inner Loop Header: Depth=2
	v_add_co_u32_e32 v50, vcc, v48, v36
	v_addc_co_u32_e32 v51, vcc, v49, v37, vcc
	flat_load_ubyte v24, v[50:51] glc slc
	flat_load_ubyte v25, v[50:51] offset:64 glc slc
	flat_load_ubyte v52, v[50:51] offset:128 glc slc
	;; [unrolled: 1-line block ×7, first 2 shown]
	v_add_co_u32_e32 v50, vcc, v48, v38
	v_addc_co_u32_e32 v51, vcc, v49, v39, vcc
	v_add_co_u32_e32 v36, vcc, v36, v18
	v_addc_co_u32_e32 v37, vcc, 0, v37, vcc
	v_add_co_u32_e32 v38, vcc, v38, v18
	v_sub_u32_e32 v34, v34, v0
	v_addc_co_u32_e32 v39, vcc, 0, v39, vcc
	v_cmp_gt_i32_e32 vcc, 1, v34
	s_or_b64 s[58:59], vcc, s[58:59]
	s_waitcnt vmcnt(0) lgkmcnt(0)
	flat_store_byte v[50:51], v24 glc slc
	flat_store_byte v[50:51], v25 offset:64 glc slc
	flat_store_byte v[50:51], v52 offset:128 glc slc
	;; [unrolled: 1-line block ×7, first 2 shown]
	s_andn2_b64 exec, exec, s[58:59]
	s_cbranch_execnz .LBB2_2850
; %bb.2851:                             ;   in Loop: Header=BB2_2763 Depth=1
	s_or_b64 exec, exec, s[58:59]
	v_mov_b32_e32 v55, v42
.LBB2_2852:                             ;   in Loop: Header=BB2_2763 Depth=1
	s_or_b64 exec, exec, s[56:57]
	v_and_b32_e32 v38, 0xfffffe00, v30
	v_cmp_ne_u32_e32 vcc, v30, v38
	s_and_b64 exec, exec, vcc
	s_cbranch_execz .LBB2_2856
; %bb.2853:                             ;   in Loop: Header=BB2_2763 Depth=1
	v_add_u32_e32 v24, v31, v35
	v_and_b32_e32 v24, 0xffffffc0, v24
	v_sub_u32_e32 v24, v31, v24
	v_lshlrev_b32_e32 v25, 6, v34
	v_sub_u32_e32 v31, v24, v25
	v_and_b32_e32 v24, 0x1ff, v30
	v_sub_u32_e32 v30, v24, v31
	v_cmp_lt_i32_e32 vcc, 0, v30
	s_and_b64 exec, exec, vcc
	s_cbranch_execz .LBB2_2856
; %bb.2854:                             ;   in Loop: Header=BB2_2763 Depth=1
	s_trap 2
	ds_read_b64 v[36:37], v0
	v_add3_u32 v21, v38, v21, v31
	v_ashrrev_i32_e32 v31, 31, v21
	s_mov_b64 s[56:57], 0
.LBB2_2855:                             ;   Parent Loop BB2_2763 Depth=1
                                        ; =>  This Inner Loop Header: Depth=2
	s_waitcnt lgkmcnt(0)
	v_add_co_u32_e32 v34, vcc, v36, v21
	v_addc_co_u32_e32 v35, vcc, v37, v31, vcc
	flat_load_ubyte v24, v[34:35] glc slc
	v_add_co_u32_e32 v21, vcc, v21, v19
	v_sub_u32_e32 v30, v30, v19
	v_addc_co_u32_e32 v31, vcc, 0, v31, vcc
	v_cmp_gt_i32_e32 vcc, 1, v30
	s_or_b64 s[56:57], vcc, s[56:57]
	s_waitcnt vmcnt(0) lgkmcnt(0)
	flat_store_byte v[34:35], v24 glc slc
	s_andn2_b64 exec, exec, s[56:57]
	s_cbranch_execnz .LBB2_2855
.LBB2_2856:                             ;   in Loop: Header=BB2_2763 Depth=1
	s_or_b64 exec, exec, s[20:21]
	v_cmp_ne_u32_e64 s[20:21], 0, v17
	s_and_saveexec_b64 s[56:57], s[10:11]
	s_cbranch_execz .LBB2_2875
.LBB2_2857:                             ;   in Loop: Header=BB2_2763 Depth=1
	s_and_saveexec_b64 s[58:59], s[28:29]
	s_xor_b64 s[58:59], exec, s[58:59]
	s_cbranch_execz .LBB2_2872
; %bb.2858:                             ;   in Loop: Header=BB2_2763 Depth=1
	s_and_saveexec_b64 s[60:61], s[12:13]
	s_cbranch_execz .LBB2_2871
; %bb.2859:                             ;   in Loop: Header=BB2_2763 Depth=1
	s_mov_b64 s[72:73], exec
	v_mbcnt_lo_u32_b32 v17, s72, 0
	v_mbcnt_hi_u32_b32 v17, s73, v17
	v_cmp_eq_u32_e32 vcc, 0, v17
	s_waitcnt vmcnt(0) lgkmcnt(0)
	buffer_wbinvl1_vol
	s_and_saveexec_b64 s[62:63], vcc
	s_cbranch_execz .LBB2_2861
; %bb.2860:                             ;   in Loop: Header=BB2_2763 Depth=1
	s_bcnt1_i32_b64 s72, s[72:73]
	v_mov_b32_e32 v30, s72
	v_mov_b32_e32 v31, v11
	ds_add_u64 v0, v[30:31]
	s_trap 2
.LBB2_2861:                             ;   in Loop: Header=BB2_2763 Depth=1
	s_or_b64 exec, exec, s[62:63]
	s_trap 2
	ds_read_b64 v[30:31], v0
	s_waitcnt lgkmcnt(0)
	v_add_co_u32_e32 v26, vcc, v26, v0
	v_addc_co_u32_e32 v27, vcc, 0, v27, vcc
	v_cmp_lt_u64_e32 vcc, v[30:31], v[26:27]
	s_and_saveexec_b64 s[62:63], vcc
	s_cbranch_execz .LBB2_2870
; %bb.2862:                             ;   in Loop: Header=BB2_2763 Depth=1
	s_mov_b32 s92, 0
	s_mov_b64 s[72:73], 0
                                        ; implicit-def: $sgpr74_sgpr75
                                        ; implicit-def: $sgpr76_sgpr77
	s_branch .LBB2_2864
.LBB2_2863:                             ;   in Loop: Header=BB2_2864 Depth=2
	s_or_b64 exec, exec, s[88:89]
	s_and_b64 s[78:79], exec, s[90:91]
	s_or_b64 s[72:73], s[78:79], s[72:73]
	s_andn2_b64 s[74:75], s[74:75], exec
	s_and_b64 s[78:79], s[76:77], exec
	s_or_b64 s[74:75], s[74:75], s[78:79]
	s_andn2_b64 exec, exec, s[72:73]
	s_cbranch_execz .LBB2_2868
.LBB2_2864:                             ;   Parent Loop BB2_2763 Depth=1
                                        ; =>  This Inner Loop Header: Depth=2
	s_add_i32 s92, s92, 1
	s_cmpk_lg_i32 s92, 0x2710
	s_cselect_b64 s[78:79], -1, 0
	s_and_b64 vcc, exec, s[78:79]
	s_cbranch_vccz .LBB2_2866
; %bb.2865:                             ;   in Loop: Header=BB2_2864 Depth=2
	s_mov_b64 s[90:91], -1
	s_or_b64 s[76:77], s[76:77], exec
	s_and_saveexec_b64 s[88:89], s[78:79]
	s_cbranch_execz .LBB2_2863
	s_branch .LBB2_2867
.LBB2_2866:                             ;   in Loop: Header=BB2_2864 Depth=2
	s_trap 2
	ds_read_b64 v[30:31], v0
	s_andn2_b64 s[78:79], s[78:79], exec
	s_mov_b32 s92, 0
	s_waitcnt lgkmcnt(0)
	flat_load_dword v17, v[30:31] glc
	s_waitcnt vmcnt(0) lgkmcnt(0)
	buffer_wbinvl1_vol
	v_cmp_eq_u32_e32 vcc, 0, v17
	s_and_b64 s[88:89], vcc, exec
	s_or_b64 s[78:79], s[78:79], s[88:89]
	s_mov_b64 s[90:91], -1
	s_or_b64 s[76:77], s[76:77], exec
	s_and_saveexec_b64 s[88:89], s[78:79]
	s_cbranch_execz .LBB2_2863
.LBB2_2867:                             ;   in Loop: Header=BB2_2864 Depth=2
	s_sleep 1
	s_trap 2
	ds_read_b64 v[30:31], v0
	s_waitcnt lgkmcnt(0)
	s_andn2_b64 s[76:77], s[76:77], exec
	v_cmp_ge_u64_e32 vcc, v[30:31], v[26:27]
	s_orn2_b64 s[90:91], vcc, exec
	s_branch .LBB2_2863
.LBB2_2868:                             ;   in Loop: Header=BB2_2763 Depth=1
	s_or_b64 exec, exec, s[72:73]
	s_and_saveexec_b64 s[72:73], s[74:75]
	s_xor_b64 s[72:73], exec, s[72:73]
	s_cbranch_execz .LBB2_2870
; %bb.2869:                             ;   in Loop: Header=BB2_2763 Depth=1
	ds_write_b32 v0, v20
	s_trap 2
.LBB2_2870:                             ;   in Loop: Header=BB2_2763 Depth=1
	s_or_b64 exec, exec, s[62:63]
	;;#ASMSTART
	s_wakeup
	;;#ASMEND
.LBB2_2871:                             ;   in Loop: Header=BB2_2763 Depth=1
	s_or_b64 exec, exec, s[60:61]
.LBB2_2872:                             ;   in Loop: Header=BB2_2763 Depth=1
	s_andn2_saveexec_b64 s[58:59], s[58:59]
	s_cbranch_execz .LBB2_2874
; %bb.2873:                             ;   in Loop: Header=BB2_2763 Depth=1
	s_waitcnt vmcnt(0) lgkmcnt(0)
	buffer_wbinvl1_vol
	s_barrier
.LBB2_2874:                             ;   in Loop: Header=BB2_2763 Depth=1
	s_or_b64 exec, exec, s[58:59]
.LBB2_2875:                             ;   in Loop: Header=BB2_2763 Depth=1
	s_or_b64 exec, exec, s[56:57]
	v_and_b32_e32 v17, 16, v57
	v_cmp_ne_u32_e32 vcc, 0, v17
	s_and_b64 s[56:57], vcc, s[20:21]
	s_and_saveexec_b64 s[20:21], s[56:57]
	s_cbranch_execz .LBB2_2877
; %bb.2876:                             ;   in Loop: Header=BB2_2763 Depth=1
	s_waitcnt vmcnt(0) lgkmcnt(0)
	buffer_wbinvl1_vol
.LBB2_2877:                             ;   in Loop: Header=BB2_2763 Depth=1
	s_or_b64 exec, exec, s[20:21]
	v_cmp_ne_u32_e32 vcc, 0, v17
	s_and_saveexec_b64 s[20:21], vcc
	s_cbranch_execz .LBB2_2881
; %bb.2878:                             ;   in Loop: Header=BB2_2763 Depth=1
	s_and_saveexec_b64 s[56:57], s[18:19]
	s_cbranch_execz .LBB2_2880
; %bb.2879:                             ;   in Loop: Header=BB2_2763 Depth=1
	buffer_load_dword v24, off, s[0:3], s33 offset:72 ; 4-byte Folded Reload
	buffer_load_dword v25, off, s[0:3], s33 offset:76 ; 4-byte Folded Reload
	s_waitcnt vmcnt(0)
	flat_store_dword v[24:25], v20
.LBB2_2880:                             ;   in Loop: Header=BB2_2763 Depth=1
	s_or_b64 exec, exec, s[56:57]
	v_add_co_u32_e32 v8, vcc, 1, v8
	v_addc_co_u32_e32 v9, vcc, 0, v9, vcc
	flat_store_dwordx2 v[22:23], v[8:9]
.LBB2_2881:                             ;   in Loop: Header=BB2_2763 Depth=1
	s_or_b64 exec, exec, s[20:21]
	v_mov_b32_e32 v17, v10
.LBB2_2882:                             ;   in Loop: Header=BB2_2763 Depth=1
	s_or_b64 exec, exec, s[46:47]
	s_and_saveexec_b64 s[46:47], s[44:45]
	s_cbranch_execz .LBB2_2762
; %bb.2883:                             ;   in Loop: Header=BB2_2763 Depth=1
	v_sub_u32_e32 v16, v16, v17
	v_min_i32_e32 v16, v10, v16
	v_and_b32_e32 v10, 8, v57
	v_cmp_ne_u32_e32 vcc, 0, v10
	s_and_saveexec_b64 s[44:45], vcc
	s_cbranch_execz .LBB2_2905
; %bb.2884:                             ;   in Loop: Header=BB2_2763 Depth=1
	v_add_co_u32_e32 v30, vcc, 8, v28
	v_addc_co_u32_e32 v31, vcc, 0, v29, vcc
	s_waitcnt lgkmcnt(0)
	v_add_co_u32_e32 v36, vcc, 1, v8
	v_addc_co_u32_e32 v37, vcc, 0, v9, vcc
	v_cmp_lt_u64_e32 vcc, v[30:31], v[36:37]
	s_and_saveexec_b64 s[56:57], vcc
	s_cbranch_execz .LBB2_2896
; %bb.2885:                             ;   in Loop: Header=BB2_2763 Depth=1
	v_and_b32_e32 v9, 64, v57
	s_mov_b32 s92, 0
	v_cmp_eq_u32_e32 vcc, 0, v9
	s_mov_b64 s[58:59], 0
                                        ; implicit-def: $sgpr60_sgpr61
                                        ; implicit-def: $sgpr62_sgpr63
                                        ; implicit-def: $sgpr72_sgpr73
	s_branch .LBB2_2889
.LBB2_2886:                             ;   in Loop: Header=BB2_2889 Depth=2
	s_waitcnt vmcnt(0) lgkmcnt(0)
	v_add_co_u32_e64 v30, s[20:21], 8, v28
	v_addc_co_u32_e64 v31, s[20:21], 0, v29, s[20:21]
	v_cmp_ge_u64_e64 s[20:21], v[30:31], v[36:37]
	s_or_b64 s[78:79], s[78:79], exec
	s_orn2_b64 s[76:77], s[20:21], exec
.LBB2_2887:                             ;   in Loop: Header=BB2_2889 Depth=2
	s_or_b64 exec, exec, s[90:91]
	s_andn2_b64 s[20:21], s[72:73], exec
	s_and_b64 s[72:73], s[78:79], exec
	s_or_b64 s[72:73], s[20:21], s[72:73]
	s_andn2_b64 s[20:21], s[62:63], exec
	s_and_b64 s[62:63], s[76:77], exec
	s_or_b64 s[62:63], s[20:21], s[62:63]
.LBB2_2888:                             ;   in Loop: Header=BB2_2889 Depth=2
	s_or_b64 exec, exec, s[74:75]
	s_and_b64 s[20:21], exec, s[62:63]
	s_or_b64 s[58:59], s[20:21], s[58:59]
	s_andn2_b64 s[20:21], s[60:61], exec
	s_and_b64 s[60:61], s[72:73], exec
	s_or_b64 s[60:61], s[20:21], s[60:61]
	s_andn2_b64 exec, exec, s[58:59]
	s_cbranch_execz .LBB2_2893
.LBB2_2889:                             ;   Parent Loop BB2_2763 Depth=1
                                        ; =>  This Inner Loop Header: Depth=2
	s_sleep 1
	s_waitcnt vmcnt(0) lgkmcnt(0)
	flat_load_dwordx2 v[28:29], v[22:23] glc
	s_or_b64 s[72:73], s[72:73], exec
	s_or_b64 s[62:63], s[62:63], exec
                                        ; implicit-def: $vgpr9
	s_and_saveexec_b64 s[74:75], vcc
	s_cbranch_execz .LBB2_2888
; %bb.2890:                             ;   in Loop: Header=BB2_2889 Depth=2
	s_cmpk_lt_i32 s92, 0x270f
	s_cselect_b64 s[88:89], -1, 0
	s_cmpk_gt_i32 s92, 0x270e
	s_mov_b64 s[76:77], -1
	s_cbranch_scc0 .LBB2_2892
; %bb.2891:                             ;   in Loop: Header=BB2_2889 Depth=2
	s_trap 2
	ds_read_b64 v[9:10], v0
	s_andn2_b64 s[88:89], s[88:89], exec
	s_mov_b32 s92, 0
	s_mov_b64 s[78:79], 0
	s_waitcnt vmcnt(0) lgkmcnt(0)
	flat_load_dword v9, v[9:10] glc
	s_waitcnt vmcnt(0) lgkmcnt(0)
	buffer_wbinvl1_vol
	v_cmp_eq_u32_e64 s[20:21], 0, v9
	s_and_b64 s[20:21], s[20:21], exec
	s_or_b64 s[88:89], s[88:89], s[20:21]
	s_and_saveexec_b64 s[90:91], s[88:89]
	s_cbranch_execz .LBB2_2887
	s_branch .LBB2_2886
.LBB2_2892:                             ;   in Loop: Header=BB2_2889 Depth=2
	s_add_i32 s92, s92, 1
	s_mov_b64 s[78:79], -1
                                        ; implicit-def: $vgpr9
	s_and_saveexec_b64 s[90:91], s[88:89]
	s_cbranch_execz .LBB2_2887
	s_branch .LBB2_2886
.LBB2_2893:                             ;   in Loop: Header=BB2_2763 Depth=1
	s_or_b64 exec, exec, s[58:59]
	s_xor_b64 s[20:21], s[60:61], -1
	s_and_saveexec_b64 s[58:59], s[20:21]
	s_xor_b64 s[20:21], exec, s[58:59]
	s_cbranch_execz .LBB2_2895
; %bb.2894:                             ;   in Loop: Header=BB2_2763 Depth=1
	v_or_b32_e32 v57, 64, v57
	s_waitcnt lgkmcnt(0)
	ds_write_b32 v0, v9
	s_trap 2
.LBB2_2895:                             ;   in Loop: Header=BB2_2763 Depth=1
	s_or_b64 exec, exec, s[20:21]
.LBB2_2896:                             ;   in Loop: Header=BB2_2763 Depth=1
	s_or_b64 exec, exec, s[56:57]
	v_and_b32_e32 v9, 0x100, v57
	v_cmp_ne_u32_e32 vcc, 0, v9
	v_and_b32_e32 v10, 7, v8
	s_mov_b64 s[20:21], -1
	;;#ASMSTART
	s_wakeup
	;;#ASMEND
                                        ; implicit-def: $vgpr8_vgpr9
	s_and_saveexec_b64 s[56:57], vcc
	s_cbranch_execz .LBB2_2900
; %bb.2897:                             ;   in Loop: Header=BB2_2763 Depth=1
	v_mad_u64_u32 v[38:39], s[20:21], v10, 24, v[6:7]
	v_ashrrev_i32_e32 v17, 31, v16
	flat_load_dword v8, v[38:39]
	s_nop 0
	flat_store_dwordx2 v[38:39], v[16:17] offset:8
	s_waitcnt vmcnt(0) lgkmcnt(0)
	v_cmp_ne_u32_e32 vcc, 1, v8
	v_cmp_eq_u32_e64 s[20:21], 1, v8
                                        ; implicit-def: $vgpr8_vgpr9
	s_and_saveexec_b64 s[58:59], s[20:21]
	s_cbranch_execz .LBB2_2899
; %bb.2898:                             ;   in Loop: Header=BB2_2763 Depth=1
	flat_load_dword v8, v[38:39] offset:4 glc
	s_waitcnt vmcnt(0) lgkmcnt(0)
	v_ashrrev_i32_e32 v9, 31, v8
.LBB2_2899:                             ;   in Loop: Header=BB2_2763 Depth=1
	s_or_b64 exec, exec, s[58:59]
	s_orn2_b64 s[20:21], vcc, exec
.LBB2_2900:                             ;   in Loop: Header=BB2_2763 Depth=1
	s_or_b64 exec, exec, s[56:57]
	s_and_saveexec_b64 s[56:57], s[20:21]
; %bb.2901:                             ;   in Loop: Header=BB2_2763 Depth=1
	v_mad_i64_i32 v[8:9], s[20:21], v10, v47, 0
; %bb.2902:                             ;   in Loop: Header=BB2_2763 Depth=1
	s_or_b64 exec, exec, s[56:57]
	buffer_load_dword v24, off, s[0:3], s33 offset:60 ; 4-byte Folded Reload
	buffer_load_dword v25, off, s[0:3], s33 offset:64 ; 4-byte Folded Reload
	s_waitcnt vmcnt(0)
	v_add_co_u32_e32 v8, vcc, v24, v8
	v_addc_co_u32_e32 v9, vcc, v25, v9, vcc
	ds_write_b64 v0, v[8:9] offset:784
	v_and_b32_e32 v8, 0x2000, v57
	v_cmp_ne_u32_e32 vcc, 0, v8
	s_and_saveexec_b64 s[20:21], vcc
	s_cbranch_execz .LBB2_2904
; %bb.2903:                             ;   in Loop: Header=BB2_2763 Depth=1
	ds_read_b64 v[8:9], v0 offset:872
	s_waitcnt lgkmcnt(0)
	v_add_co_u32_e32 v8, vcc, 1, v8
	v_addc_co_u32_e32 v9, vcc, 0, v9, vcc
	ds_write_b64 v0, v[8:9] offset:872
.LBB2_2904:                             ;   in Loop: Header=BB2_2763 Depth=1
	s_or_b64 exec, exec, s[20:21]
	v_mov_b32_e32 v8, v36
	v_mov_b32_e32 v9, v37
.LBB2_2905:                             ;   in Loop: Header=BB2_2763 Depth=1
	s_or_b64 exec, exec, s[44:45]
	s_and_saveexec_b64 s[20:21], s[10:11]
	s_cbranch_execz .LBB2_2924
; %bb.2906:                             ;   in Loop: Header=BB2_2763 Depth=1
	s_and_saveexec_b64 s[44:45], s[28:29]
	s_xor_b64 s[44:45], exec, s[44:45]
	s_cbranch_execz .LBB2_2921
; %bb.2907:                             ;   in Loop: Header=BB2_2763 Depth=1
	s_and_saveexec_b64 s[56:57], s[12:13]
	s_cbranch_execz .LBB2_2920
; %bb.2908:                             ;   in Loop: Header=BB2_2763 Depth=1
	s_mov_b64 s[60:61], exec
	v_mbcnt_lo_u32_b32 v10, s60, 0
	v_mbcnt_hi_u32_b32 v10, s61, v10
	v_cmp_eq_u32_e32 vcc, 0, v10
	s_waitcnt vmcnt(0) lgkmcnt(0)
	buffer_wbinvl1_vol
	s_and_saveexec_b64 s[58:59], vcc
	s_cbranch_execz .LBB2_2910
; %bb.2909:                             ;   in Loop: Header=BB2_2763 Depth=1
	s_bcnt1_i32_b64 s60, s[60:61]
	v_mov_b32_e32 v10, s60
	ds_add_u64 v0, v[10:11]
	s_trap 2
.LBB2_2910:                             ;   in Loop: Header=BB2_2763 Depth=1
	s_or_b64 exec, exec, s[58:59]
	s_trap 2
	ds_read_b64 v[30:31], v0
	s_waitcnt lgkmcnt(0)
	v_add_co_u32_e32 v26, vcc, v26, v0
	v_addc_co_u32_e32 v27, vcc, 0, v27, vcc
	v_cmp_lt_u64_e32 vcc, v[30:31], v[26:27]
	s_and_saveexec_b64 s[58:59], vcc
	s_cbranch_execz .LBB2_2919
; %bb.2911:                             ;   in Loop: Header=BB2_2763 Depth=1
	s_mov_b32 s88, 0
	s_mov_b64 s[60:61], 0
                                        ; implicit-def: $sgpr62_sgpr63
                                        ; implicit-def: $sgpr72_sgpr73
	s_branch .LBB2_2913
.LBB2_2912:                             ;   in Loop: Header=BB2_2913 Depth=2
	s_or_b64 exec, exec, s[76:77]
	s_and_b64 s[74:75], exec, s[78:79]
	s_or_b64 s[60:61], s[74:75], s[60:61]
	s_andn2_b64 s[62:63], s[62:63], exec
	s_and_b64 s[74:75], s[72:73], exec
	s_or_b64 s[62:63], s[62:63], s[74:75]
	s_andn2_b64 exec, exec, s[60:61]
	s_cbranch_execz .LBB2_2917
.LBB2_2913:                             ;   Parent Loop BB2_2763 Depth=1
                                        ; =>  This Inner Loop Header: Depth=2
	s_add_i32 s88, s88, 1
	s_cmpk_lg_i32 s88, 0x2710
	s_cselect_b64 s[74:75], -1, 0
	s_and_b64 vcc, exec, s[74:75]
	s_cbranch_vccz .LBB2_2915
; %bb.2914:                             ;   in Loop: Header=BB2_2913 Depth=2
	s_mov_b64 s[78:79], -1
	s_or_b64 s[72:73], s[72:73], exec
	s_and_saveexec_b64 s[76:77], s[74:75]
	s_cbranch_execz .LBB2_2912
	s_branch .LBB2_2916
.LBB2_2915:                             ;   in Loop: Header=BB2_2913 Depth=2
	s_trap 2
	ds_read_b64 v[30:31], v0
	s_andn2_b64 s[74:75], s[74:75], exec
	s_mov_b32 s88, 0
	s_waitcnt lgkmcnt(0)
	flat_load_dword v10, v[30:31] glc
	s_waitcnt vmcnt(0) lgkmcnt(0)
	buffer_wbinvl1_vol
	v_cmp_eq_u32_e32 vcc, 0, v10
	s_and_b64 s[76:77], vcc, exec
	s_or_b64 s[74:75], s[74:75], s[76:77]
	s_mov_b64 s[78:79], -1
	s_or_b64 s[72:73], s[72:73], exec
	s_and_saveexec_b64 s[76:77], s[74:75]
	s_cbranch_execz .LBB2_2912
.LBB2_2916:                             ;   in Loop: Header=BB2_2913 Depth=2
	s_sleep 1
	s_trap 2
	ds_read_b64 v[30:31], v0
	s_waitcnt lgkmcnt(0)
	s_andn2_b64 s[72:73], s[72:73], exec
	v_cmp_ge_u64_e32 vcc, v[30:31], v[26:27]
	s_orn2_b64 s[78:79], vcc, exec
	s_branch .LBB2_2912
.LBB2_2917:                             ;   in Loop: Header=BB2_2763 Depth=1
	s_or_b64 exec, exec, s[60:61]
	s_and_saveexec_b64 s[60:61], s[62:63]
	s_xor_b64 s[60:61], exec, s[60:61]
	s_cbranch_execz .LBB2_2919
; %bb.2918:                             ;   in Loop: Header=BB2_2763 Depth=1
	ds_write_b32 v0, v20
	s_trap 2
.LBB2_2919:                             ;   in Loop: Header=BB2_2763 Depth=1
	s_or_b64 exec, exec, s[58:59]
	;;#ASMSTART
	s_wakeup
	;;#ASMEND
.LBB2_2920:                             ;   in Loop: Header=BB2_2763 Depth=1
	s_or_b64 exec, exec, s[56:57]
.LBB2_2921:                             ;   in Loop: Header=BB2_2763 Depth=1
	s_andn2_saveexec_b64 s[44:45], s[44:45]
	s_cbranch_execz .LBB2_2923
; %bb.2922:                             ;   in Loop: Header=BB2_2763 Depth=1
	s_waitcnt vmcnt(0) lgkmcnt(0)
	buffer_wbinvl1_vol
	s_barrier
.LBB2_2923:                             ;   in Loop: Header=BB2_2763 Depth=1
	s_or_b64 exec, exec, s[44:45]
.LBB2_2924:                             ;   in Loop: Header=BB2_2763 Depth=1
	s_or_b64 exec, exec, s[20:21]
	s_trap 2
	ds_read_b32 v17, v0
	v_cmp_lt_i32_e32 vcc, 0, v16
	v_and_b32_e32 v10, 16, v57
	s_waitcnt lgkmcnt(0)
	v_readfirstlane_b32 s20, v17
	s_cmp_eq_u32 s20, 0
	s_cselect_b64 s[20:21], -1, 0
	s_and_b64 s[20:21], vcc, s[20:21]
	v_cmp_ne_u32_e32 vcc, 0, v10
	s_and_b64 s[44:45], vcc, s[20:21]
	s_and_saveexec_b64 s[20:21], s[44:45]
	s_cbranch_execz .LBB2_2926
; %bb.2925:                             ;   in Loop: Header=BB2_2763 Depth=1
	s_waitcnt vmcnt(0)
	buffer_wbinvl1_vol
.LBB2_2926:                             ;   in Loop: Header=BB2_2763 Depth=1
	s_or_b64 exec, exec, s[20:21]
	v_cmp_ne_u32_e32 vcc, 0, v10
	s_and_saveexec_b64 s[20:21], vcc
	s_cbranch_execz .LBB2_2761
; %bb.2927:                             ;   in Loop: Header=BB2_2763 Depth=1
	s_and_saveexec_b64 s[44:45], s[18:19]
	s_cbranch_execz .LBB2_2760
; %bb.2928:                             ;   in Loop: Header=BB2_2763 Depth=1
	buffer_load_dword v16, off, s[0:3], s33 offset:72 ; 4-byte Folded Reload
	buffer_load_dword v17, off, s[0:3], s33 offset:76 ; 4-byte Folded Reload
	s_waitcnt vmcnt(0)
	flat_store_dword v[16:17], v20
	s_branch .LBB2_2760
.LBB2_2929:
	s_or_b64 exec, exec, s[40:41]
.LBB2_2930:
	s_or_b64 exec, exec, s[26:27]
.LBB2_2931:
	s_or_b64 exec, exec, s[22:23]
	v_and_b32_e32 v0, 0x800, v57
	v_cmp_eq_u32_e32 vcc, 0, v0
	s_and_saveexec_b64 s[6:7], vcc
	s_cbranch_execz .LBB2_2964
; %bb.2932:
	v_and_b32_e32 v0, 48, v57
	v_cmp_ne_u32_e32 vcc, 0, v0
	s_and_saveexec_b64 s[4:5], vcc
	s_cbranch_execz .LBB2_2934
; %bb.2933:
	s_waitcnt vmcnt(0) lgkmcnt(0)
	flat_store_dwordx2 v[60:61], v[8:9] offset:104
.LBB2_2934:
	s_or_b64 exec, exec, s[4:5]
	s_movk_i32 s4, 0x88
	v_and_b32_e32 v0, 0x88, v57
	v_cmp_eq_u32_e32 vcc, s4, v0
	s_and_saveexec_b64 s[10:11], vcc
	s_cbranch_execz .LBB2_2944
; %bb.2935:
	s_waitcnt lgkmcnt(0)
	v_add_u32_e32 v0, -1, v8
	v_and_b32_e32 v0, 7, v0
	v_mad_u64_u32 v[4:5], s[4:5], v0, 24, v[6:7]
	v_and_b32_e32 v2, 64, v57
	v_cmp_eq_u32_e64 s[4:5], 0, v2
	flat_load_dwordx2 v[0:1], v[4:5] offset:8 glc
	s_waitcnt vmcnt(0)
	s_mov_b32 s22, 0
	s_waitcnt lgkmcnt(0)
	v_cmp_ne_u64_e32 vcc, -1, v[0:1]
	s_and_b64 s[4:5], vcc, s[4:5]
	s_and_b64 exec, exec, s[4:5]
	s_cbranch_execz .LBB2_2944
; %bb.2936:
	s_mov_b64 s[4:5], 0
                                        ; implicit-def: $sgpr12_sgpr13
                                        ; implicit-def: $sgpr14_sgpr15
	s_branch .LBB2_2939
.LBB2_2937:                             ;   in Loop: Header=BB2_2939 Depth=1
	flat_load_dwordx2 v[1:2], v[4:5] offset:8 glc
	s_waitcnt vmcnt(0)
	s_andn2_b64 s[14:15], s[14:15], exec
	s_waitcnt lgkmcnt(0)
	v_cmp_eq_u64_e32 vcc, -1, v[1:2]
	s_orn2_b64 s[18:19], vcc, exec
.LBB2_2938:                             ;   in Loop: Header=BB2_2939 Depth=1
	s_or_b64 exec, exec, s[20:21]
	s_and_b64 s[16:17], exec, s[18:19]
	s_or_b64 s[4:5], s[16:17], s[4:5]
	s_andn2_b64 s[12:13], s[12:13], exec
	s_and_b64 s[16:17], s[14:15], exec
	s_or_b64 s[12:13], s[12:13], s[16:17]
	s_andn2_b64 exec, exec, s[4:5]
	s_cbranch_execz .LBB2_2942
.LBB2_2939:                             ; =>This Inner Loop Header: Depth=1
	s_cmpk_lt_i32 s22, 0x270f
	s_cselect_b64 s[16:17], -1, 0
	s_and_b64 vcc, exec, s[16:17]
	s_cbranch_vccnz .LBB2_2941
; %bb.2940:                             ;   in Loop: Header=BB2_2939 Depth=1
	s_trap 2
	ds_read_b64 v[0:1], v0
	s_andn2_b64 s[16:17], s[16:17], exec
	s_mov_b32 s22, 0
	s_waitcnt lgkmcnt(0)
	flat_load_dword v0, v[0:1] glc
	s_waitcnt vmcnt(0) lgkmcnt(0)
	buffer_wbinvl1_vol
	v_cmp_eq_u32_e32 vcc, 0, v0
	s_and_b64 s[18:19], vcc, exec
	s_or_b64 s[16:17], s[16:17], s[18:19]
	s_mov_b64 s[18:19], -1
	s_or_b64 s[14:15], s[14:15], exec
	s_and_saveexec_b64 s[20:21], s[16:17]
	s_cbranch_execz .LBB2_2938
	s_branch .LBB2_2937
.LBB2_2941:                             ;   in Loop: Header=BB2_2939 Depth=1
	s_add_i32 s22, s22, 1
                                        ; implicit-def: $vgpr0
	s_mov_b64 s[18:19], -1
	s_or_b64 s[14:15], s[14:15], exec
	s_and_saveexec_b64 s[20:21], s[16:17]
	s_cbranch_execz .LBB2_2938
	s_branch .LBB2_2937
.LBB2_2942:
	s_or_b64 exec, exec, s[4:5]
	s_and_saveexec_b64 s[4:5], s[12:13]
	s_xor_b64 s[4:5], exec, s[4:5]
	s_cbranch_execz .LBB2_2944
; %bb.2943:
	ds_write_b32 v0, v0
	s_trap 2
.LBB2_2944:
	s_or_b64 exec, exec, s[10:11]
	v_and_b32_e32 v0, 0x2000, v57
	v_cmp_ne_u32_e32 vcc, 0, v0
	s_and_saveexec_b64 s[4:5], vcc
	s_cbranch_execz .LBB2_2946
; %bb.2945:
	s_trap 2
	ds_read_b64 v[0:1], v0
	buffer_load_dword v2, off, s[0:3], s33 offset:120 ; 4-byte Folded Reload
	buffer_load_dword v3, off, s[0:3], s33 offset:124 ; 4-byte Folded Reload
	s_waitcnt vmcnt(0) lgkmcnt(0)
	flat_store_dwordx2 v[2:3], v[0:1] offset:16
.LBB2_2946:
	s_or_b64 exec, exec, s[4:5]
	s_waitcnt vmcnt(0)
	v_cmp_ne_u32_e32 vcc, 64, v44
	s_and_b64 exec, exec, vcc
	s_cbranch_execz .LBB2_2964
; %bb.2947:
	v_cmp_ne_u32_sdwa s[4:5], v44, v46 src0_sel:DWORD src1_sel:WORD_0
	s_and_saveexec_b64 s[10:11], s[4:5]
	s_xor_b64 s[4:5], exec, s[10:11]
	s_cbranch_execz .LBB2_2962
; %bb.2948:
	v_and_b32_e32 v0, 63, v45
	v_cmp_eq_u32_e32 vcc, 0, v0
	s_and_saveexec_b64 s[10:11], vcc
	s_cbranch_execz .LBB2_2961
; %bb.2949:
	s_mov_b64 s[14:15], exec
	v_mbcnt_lo_u32_b32 v0, s14, 0
	v_mbcnt_hi_u32_b32 v0, s15, v0
	v_cmp_eq_u32_e32 vcc, 0, v0
	s_waitcnt lgkmcnt(0)
	buffer_wbinvl1_vol
	s_and_saveexec_b64 s[12:13], vcc
	s_cbranch_execz .LBB2_2951
; %bb.2950:
	s_bcnt1_i32_b64 s14, s[14:15]
	v_mov_b32_e32 v0, s14
	v_mov_b32_e32 v1, 0
	ds_add_u64 v0, v[0:1]
	s_trap 2
.LBB2_2951:
	s_or_b64 exec, exec, s[12:13]
	v_lshrrev_b32_e32 v0, 6, v44
	s_trap 2
	ds_read_b64 v[2:3], v0
	s_waitcnt lgkmcnt(0)
	v_add_co_u32_e32 v0, vcc, v26, v0
	v_addc_co_u32_e32 v1, vcc, 0, v27, vcc
	v_cmp_lt_u64_e32 vcc, v[2:3], v[0:1]
	s_and_saveexec_b64 s[12:13], vcc
	s_cbranch_execz .LBB2_2960
; %bb.2952:
	s_mov_b32 s28, 0
	s_mov_b64 s[14:15], 0
                                        ; implicit-def: $sgpr16_sgpr17
                                        ; implicit-def: $sgpr18_sgpr19
	s_branch .LBB2_2954
.LBB2_2953:                             ;   in Loop: Header=BB2_2954 Depth=1
	s_or_b64 exec, exec, s[22:23]
	s_and_b64 s[20:21], exec, s[26:27]
	s_or_b64 s[14:15], s[20:21], s[14:15]
	s_andn2_b64 s[16:17], s[16:17], exec
	s_and_b64 s[20:21], s[18:19], exec
	s_or_b64 s[16:17], s[16:17], s[20:21]
	s_andn2_b64 exec, exec, s[14:15]
	s_cbranch_execz .LBB2_2958
.LBB2_2954:                             ; =>This Inner Loop Header: Depth=1
	s_add_i32 s28, s28, 1
	s_cmpk_lg_i32 s28, 0x2710
	s_cselect_b64 s[20:21], -1, 0
	s_and_b64 vcc, exec, s[20:21]
	s_cbranch_vccz .LBB2_2956
; %bb.2955:                             ;   in Loop: Header=BB2_2954 Depth=1
	s_mov_b64 s[26:27], -1
	s_or_b64 s[18:19], s[18:19], exec
	s_and_saveexec_b64 s[22:23], s[20:21]
	s_cbranch_execz .LBB2_2953
	s_branch .LBB2_2957
.LBB2_2956:                             ;   in Loop: Header=BB2_2954 Depth=1
	s_trap 2
	ds_read_b64 v[2:3], v0
	s_andn2_b64 s[20:21], s[20:21], exec
	s_mov_b32 s28, 0
	s_waitcnt lgkmcnt(0)
	flat_load_dword v2, v[2:3] glc
	s_waitcnt vmcnt(0) lgkmcnt(0)
	buffer_wbinvl1_vol
	v_cmp_eq_u32_e32 vcc, 0, v2
	s_and_b64 s[22:23], vcc, exec
	s_or_b64 s[20:21], s[20:21], s[22:23]
	s_mov_b64 s[26:27], -1
	s_or_b64 s[18:19], s[18:19], exec
	s_and_saveexec_b64 s[22:23], s[20:21]
	s_cbranch_execz .LBB2_2953
.LBB2_2957:                             ;   in Loop: Header=BB2_2954 Depth=1
	s_sleep 1
	s_trap 2
	ds_read_b64 v[2:3], v0
	s_waitcnt lgkmcnt(0)
	s_andn2_b64 s[18:19], s[18:19], exec
	v_cmp_ge_u64_e32 vcc, v[2:3], v[0:1]
	s_orn2_b64 s[26:27], vcc, exec
	s_branch .LBB2_2953
.LBB2_2958:
	s_or_b64 exec, exec, s[14:15]
	s_and_saveexec_b64 s[14:15], s[16:17]
	s_xor_b64 s[14:15], exec, s[14:15]
	s_cbranch_execz .LBB2_2960
; %bb.2959:
	v_mov_b32_e32 v0, 1
	ds_write_b32 v0, v0
	s_trap 2
.LBB2_2960:
	s_or_b64 exec, exec, s[12:13]
	;;#ASMSTART
	s_wakeup
	;;#ASMEND
.LBB2_2961:
	s_or_b64 exec, exec, s[10:11]
.LBB2_2962:
	s_andn2_saveexec_b64 s[4:5], s[4:5]
	s_cbranch_execz .LBB2_2964
; %bb.2963:
	s_waitcnt lgkmcnt(0)
	buffer_wbinvl1_vol
	s_barrier
.LBB2_2964:
	s_or_b64 exec, exec, s[6:7]
.LBB2_2965:
	s_andn2_saveexec_b64 s[26:27], s[24:25]
	s_cbranch_execz .LBB2_2967
; %bb.2966:
	s_getpc_b64 s[4:5]
	s_add_u32 s4, s4, __PRETTY_FUNCTION__._ZN10PrimitivesI14__hip_fp8_e4m37FuncSumIS0_E12FanSymmetricILi1EELi0E11ProtoSimpleILi1ELi1ELi0ELi1ELi0ELi0EELi0ELb0ELi0ELi0ELi0EEC2EiiPKiS9_PKvPvmhhhP15ncclDevWorkCollP14ncclDevWorkP2pii@rel32@lo+4
	s_addc_u32 s5, s5, __PRETTY_FUNCTION__._ZN10PrimitivesI14__hip_fp8_e4m37FuncSumIS0_E12FanSymmetricILi1EELi0E11ProtoSimpleILi1ELi1ELi0ELi1ELi0ELi0EELi0ELb0ELi0ELi0ELi0EEC2EiiPKiS9_PKvPvmhhhP15ncclDevWorkCollP14ncclDevWorkP2pii@rel32@hi+12
	s_getpc_b64 s[6:7]
	s_add_u32 s6, s6, __assert_fail@rel32@lo+4
	s_addc_u32 s7, s7, __assert_fail@rel32@hi+12
	v_mov_b32_e32 v0, s4
	v_mov_b32_e32 v1, s5
	s_swappc_b64 s[30:31], s[6:7]
	; divergent unreachable
.LBB2_2967:
	s_or_b64 exec, exec, s[26:27]
	buffer_load_dword v62, off, s[0:3], s33 ; 4-byte Folded Reload
	buffer_load_dword v61, off, s[0:3], s33 offset:4 ; 4-byte Folded Reload
	buffer_load_dword v60, off, s[0:3], s33 offset:8 ; 4-byte Folded Reload
	;; [unrolled: 1-line block ×14, first 2 shown]
	v_readlane_b32 s30, v63, 15
	v_readlane_b32 s31, v63, 16
	;; [unrolled: 1-line block ×17, first 2 shown]
	s_mov_b32 s32, s33
	v_readlane_b32 s4, v63, 17
	s_or_saveexec_b64 s[6:7], -1
	buffer_load_dword v63, off, s[0:3], s33 offset:184 ; 4-byte Folded Reload
	s_mov_b64 exec, s[6:7]
	s_mov_b32 s33, s4
	s_waitcnt vmcnt(0) lgkmcnt(0)
	s_setpc_b64 s[30:31]
.Lfunc_end2:
	.size	_ZN12_GLOBAL__N_17runRingI14__hip_fp8_e4m37FuncSumIS1_E11ProtoSimpleILi1ELi1ELi0ELi1ELi0ELi0EELi0ELi1ELi0EEEviiP15ncclDevWorkColl, .Lfunc_end2-_ZN12_GLOBAL__N_17runRingI14__hip_fp8_e4m37FuncSumIS1_E11ProtoSimpleILi1ELi1ELi0ELi1ELi0ELi0EELi0ELi1ELi0EEEviiP15ncclDevWorkColl
                                        ; -- End function
	.set .L_ZN12_GLOBAL__N_17runRingI14__hip_fp8_e4m37FuncSumIS1_E11ProtoSimpleILi1ELi1ELi0ELi1ELi0ELi0EELi0ELi1ELi0EEEviiP15ncclDevWorkColl.num_vgpr, max(64, .L__assert_fail.num_vgpr)
	.set .L_ZN12_GLOBAL__N_17runRingI14__hip_fp8_e4m37FuncSumIS1_E11ProtoSimpleILi1ELi1ELi0ELi1ELi0ELi0EELi0ELi1ELi0EEEviiP15ncclDevWorkColl.num_agpr, max(0, .L__assert_fail.num_agpr)
	.set .L_ZN12_GLOBAL__N_17runRingI14__hip_fp8_e4m37FuncSumIS1_E11ProtoSimpleILi1ELi1ELi0ELi1ELi0ELi0EELi0ELi1ELi0EEEviiP15ncclDevWorkColl.numbered_sgpr, max(96, .L__assert_fail.numbered_sgpr)
	.set .L_ZN12_GLOBAL__N_17runRingI14__hip_fp8_e4m37FuncSumIS1_E11ProtoSimpleILi1ELi1ELi0ELi1ELi0ELi0EELi0ELi1ELi0EEEviiP15ncclDevWorkColl.num_named_barrier, max(0, .L__assert_fail.num_named_barrier)
	.set .L_ZN12_GLOBAL__N_17runRingI14__hip_fp8_e4m37FuncSumIS1_E11ProtoSimpleILi1ELi1ELi0ELi1ELi0ELi0EELi0ELi1ELi0EEEviiP15ncclDevWorkColl.private_seg_size, 192+max(.L__assert_fail.private_seg_size)
	.set .L_ZN12_GLOBAL__N_17runRingI14__hip_fp8_e4m37FuncSumIS1_E11ProtoSimpleILi1ELi1ELi0ELi1ELi0ELi0EELi0ELi1ELi0EEEviiP15ncclDevWorkColl.uses_vcc, or(1, .L__assert_fail.uses_vcc)
	.set .L_ZN12_GLOBAL__N_17runRingI14__hip_fp8_e4m37FuncSumIS1_E11ProtoSimpleILi1ELi1ELi0ELi1ELi0ELi0EELi0ELi1ELi0EEEviiP15ncclDevWorkColl.uses_flat_scratch, or(0, .L__assert_fail.uses_flat_scratch)
	.set .L_ZN12_GLOBAL__N_17runRingI14__hip_fp8_e4m37FuncSumIS1_E11ProtoSimpleILi1ELi1ELi0ELi1ELi0ELi0EELi0ELi1ELi0EEEviiP15ncclDevWorkColl.has_dyn_sized_stack, or(0, .L__assert_fail.has_dyn_sized_stack)
	.set .L_ZN12_GLOBAL__N_17runRingI14__hip_fp8_e4m37FuncSumIS1_E11ProtoSimpleILi1ELi1ELi0ELi1ELi0ELi0EELi0ELi1ELi0EEEviiP15ncclDevWorkColl.has_recursion, or(1, .L__assert_fail.has_recursion)
	.set .L_ZN12_GLOBAL__N_17runRingI14__hip_fp8_e4m37FuncSumIS1_E11ProtoSimpleILi1ELi1ELi0ELi1ELi0ELi0EELi0ELi1ELi0EEEviiP15ncclDevWorkColl.has_indirect_call, or(0, .L__assert_fail.has_indirect_call)
	.section	.AMDGPU.csdata,"",@progbits
; Function info:
; codeLenInByte = 88776
; TotalNumSgprs: 100
; NumVgprs: 64
; ScratchSize: 256
; MemoryBound: 1
	.text
	.p2align	2                               ; -- Begin function _Z47ncclDevFunc_Reduce_RING_SIMPLE_Sum_f8e4m3_0_0_1v
	.type	_Z47ncclDevFunc_Reduce_RING_SIMPLE_Sum_f8e4m3_0_0_1v,@function
_Z47ncclDevFunc_Reduce_RING_SIMPLE_Sum_f8e4m3_0_0_1v: ; @_Z47ncclDevFunc_Reduce_RING_SIMPLE_Sum_f8e4m3_0_0_1v
; %bb.0:
	s_waitcnt vmcnt(0) expcnt(0) lgkmcnt(0)
	s_mov_b32 s4, s33
	s_mov_b32 s33, s32
	s_or_saveexec_b64 s[6:7], -1
	buffer_store_dword v43, off, s[0:3], s33 offset:16 ; 4-byte Folded Spill
	s_mov_b64 exec, s[6:7]
	v_writelane_b32 v43, s4, 23
	s_addk_i32 s32, 0x800
	buffer_store_dword v40, off, s[0:3], s33 offset:12 ; 4-byte Folded Spill
	buffer_store_dword v41, off, s[0:3], s33 offset:8 ; 4-byte Folded Spill
	;; [unrolled: 1-line block ×3, first 2 shown]
	buffer_store_dword v63, off, s[0:3], s33 ; 4-byte Folded Spill
	v_writelane_b32 v43, s34, 0
	v_writelane_b32 v43, s35, 1
	;; [unrolled: 1-line block ×23, first 2 shown]
	s_trap 2
	ds_read_b32 v0, v0
	v_mov_b32_e32 v40, v31
	s_mov_b32 s65, s12
	s_mov_b64 s[66:67], s[8:9]
	s_waitcnt lgkmcnt(0)
	v_cmp_gt_i32_e32 vcc, 1, v0
	s_cbranch_vccnz .LBB3_8
; %bb.1:
	s_mov_b32 s70, 0
	v_and_b32_e32 v41, 0x3ff, v40
	v_mov_b32_e32 v42, 6
	s_branch .LBB3_3
.LBB3_2:                                ;   in Loop: Header=BB3_3 Depth=1
	s_or_b64 exec, exec, s[68:69]
	s_trap 2
	ds_read_b32 v0, v0
	s_add_i32 s70, s70, 1
	s_waitcnt lgkmcnt(0)
	v_cmp_lt_i32_e32 vcc, s70, v0
	s_cbranch_vccz .LBB3_8
.LBB3_3:                                ; =>This Inner Loop Header: Depth=1
	s_trap 2
	ds_read_b32 v0, v0
	s_cmp_eq_u32 s70, 0
	s_cbranch_scc1 .LBB3_6
; %bb.4:                                ;   in Loop: Header=BB3_3 Depth=1
	s_trap 2
	s_waitcnt lgkmcnt(0)
	ds_read_b32 v1, v0
	s_waitcnt lgkmcnt(0)
	v_xor_b32_e32 v1, v1, v0
	v_and_b32_e32 v1, 0xff0000, v1
	v_cmp_eq_u32_e32 vcc, 0, v1
	s_cbranch_vccnz .LBB3_6
; %bb.5:                                ;   in Loop: Header=BB3_3 Depth=1
	s_waitcnt vmcnt(0)
	s_barrier
	ds_read_b32 v0, v0
.LBB3_6:                                ;   in Loop: Header=BB3_3 Depth=1
	s_waitcnt lgkmcnt(0)
	v_lshlrev_b32_sdwa v1, v42, v0 dst_sel:DWORD dst_unused:UNUSED_PAD src0_sel:DWORD src1_sel:BYTE_2
	v_cmp_lt_u32_e32 vcc, v41, v1
	s_and_saveexec_b64 s[68:69], vcc
	s_cbranch_execz .LBB3_2
; %bb.7:                                ;   in Loop: Header=BB3_3 Depth=1
	s_mov_b64 s[4:5], src_shared_base
	s_getpc_b64 s[6:7]
	s_add_u32 s6, s6, _ZN12_GLOBAL__N_17runRingI14__hip_fp8_e4m37FuncSumIS1_E11ProtoSimpleILi1ELi1ELi0ELi1ELi0ELi0EELi0ELi1ELi0EEEviiP15ncclDevWorkColl@rel32@lo+4
	s_addc_u32 s7, s7, _ZN12_GLOBAL__N_17runRingI14__hip_fp8_e4m37FuncSumIS1_E11ProtoSimpleILi1ELi1ELi0ELi1ELi0ELi0EELi0ELi1ELi0EEEviiP15ncclDevWorkColl@rel32@hi+12
	s_mov_b64 s[8:9], s[66:67]
	s_mov_b32 s12, s65
	v_mov_b32_e32 v31, v40
	v_mov_b32_e32 v0, v41
	;; [unrolled: 1-line block ×3, first 2 shown]
	s_swappc_b64 s[30:31], s[6:7]
	s_branch .LBB3_2
.LBB3_8:
	buffer_load_dword v63, off, s[0:3], s33 ; 4-byte Folded Reload
	buffer_load_dword v42, off, s[0:3], s33 offset:4 ; 4-byte Folded Reload
	buffer_load_dword v41, off, s[0:3], s33 offset:8 ; 4-byte Folded Reload
	buffer_load_dword v40, off, s[0:3], s33 offset:12 ; 4-byte Folded Reload
	v_readlane_b32 s30, v43, 21
	v_readlane_b32 s31, v43, 22
	;; [unrolled: 1-line block ×23, first 2 shown]
	s_mov_b32 s32, s33
	v_readlane_b32 s4, v43, 23
	s_or_saveexec_b64 s[6:7], -1
	buffer_load_dword v43, off, s[0:3], s33 offset:16 ; 4-byte Folded Reload
	s_mov_b64 exec, s[6:7]
	s_mov_b32 s33, s4
	s_waitcnt vmcnt(0)
	s_setpc_b64 s[30:31]
.Lfunc_end3:
	.size	_Z47ncclDevFunc_Reduce_RING_SIMPLE_Sum_f8e4m3_0_0_1v, .Lfunc_end3-_Z47ncclDevFunc_Reduce_RING_SIMPLE_Sum_f8e4m3_0_0_1v
                                        ; -- End function
	.set .L_Z47ncclDevFunc_Reduce_RING_SIMPLE_Sum_f8e4m3_0_0_1v.num_vgpr, max(64, .L_ZN12_GLOBAL__N_17runRingI14__hip_fp8_e4m37FuncSumIS1_E11ProtoSimpleILi1ELi1ELi0ELi1ELi0ELi0EELi0ELi1ELi0EEEviiP15ncclDevWorkColl.num_vgpr)
	.set .L_Z47ncclDevFunc_Reduce_RING_SIMPLE_Sum_f8e4m3_0_0_1v.num_agpr, max(0, .L_ZN12_GLOBAL__N_17runRingI14__hip_fp8_e4m37FuncSumIS1_E11ProtoSimpleILi1ELi1ELi0ELi1ELi0ELi0EELi0ELi1ELi0EEEviiP15ncclDevWorkColl.num_agpr)
	.set .L_Z47ncclDevFunc_Reduce_RING_SIMPLE_Sum_f8e4m3_0_0_1v.numbered_sgpr, max(71, .L_ZN12_GLOBAL__N_17runRingI14__hip_fp8_e4m37FuncSumIS1_E11ProtoSimpleILi1ELi1ELi0ELi1ELi0ELi0EELi0ELi1ELi0EEEviiP15ncclDevWorkColl.numbered_sgpr)
	.set .L_Z47ncclDevFunc_Reduce_RING_SIMPLE_Sum_f8e4m3_0_0_1v.num_named_barrier, max(0, .L_ZN12_GLOBAL__N_17runRingI14__hip_fp8_e4m37FuncSumIS1_E11ProtoSimpleILi1ELi1ELi0ELi1ELi0ELi0EELi0ELi1ELi0EEEviiP15ncclDevWorkColl.num_named_barrier)
	.set .L_Z47ncclDevFunc_Reduce_RING_SIMPLE_Sum_f8e4m3_0_0_1v.private_seg_size, 32+max(.L_ZN12_GLOBAL__N_17runRingI14__hip_fp8_e4m37FuncSumIS1_E11ProtoSimpleILi1ELi1ELi0ELi1ELi0ELi0EELi0ELi1ELi0EEEviiP15ncclDevWorkColl.private_seg_size)
	.set .L_Z47ncclDevFunc_Reduce_RING_SIMPLE_Sum_f8e4m3_0_0_1v.uses_vcc, or(1, .L_ZN12_GLOBAL__N_17runRingI14__hip_fp8_e4m37FuncSumIS1_E11ProtoSimpleILi1ELi1ELi0ELi1ELi0ELi0EELi0ELi1ELi0EEEviiP15ncclDevWorkColl.uses_vcc)
	.set .L_Z47ncclDevFunc_Reduce_RING_SIMPLE_Sum_f8e4m3_0_0_1v.uses_flat_scratch, or(0, .L_ZN12_GLOBAL__N_17runRingI14__hip_fp8_e4m37FuncSumIS1_E11ProtoSimpleILi1ELi1ELi0ELi1ELi0ELi0EELi0ELi1ELi0EEEviiP15ncclDevWorkColl.uses_flat_scratch)
	.set .L_Z47ncclDevFunc_Reduce_RING_SIMPLE_Sum_f8e4m3_0_0_1v.has_dyn_sized_stack, or(0, .L_ZN12_GLOBAL__N_17runRingI14__hip_fp8_e4m37FuncSumIS1_E11ProtoSimpleILi1ELi1ELi0ELi1ELi0ELi0EELi0ELi1ELi0EEEviiP15ncclDevWorkColl.has_dyn_sized_stack)
	.set .L_Z47ncclDevFunc_Reduce_RING_SIMPLE_Sum_f8e4m3_0_0_1v.has_recursion, or(1, .L_ZN12_GLOBAL__N_17runRingI14__hip_fp8_e4m37FuncSumIS1_E11ProtoSimpleILi1ELi1ELi0ELi1ELi0ELi0EELi0ELi1ELi0EEEviiP15ncclDevWorkColl.has_recursion)
	.set .L_Z47ncclDevFunc_Reduce_RING_SIMPLE_Sum_f8e4m3_0_0_1v.has_indirect_call, or(0, .L_ZN12_GLOBAL__N_17runRingI14__hip_fp8_e4m37FuncSumIS1_E11ProtoSimpleILi1ELi1ELi0ELi1ELi0ELi0EELi0ELi1ELi0EEEviiP15ncclDevWorkColl.has_indirect_call)
	.section	.AMDGPU.csdata,"",@progbits
; Function info:
; codeLenInByte = 752
; TotalNumSgprs: 100
; NumVgprs: 64
; ScratchSize: 288
; MemoryBound: 0
	.text
	.p2align	2                               ; -- Begin function _ZN12_GLOBAL__N_17runRingI14__hip_fp8_e4m37FuncSumIS1_E11ProtoSimpleILi1ELi1ELi0ELi2ELi0ELi0EELi0ELi2ELi0EEEviiP15ncclDevWorkColl
	.type	_ZN12_GLOBAL__N_17runRingI14__hip_fp8_e4m37FuncSumIS1_E11ProtoSimpleILi1ELi1ELi0ELi2ELi0ELi0EELi0ELi2ELi0EEEviiP15ncclDevWorkColl,@function
_ZN12_GLOBAL__N_17runRingI14__hip_fp8_e4m37FuncSumIS1_E11ProtoSimpleILi1ELi1ELi0ELi2ELi0ELi0EELi0ELi2ELi0EEEviiP15ncclDevWorkColl: ; @_ZN12_GLOBAL__N_17runRingI14__hip_fp8_e4m37FuncSumIS1_E11ProtoSimpleILi1ELi1ELi0ELi2ELi0ELi0EELi0ELi2ELi0EEEviiP15ncclDevWorkColl
; %bb.0:
	s_waitcnt vmcnt(0) expcnt(0) lgkmcnt(0)
	s_mov_b32 s4, s33
	s_mov_b32 s33, s32
	s_or_saveexec_b64 s[6:7], -1
	buffer_store_dword v63, off, s[0:3], s33 offset:232 ; 4-byte Folded Spill
	s_mov_b64 exec, s[6:7]
	v_writelane_b32 v63, s4, 17
	s_addk_i32 s32, 0x3c00
	buffer_store_dword v40, off, s[0:3], s33 offset:56 ; 4-byte Folded Spill
	buffer_store_dword v41, off, s[0:3], s33 offset:52 ; 4-byte Folded Spill
	;; [unrolled: 1-line block ×14, first 2 shown]
	buffer_store_dword v62, off, s[0:3], s33 ; 4-byte Folded Spill
	v_writelane_b32 v63, s34, 0
	v_writelane_b32 v63, s35, 1
	;; [unrolled: 1-line block ×17, first 2 shown]
	s_trap 2
	ds_read_b64 v[14:15], v0
	ds_read_b32 v4, v0
	v_mov_b32_e32 v34, v1
	v_mov_b32_e32 v48, v0
	flat_load_ushort v16, v[2:3] offset:8
	flat_load_dwordx2 v[8:9], v[2:3]
	s_waitcnt lgkmcnt(0)
	v_ashrrev_i32_e32 v1, 31, v15
	v_mov_b32_e32 v0, v15
	v_lshlrev_b64 v[0:1], 2, v[0:1]
                                        ; implicit-def: $vgpr17_vgpr18
                                        ; implicit-def: $vgpr49_vgpr50
                                        ; implicit-def: $vgpr53_vgpr54
	v_add_co_u32_e32 v0, vcc, v14, v0
	v_addc_co_u32_e32 v1, vcc, v15, v1, vcc
	v_add_co_u32_e32 v0, vcc, -4, v0
	v_addc_co_u32_e32 v1, vcc, -1, v1, vcc
	flat_load_dword v0, v[0:1]
	s_waitcnt vmcnt(0)
	v_mov_b32_e32 v15, v9
	v_cmp_ne_u32_sdwa s[4:5], v4, v8 src0_sel:DWORD src1_sel:BYTE_0
	s_and_saveexec_b64 s[6:7], s[4:5]
	s_xor_b64 s[4:5], exec, s[6:7]
	s_cbranch_execz .LBB4_6
; %bb.1:
	v_not_b32_sdwa v1, v8 dst_sel:DWORD dst_unused:UNUSED_PAD src0_sel:BYTE_0
	v_cmp_ne_u32_sdwa s[6:7], v4, v8 src0_sel:DWORD src1_sel:BYTE_1
                                        ; implicit-def: $vgpr17_vgpr18
                                        ; implicit-def: $vgpr49_vgpr50
                                        ; implicit-def: $vgpr53_vgpr54
	s_and_saveexec_b64 s[10:11], s[6:7]
	s_xor_b64 s[6:7], exec, s[10:11]
	s_cbranch_execz .LBB4_3
; %bb.2:
	flat_load_dwordx4 v[5:8], v[2:3] offset:72
	flat_load_dwordx2 v[9:10], v[2:3] offset:96
	v_add_u32_e32 v1, v4, v1
	v_ashrrev_i32_e32 v4, 31, v1
	s_waitcnt vmcnt(0) lgkmcnt(0)
	v_mul_lo_u32 v4, v7, v4
	v_mad_u64_u32 v[53:54], s[10:11], v7, v1, v[5:6]
	v_mul_lo_u32 v1, v8, v1
	v_mov_b32_e32 v50, v8
	v_lshrrev_b64 v[17:18], 12, v[9:10]
	v_mov_b32_e32 v49, v7
	v_add3_u32 v54, v1, v54, v4
                                        ; implicit-def: $vgpr8
                                        ; implicit-def: $vgpr1
.LBB4_3:
	s_andn2_saveexec_b64 s[6:7], s[6:7]
	s_cbranch_execz .LBB4_5
; %bb.4:
	flat_load_dwordx4 v[4:7], v[2:3] offset:72
	flat_load_dwordx4 v[49:52], v[2:3] offset:88
	v_add_u32_sdwa v1, v8, v1 dst_sel:DWORD dst_unused:UNUSED_PAD src0_sel:BYTE_1 src1_sel:DWORD
	v_ashrrev_i32_e32 v8, 31, v1
	s_waitcnt vmcnt(0) lgkmcnt(0)
	v_mul_lo_u32 v8, v6, v8
	v_mad_u64_u32 v[53:54], s[10:11], v6, v1, v[4:5]
	v_mul_lo_u32 v1, v7, v1
	v_lshrrev_b32_e32 v17, 1, v52
	v_add3_u32 v54, v1, v54, v8
.LBB4_5:
	s_or_b64 exec, exec, s[6:7]
.LBB4_6:
	s_andn2_saveexec_b64 s[4:5], s[4:5]
	s_cbranch_execz .LBB4_8
; %bb.7:
	flat_load_dwordx2 v[4:5], v[2:3] offset:96
	flat_load_dwordx2 v[49:50], v[2:3] offset:72
	v_mov_b32_e32 v53, 0
	v_mov_b32_e32 v54, 0
	s_waitcnt vmcnt(0) lgkmcnt(0)
	v_lshlrev_b64 v[17:18], 9, v[4:5]
.LBB4_8:
	s_or_b64 exec, exec, s[4:5]
	s_trap 2
	s_waitcnt lgkmcnt(0)
	ds_read_b64 v[4:5], v0
	s_waitcnt lgkmcnt(0)
	v_cmp_ne_u32_e32 vcc, -1, v4
	v_cndmask_b32_e64 v4, 0, 1, vcc
	v_cmp_ne_u32_e32 vcc, -1, v5
	v_addc_co_u32_e64 v1, s[4:5], 0, v4, vcc
	v_lshlrev_b32_e32 v5, 1, v1
	v_cmp_le_u32_e64 s[4:5], v5, v34
	s_and_saveexec_b64 s[6:7], s[4:5]
	s_xor_b64 s[24:25], exec, s[6:7]
	s_cbranch_execz .LBB4_4377
; %bb.9:
	flat_load_dwordx4 v[10:13], v[2:3] offset:16
	flat_load_dwordx2 v[18:19], v[2:3] offset:104
	s_trap 2
	s_load_dword s4, s[8:9], 0x0
	v_mov_b32_e32 v2, 0
	v_mov_b32_e32 v3, 4
	s_waitcnt lgkmcnt(0)
	s_cmp_lt_u32 s12, s4
	s_cselect_b32 s4, 12, 18
	s_add_u32 s4, s8, s4
	s_addc_u32 s5, s9, 0
	global_load_ushort v2, v2, s[4:5]
	v_cmp_ge_i32_e64 s[4:5], v48, v4
	s_waitcnt vmcnt(0)
	buffer_store_dword v2, off, s[0:3], s33 offset:160 ; 4-byte Folded Spill
	ds_read_b32 v2, v0
	s_waitcnt lgkmcnt(0)
	v_readfirstlane_b32 s48, v2
	s_and_saveexec_b64 s[6:7], s[4:5]
	s_cbranch_execz .LBB4_19
; %bb.10:
	v_cmp_ge_u32_e64 s[4:5], v48, v1
                                        ; implicit-def: $vgpr3
	s_and_saveexec_b64 s[10:11], s[4:5]
	s_xor_b64 s[4:5], exec, s[10:11]
	s_cbranch_execz .LBB4_16
; %bb.11:
	v_cndmask_b32_e64 v2, 0, 1, vcc
	v_sub_u32_e32 v2, v34, v2
	v_cmp_ge_u32_e32 vcc, v48, v2
	s_and_saveexec_b64 s[10:11], vcc
	s_xor_b64 s[10:11], exec, s[10:11]
; %bb.12:
                                        ; implicit-def: $vgpr1
; %bb.13:
	s_or_saveexec_b64 s[10:11], s[10:11]
	v_mov_b32_e32 v3, 16
	s_xor_b64 exec, exec, s[10:11]
; %bb.14:
	v_sub_u32_e32 v1, v34, v1
	v_cmp_lt_i32_e32 vcc, v48, v1
	v_cndmask_b32_e64 v3, 32, 0, vcc
; %bb.15:
	s_or_b64 exec, exec, s[10:11]
.LBB4_16:
	s_andn2_saveexec_b64 s[4:5], s[4:5]
; %bb.17:
	v_mov_b32_e32 v3, 8
; %bb.18:
	s_or_b64 exec, exec, s[4:5]
.LBB4_19:
	s_or_b64 exec, exec, s[6:7]
	v_and_b32_e32 v1, 36, v3
	v_cmp_ne_u32_e32 vcc, 0, v1
	v_mov_b32_e32 v20, -1
	s_and_saveexec_b64 s[4:5], vcc
	s_cbranch_execz .LBB4_21
; %bb.20:
	s_trap 2
	ds_read_b32 v20, v0
.LBB4_21:
	s_or_b64 exec, exec, s[4:5]
	v_and_b32_e32 v1, 24, v3
	v_cmp_ne_u32_e64 s[4:5], 0, v1
	s_and_saveexec_b64 s[6:7], s[4:5]
	s_cbranch_execz .LBB4_23
; %bb.22:
	s_trap 2
	s_waitcnt lgkmcnt(0)
	ds_read_b32 v20, v0
.LBB4_23:
	s_or_b64 exec, exec, s[6:7]
	v_mov_b32_e32 v5, 0
	v_mov_b32_e32 v6, 0
	v_lshrrev_b64 v[1:2], 31, v[15:16]
	buffer_store_dword v5, off, s[0:3], s33 offset:132 ; 4-byte Folded Spill
	s_nop 0
	buffer_store_dword v6, off, s[0:3], s33 offset:136 ; 4-byte Folded Spill
	v_mov_b32_e32 v6, 0
	v_and_b32_e32 v1, 3, v1
	v_mov_b32_e32 v7, 0
	s_waitcnt lgkmcnt(0)
	v_ashrrev_i32_e32 v21, 31, v20
                                        ; implicit-def: $vgpr8_vgpr9
                                        ; kill: killed $vgpr8_vgpr9
                                        ; implicit-def: $vgpr2
                                        ; kill: killed $vgpr2
                                        ; implicit-def: $vgpr38_vgpr39
                                        ; implicit-def: $vgpr8_vgpr9
                                        ; kill: killed $vgpr8_vgpr9
                                        ; implicit-def: $vgpr32_vgpr33
	s_and_saveexec_b64 s[4:5], vcc
	s_cbranch_execz .LBB4_33
; %bb.24:
	s_trap 2
	ds_read_b64 v[5:6], v0
	v_lshlrev_b64 v[7:8], 3, v[20:21]
	v_and_b32_e32 v2, 0xffff, v1
	s_movk_i32 s6, 0xa8
	s_waitcnt lgkmcnt(0)
	v_add_co_u32_e32 v5, vcc, v5, v7
	v_addc_co_u32_e32 v6, vcc, v6, v8, vcc
	flat_load_dwordx2 v[5:6], v[5:6]
	s_waitcnt vmcnt(0) lgkmcnt(0)
	v_mad_u64_u32 v[22:23], s[6:7], v2, s6, v[5:6]
                                        ; implicit-def: $vgpr5_vgpr6
                                        ; kill: killed $vgpr5_vgpr6
	flat_load_dword v2, v[22:23] offset:640
	s_waitcnt vmcnt(0) lgkmcnt(0)
	v_cmp_eq_u32_e32 vcc, 1, v2
	s_and_saveexec_b64 s[6:7], vcc
	s_cbranch_execz .LBB4_26
; %bb.25:
	flat_load_dwordx2 v[7:8], v[22:23] offset:648
	v_or_b32_e32 v3, 0x2000, v3
	s_waitcnt vmcnt(0) lgkmcnt(0)
	flat_load_dwordx2 v[5:6], v[7:8]
	s_trap 2
	s_waitcnt vmcnt(0) lgkmcnt(0)
	ds_write_b64 v0, v[5:6]
	flat_load_dwordx2 v[5:6], v[7:8] offset:8
	s_waitcnt vmcnt(0) lgkmcnt(0)
	ds_write_b64 v0, v[5:6]
	buffer_store_dword v7, off, s[0:3], s33 offset:204 ; 4-byte Folded Spill
	s_nop 0
	buffer_store_dword v8, off, s[0:3], s33 offset:208 ; 4-byte Folded Spill
	flat_load_dwordx2 v[5:6], v[7:8] offset:16
	s_waitcnt vmcnt(0) lgkmcnt(0)
	ds_write_b64 v0, v[5:6]
.LBB4_26:
	s_or_b64 exec, exec, s[6:7]
	flat_load_dwordx2 v[8:9], v[22:23] offset:608
	v_and_b32_e32 v2, 32, v3
	v_cmp_ne_u32_e32 vcc, 0, v2
                                        ; implicit-def: $vgpr32_vgpr33
	s_and_saveexec_b64 s[6:7], vcc
	s_cbranch_execz .LBB4_28
; %bb.27:
	flat_load_dwordx2 v[32:33], v[22:23] offset:560
	s_waitcnt vmcnt(0) lgkmcnt(0)
	flat_store_dwordx2 v[32:33], v[8:9]
.LBB4_28:
	s_or_b64 exec, exec, s[6:7]
	v_add_co_u32_e32 v5, vcc, 0x1f8, v22
	v_addc_co_u32_e32 v6, vcc, 0, v23, vcc
	buffer_store_dword v5, off, s[0:3], s33 offset:132 ; 4-byte Folded Spill
	s_nop 0
	buffer_store_dword v6, off, s[0:3], s33 offset:136 ; 4-byte Folded Spill
	v_and_b32_e32 v2, 4, v3
	v_mov_b32_e32 v6, 0
	v_mov_b32_e32 v7, 0
	v_cmp_ne_u32_e32 vcc, 0, v2
                                        ; implicit-def: $vgpr2
                                        ; kill: killed $vgpr2
                                        ; implicit-def: $vgpr38_vgpr39
                                        ; implicit-def: $vgpr24_vgpr25
                                        ; kill: killed $vgpr24_vgpr25
	s_and_saveexec_b64 s[6:7], vcc
	s_cbranch_execz .LBB4_32
; %bb.29:
	v_and_b32_e32 v2, 0x800, v3
	v_cmp_eq_u32_e32 vcc, 0, v2
	s_and_saveexec_b64 s[10:11], vcc
	s_cbranch_execz .LBB4_31
; %bb.30:
	s_trap 2
	buffer_load_dword v5, off, s[0:3], s33 offset:132 ; 4-byte Folded Reload
	buffer_load_dword v6, off, s[0:3], s33 offset:136 ; 4-byte Folded Reload
	s_waitcnt vmcnt(0)
	ds_write_b64 v0, v[5:6]
.LBB4_31:
	s_or_b64 exec, exec, s[10:11]
	flat_load_dwordx2 v[32:33], v[22:23] offset:552
	s_waitcnt vmcnt(0) lgkmcnt(0)
	flat_load_dwordx2 v[38:39], v[32:33] glc
	flat_load_dwordx2 v[6:7], v[22:23] offset:600
	flat_load_dword v2, v[22:23] offset:576
	s_nop 0
	flat_load_dwordx2 v[22:23], v[22:23] offset:520
	s_waitcnt vmcnt(0) lgkmcnt(0)
	v_cmp_eq_u64_e32 vcc, 0, v[6:7]
	buffer_store_dword v2, off, s[0:3], s33 offset:128 ; 4-byte Folded Spill
	v_or_b32_e32 v2, 0x100, v3
	v_cndmask_b32_e32 v3, v2, v3, vcc
	buffer_store_dword v22, off, s[0:3], s33 offset:80 ; 4-byte Folded Spill
	s_nop 0
	buffer_store_dword v23, off, s[0:3], s33 offset:84 ; 4-byte Folded Spill
.LBB4_32:
	s_or_b64 exec, exec, s[6:7]
.LBB4_33:
	s_or_b64 exec, exec, s[4:5]
	v_and_b32_e32 v2, 24, v3
	v_cmp_ne_u32_e32 vcc, 0, v2
                                        ; implicit-def: $vgpr22_vgpr23
                                        ; kill: killed $vgpr22_vgpr23
	s_and_saveexec_b64 s[4:5], vcc
	s_cbranch_execz .LBB4_41
; %bb.34:
	s_trap 2
	ds_read_b64 v[5:6], v0
	s_waitcnt vmcnt(0) lgkmcnt(0)
	v_lshlrev_b64 v[7:8], 3, v[20:21]
	v_and_b32_e32 v1, 0xffff, v1
	s_movk_i32 s6, 0xa8
	v_add_co_u32_e32 v5, vcc, v5, v7
	v_addc_co_u32_e32 v6, vcc, v6, v8, vcc
	flat_load_dwordx2 v[5:6], v[5:6]
	s_waitcnt vmcnt(0) lgkmcnt(0)
	v_mad_u64_u32 v[1:2], s[6:7], v1, s6, v[5:6]
	buffer_store_dword v1, off, s[0:3], s33 offset:132 ; 4-byte Folded Spill
	s_nop 0
	buffer_store_dword v2, off, s[0:3], s33 offset:136 ; 4-byte Folded Spill
	flat_load_dwordx4 v[6:9], v[1:2] offset:96
	v_or_b32_e32 v1, 0x100, v3
	s_waitcnt vmcnt(0) lgkmcnt(0)
	v_cmp_eq_u64_e32 vcc, 0, v[6:7]
	v_cndmask_b32_e32 v3, v1, v3, vcc
	v_and_b32_e32 v1, 16, v3
	v_cmp_ne_u32_e32 vcc, 0, v1
                                        ; implicit-def: $vgpr1_vgpr2
                                        ; kill: killed $vgpr1_vgpr2
	s_and_saveexec_b64 s[6:7], vcc
	s_cbranch_execz .LBB4_36
; %bb.35:
	buffer_load_dword v1, off, s[0:3], s33 offset:132 ; 4-byte Folded Reload
	buffer_load_dword v2, off, s[0:3], s33 offset:136 ; 4-byte Folded Reload
	s_waitcnt vmcnt(0)
	flat_load_dwordx2 v[32:33], v[1:2] offset:48
	flat_load_dwordx2 v[20:21], v[1:2] offset:120
	s_waitcnt vmcnt(0) lgkmcnt(0)
	buffer_store_dword v20, off, s[0:3], s33 offset:120 ; 4-byte Folded Spill
	s_nop 0
	buffer_store_dword v21, off, s[0:3], s33 offset:124 ; 4-byte Folded Spill
	flat_load_dwordx2 v[1:2], v[1:2] offset:16
	s_waitcnt vmcnt(0) lgkmcnt(0)
	buffer_store_dword v1, off, s[0:3], s33 offset:80 ; 4-byte Folded Spill
	s_nop 0
	buffer_store_dword v2, off, s[0:3], s33 offset:84 ; 4-byte Folded Spill
.LBB4_36:
	s_or_b64 exec, exec, s[6:7]
	v_and_b32_e32 v1, 8, v3
	v_cmp_ne_u32_e32 vcc, 0, v1
	s_and_saveexec_b64 s[6:7], vcc
	s_cbranch_execz .LBB4_40
; %bb.37:
	v_and_b32_e32 v1, 0x800, v3
	v_cmp_eq_u32_e32 vcc, 0, v1
	s_and_saveexec_b64 s[10:11], vcc
	s_cbranch_execz .LBB4_39
; %bb.38:
	s_trap 2
	buffer_load_dword v1, off, s[0:3], s33 offset:132 ; 4-byte Folded Reload
	buffer_load_dword v2, off, s[0:3], s33 offset:136 ; 4-byte Folded Reload
	s_waitcnt vmcnt(0)
	ds_write_b64 v0, v[1:2]
.LBB4_39:
	s_or_b64 exec, exec, s[10:11]
	buffer_load_dword v1, off, s[0:3], s33 offset:132 ; 4-byte Folded Reload
	buffer_load_dword v2, off, s[0:3], s33 offset:136 ; 4-byte Folded Reload
	s_waitcnt vmcnt(0)
	flat_load_dwordx2 v[32:33], v[1:2] offset:56
	s_waitcnt vmcnt(0) lgkmcnt(0)
	flat_load_dwordx2 v[38:39], v[32:33] glc
	flat_load_dword v5, v[1:2] offset:72
	s_nop 0
	flat_load_dwordx2 v[1:2], v[1:2] offset:16
	s_waitcnt vmcnt(0) lgkmcnt(0)
	buffer_store_dword v5, off, s[0:3], s33 offset:128 ; 4-byte Folded Spill
	buffer_store_dword v1, off, s[0:3], s33 offset:80 ; 4-byte Folded Spill
	s_nop 0
	buffer_store_dword v2, off, s[0:3], s33 offset:84 ; 4-byte Folded Spill
.LBB4_40:
	s_or_b64 exec, exec, s[6:7]
.LBB4_41:
	s_or_b64 exec, exec, s[4:5]
	v_cmp_eq_u32_e64 s[4:5], 0, v48
	s_and_saveexec_b64 s[6:7], s[4:5]
	s_cbranch_execz .LBB4_43
; %bb.42:
	v_mov_b32_e32 v1, v12
	v_mov_b32_e32 v2, v13
	ds_write2_b64 v0, v[1:2], v[10:11] offset1:1
	v_mov_b32_e32 v1, 0
	v_mov_b32_e32 v2, v1
	s_trap 2
	ds_write_b64 v0, v[1:2]
	ds_write_b64 v0, v[18:19]
.LBB4_43:
	s_or_b64 exec, exec, s[6:7]
	v_and_b32_e32 v1, 0x3ffffe00, v17
	v_mov_b32_e32 v2, 0
	buffer_store_dword v1, off, s[0:3], s33 offset:60 ; 4-byte Folded Spill
	s_nop 0
	buffer_store_dword v2, off, s[0:3], s33 offset:64 ; 4-byte Folded Spill
	v_bfe_u32 v1, v15, 1, 30
	v_cmp_ne_u32_e32 vcc, v0, v1
                                        ; implicit-def: $vgpr36_vgpr37
	s_and_saveexec_b64 s[6:7], vcc
	s_xor_b64 s[26:27], exec, s[6:7]
	s_cbranch_execz .LBB4_4169
; %bb.44:
	v_cmp_ne_u32_e32 vcc, v14, v1
                                        ; implicit-def: $vgpr36_vgpr37
	s_and_saveexec_b64 s[6:7], vcc
	s_xor_b64 s[28:29], exec, s[6:7]
	s_cbranch_execz .LBB4_2110
; %bb.45:
	v_mov_b32_e32 v36, 0
	v_cmp_ne_u64_e32 vcc, 0, v[49:50]
	v_mov_b32_e32 v37, 0
	s_and_saveexec_b64 s[40:41], vcc
	s_cbranch_execz .LBB4_2109
; %bb.46:
	buffer_store_dword v53, off, s[0:3], s33 offset:148 ; 4-byte Folded Spill
	s_nop 0
	buffer_store_dword v54, off, s[0:3], s33 offset:152 ; 4-byte Folded Spill
	s_trap 2
	buffer_load_dword v0, off, s[0:3], s33 offset:128 ; 4-byte Folded Reload
	v_lshrrev_b32_e32 v2, 6, v34
	buffer_store_dword v31, off, s[0:3], s33 offset:200 ; 4-byte Folded Spill
	buffer_store_dword v48, off, s[0:3], s33 offset:156 ; 4-byte Folded Spill
	s_ashr_i32 s6, s48, 31
	s_lshr_b32 s6, s6, 24
	s_add_i32 s6, s48, s6
	v_cmp_eq_u32_e32 vcc, 64, v34
	v_mov_b32_e32 v54, 0
	v_mov_b32_e32 v36, 0
	s_mov_b32 s62, -1
	s_ashr_i32 s49, s6, 8
	v_cmp_ge_i32_e64 s[6:7], v48, v34
	v_cmp_ne_u32_e64 s[10:11], 64, v34
	v_mov_b32_e32 v53, 0
	s_movk_i32 s50, 0xffc0
	v_and_b32_e32 v23, 0x3fc0, v34
	s_mov_b64 s[44:45], 0
	v_mov_b32_e32 v55, 0
	v_mov_b32_e32 v37, 0
	s_movk_i32 s51, 0x108
	v_mov_b32_e32 v24, 1
	s_xor_b64 s[46:47], vcc, -1
	s_movk_i32 s52, 0x80
	s_movk_i32 s53, 0x7f
	s_mov_b64 s[56:57], 0x7f800000
	s_mov_b64 s[58:59], 0x43e00001
	s_movk_i32 s54, 0x7a
	s_mov_b64 s[60:61], 0xffffff
	s_mov_b32 s63, 0xffffff
	s_mov_b32 s55, 0x3ffffc00
	v_mov_b32_e32 v25, 0xc8
	v_mov_b32_e32 v26, 0x90
	;; [unrolled: 1-line block ×3, first 2 shown]
	v_bfrev_b32_e32 v56, 1
	s_waitcnt vmcnt(0)
	v_ashrrev_i32_e32 v21, 31, v0
	buffer_load_dword v0, off, s[0:3], s33 offset:160 ; 4-byte Folded Reload
	s_waitcnt vmcnt(0)
	v_cmp_ne_u32_sdwa s[42:43], v34, v0 src0_sel:DWORD src1_sel:WORD_0
	v_and_b32_e32 v0, 63, v31
	v_cmp_eq_u32_e64 s[12:13], 0, v0
	v_ashrrev_i32_e32 v0, 31, v48
	v_lshrrev_b32_e32 v0, 26, v0
	v_add_u32_e32 v0, v48, v0
	v_and_b32_e32 v1, 0xffffffc0, v0
	v_ashrrev_i32_e32 v22, 6, v0
	v_sub_u32_e32 v1, v48, v1
	v_lshlrev_b32_e32 v0, 11, v22
	v_lshl_add_u32 v0, v1, 4, v0
	buffer_store_dword v0, off, s[0:3], s33 offset:224 ; 4-byte Folded Spill
	v_ashrrev_i32_e32 v0, 31, v0
	buffer_store_dword v0, off, s[0:3], s33 offset:228 ; 4-byte Folded Spill
	v_lshlrev_b32_e32 v0, 11, v2
	buffer_store_dword v1, off, s[0:3], s33 offset:220 ; 4-byte Folded Spill
	buffer_store_dword v0, off, s[0:3], s33 offset:112 ; 4-byte Folded Spill
	;; [unrolled: 1-line block ×3, first 2 shown]
	v_lshlrev_b32_e32 v0, 10, v2
	buffer_store_dword v0, off, s[0:3], s33 offset:76 ; 4-byte Folded Spill
	buffer_store_dword v34, off, s[0:3], s33 offset:196 ; 4-byte Folded Spill
	v_cmp_le_i32_e64 s[14:15], v1, v4
	v_cmp_lt_i32_e64 s[16:17], v1, v4
	buffer_load_dword v0, off, s[0:3], s33 offset:120 ; 4-byte Folded Reload
	buffer_load_dword v1, off, s[0:3], s33 offset:124 ; 4-byte Folded Reload
	;; [unrolled: 1-line block ×4, first 2 shown]
	s_waitcnt vmcnt(0)
	v_cmp_eq_u64_e64 s[18:19], 0, v[0:1]
	v_mov_b32_e32 v1, v49
	v_mov_b32_e32 v2, v50
	v_bfrev_b32_e32 v50, 60
	buffer_store_dword v21, off, s[0:3], s33 offset:180 ; 4-byte Folded Spill
	buffer_store_dword v22, off, s[0:3], s33 offset:184 ; 4-byte Folded Spill
	;; [unrolled: 1-line block ×4, first 2 shown]
	s_nop 0
	buffer_store_dword v2, off, s[0:3], s33 offset:100 ; 4-byte Folded Spill
	buffer_store_dword v3, off, s[0:3], s33 offset:104 ; 4-byte Folded Spill
	;; [unrolled: 1-line block ×3, first 2 shown]
	s_branch .LBB4_49
.LBB4_47:                               ;   in Loop: Header=BB4_49 Depth=1
	s_or_b64 exec, exec, s[20:21]
.LBB4_48:                               ;   in Loop: Header=BB4_49 Depth=1
	s_or_b64 exec, exec, s[22:23]
	buffer_load_dword v14, off, s[0:3], s33 offset:60 ; 4-byte Folded Reload
	buffer_load_dword v15, off, s[0:3], s33 offset:64 ; 4-byte Folded Reload
	;; [unrolled: 1-line block ×6, first 2 shown]
	s_waitcnt vmcnt(0)
	v_mov_b32_e32 v1, v10
	v_add_co_u32_e32 v54, vcc, v54, v14
	v_addc_co_u32_e32 v55, vcc, 0, v55, vcc
	v_mov_b32_e32 v2, v11
	v_cmp_ge_u64_e32 vcc, v[54:55], v[1:2]
	s_or_b64 s[44:45], vcc, s[44:45]
	s_andn2_b64 exec, exec, s[44:45]
	s_cbranch_execz .LBB4_2108
.LBB4_49:                               ; =>This Loop Header: Depth=1
                                        ;     Child Loop BB4_58 Depth 2
                                        ;     Child Loop BB4_84 Depth 2
	;; [unrolled: 1-line block ×10, first 2 shown]
	v_sub_co_u32_e32 v0, vcc, v1, v54
	v_subb_co_u32_e32 v1, vcc, v2, v55, vcc
	v_cmp_lt_u64_e32 vcc, v[14:15], v[0:1]
	v_cndmask_b32_e64 v5, v1, 0, vcc
	v_cndmask_b32_e32 v4, v0, v14, vcc
	v_cmp_eq_u64_e32 vcc, 0, v[4:5]
	v_add_u32_e32 v0, 15, v4
	v_and_b32_e32 v0, 0x7ffffff0, v0
	s_or_b64 s[72:73], s[6:7], vcc
	v_mov_b32_e32 v1, v4
	v_max_i32_e32 v14, s49, v0
	s_xor_b64 s[20:21], s[72:73], -1
	v_mov_b32_e32 v0, v53
	buffer_store_dword v1, off, s[0:3], s33 offset:88 ; 4-byte Folded Spill
	s_nop 0
	buffer_store_dword v2, off, s[0:3], s33 offset:92 ; 4-byte Folded Spill
	s_and_saveexec_b64 s[74:75], s[20:21]
	s_cbranch_execz .LBB4_2058
; %bb.50:                               ;   in Loop: Header=BB4_49 Depth=1
	s_and_saveexec_b64 s[20:21], s[4:5]
	s_cbranch_execz .LBB4_52
; %bb.51:                               ;   in Loop: Header=BB4_49 Depth=1
	s_trap 2
	ds_read_b64 v[0:1], v0
	buffer_load_dword v4, off, s[0:3], s33 offset:148 ; 4-byte Folded Reload
	buffer_load_dword v5, off, s[0:3], s33 offset:152 ; 4-byte Folded Reload
	v_mov_b32_e32 v52, v53
	s_waitcnt vmcnt(0) lgkmcnt(0)
	v_add_co_u32_e32 v0, vcc, v0, v4
	v_addc_co_u32_e32 v1, vcc, v1, v5, vcc
	v_add_co_u32_e32 v0, vcc, v0, v54
	v_addc_co_u32_e32 v1, vcc, v1, v55, vcc
	ds_write_b64 v0, v[0:1]
	ds_write_b64 v0, v[52:53]
.LBB4_52:                               ;   in Loop: Header=BB4_49 Depth=1
	s_or_b64 exec, exec, s[20:21]
	buffer_load_dword v0, off, s[0:3], s33 offset:88 ; 4-byte Folded Reload
	buffer_load_dword v1, off, s[0:3], s33 offset:92 ; 4-byte Folded Reload
	s_waitcnt vmcnt(0)
	v_min_u32_e32 v14, v14, v0
	v_and_b32_e32 v0, 12, v3
	v_cmp_ne_u32_e32 vcc, 0, v0
	s_and_saveexec_b64 s[22:23], vcc
	s_cbranch_execz .LBB4_76
; %bb.53:                               ;   in Loop: Header=BB4_49 Depth=1
	v_and_b32_e32 v0, 8, v3
	v_add_co_u32_e32 v1, vcc, v38, v0
	v_addc_co_u32_e32 v2, vcc, 0, v39, vcc
	s_waitcnt lgkmcnt(0)
	v_add_co_u32_e32 v10, vcc, 1, v8
	v_addc_co_u32_e32 v11, vcc, 0, v9, vcc
	v_cmp_lt_u64_e32 vcc, v[1:2], v[10:11]
	s_and_saveexec_b64 s[76:77], vcc
	s_cbranch_execz .LBB4_65
; %bb.54:                               ;   in Loop: Header=BB4_49 Depth=1
	v_and_b32_e32 v1, 64, v3
	s_mov_b32 s64, 0
	v_cmp_eq_u32_e32 vcc, 0, v1
	s_mov_b64 s[78:79], 0
                                        ; implicit-def: $sgpr88_sgpr89
                                        ; implicit-def: $sgpr90_sgpr91
                                        ; implicit-def: $sgpr92_sgpr93
	s_branch .LBB4_58
.LBB4_55:                               ;   in Loop: Header=BB4_58 Depth=2
	s_waitcnt vmcnt(0) lgkmcnt(0)
	v_add_co_u32_e64 v4, s[20:21], v38, v0
	v_addc_co_u32_e64 v5, s[20:21], 0, v39, s[20:21]
	v_cmp_ge_u64_e64 s[20:21], v[4:5], v[10:11]
	s_or_b64 s[34:35], s[34:35], exec
	s_orn2_b64 s[30:31], s[20:21], exec
.LBB4_56:                               ;   in Loop: Header=BB4_58 Depth=2
	s_or_b64 exec, exec, s[38:39]
	s_andn2_b64 s[20:21], s[92:93], exec
	s_and_b64 s[92:93], s[34:35], exec
	s_or_b64 s[92:93], s[20:21], s[92:93]
	s_andn2_b64 s[20:21], s[90:91], exec
	s_and_b64 s[90:91], s[30:31], exec
	s_or_b64 s[90:91], s[20:21], s[90:91]
.LBB4_57:                               ;   in Loop: Header=BB4_58 Depth=2
	s_or_b64 exec, exec, s[94:95]
	s_and_b64 s[20:21], exec, s[90:91]
	s_or_b64 s[78:79], s[20:21], s[78:79]
	s_andn2_b64 s[20:21], s[88:89], exec
	s_and_b64 s[88:89], s[92:93], exec
	s_or_b64 s[88:89], s[20:21], s[88:89]
	s_andn2_b64 exec, exec, s[78:79]
	s_cbranch_execz .LBB4_62
.LBB4_58:                               ;   Parent Loop BB4_49 Depth=1
                                        ; =>  This Inner Loop Header: Depth=2
	s_sleep 1
	s_waitcnt vmcnt(0) lgkmcnt(0)
	flat_load_dwordx2 v[38:39], v[32:33] glc
	s_or_b64 s[92:93], s[92:93], exec
	s_or_b64 s[90:91], s[90:91], exec
                                        ; implicit-def: $vgpr1
	s_and_saveexec_b64 s[94:95], vcc
	s_cbranch_execz .LBB4_57
; %bb.59:                               ;   in Loop: Header=BB4_58 Depth=2
	s_cmpk_lt_i32 s64, 0x270f
	s_cselect_b64 s[36:37], -1, 0
	s_cmpk_gt_i32 s64, 0x270e
	s_mov_b64 s[30:31], -1
	s_cbranch_scc0 .LBB4_61
; %bb.60:                               ;   in Loop: Header=BB4_58 Depth=2
	s_trap 2
	ds_read_b64 v[1:2], v0
	s_andn2_b64 s[36:37], s[36:37], exec
	s_mov_b32 s64, 0
	s_mov_b64 s[34:35], 0
	s_waitcnt vmcnt(0) lgkmcnt(0)
	flat_load_dword v1, v[1:2] glc
	s_waitcnt vmcnt(0) lgkmcnt(0)
	buffer_wbinvl1_vol
	v_cmp_eq_u32_e64 s[20:21], 0, v1
	s_and_b64 s[20:21], s[20:21], exec
	s_or_b64 s[36:37], s[36:37], s[20:21]
	s_and_saveexec_b64 s[38:39], s[36:37]
	s_cbranch_execz .LBB4_56
	s_branch .LBB4_55
.LBB4_61:                               ;   in Loop: Header=BB4_58 Depth=2
	s_add_i32 s64, s64, 1
	s_mov_b64 s[34:35], -1
                                        ; implicit-def: $vgpr1
	s_and_saveexec_b64 s[38:39], s[36:37]
	s_cbranch_execz .LBB4_56
	s_branch .LBB4_55
.LBB4_62:                               ;   in Loop: Header=BB4_49 Depth=1
	s_or_b64 exec, exec, s[78:79]
	s_xor_b64 s[20:21], s[88:89], -1
	s_and_saveexec_b64 s[78:79], s[20:21]
	s_xor_b64 s[20:21], exec, s[78:79]
	s_cbranch_execz .LBB4_64
; %bb.63:                               ;   in Loop: Header=BB4_49 Depth=1
	v_or_b32_e32 v3, 64, v3
	s_waitcnt lgkmcnt(0)
	ds_write_b32 v0, v1
	s_trap 2
.LBB4_64:                               ;   in Loop: Header=BB4_49 Depth=1
	s_or_b64 exec, exec, s[20:21]
.LBB4_65:                               ;   in Loop: Header=BB4_49 Depth=1
	s_or_b64 exec, exec, s[76:77]
	v_and_b32_e32 v1, 0x108, v3
	v_cmp_ne_u32_e32 vcc, s51, v1
	v_and_b32_e32 v1, 7, v8
	;;#ASMSTART
	s_wakeup
	;;#ASMEND
	s_and_saveexec_b64 s[20:21], vcc
	s_xor_b64 s[20:21], exec, s[20:21]
	s_andn2_saveexec_b64 s[20:21], s[20:21]
	s_cbranch_execz .LBB4_67
; %bb.66:                               ;   in Loop: Header=BB4_49 Depth=1
	v_mad_u64_u32 v[4:5], s[76:77], v1, 24, v[6:7]
	v_mov_b32_e32 v15, v53
	flat_store_dwordx2 v[4:5], v[14:15] offset:8
.LBB4_67:                               ;   in Loop: Header=BB4_49 Depth=1
	s_or_b64 exec, exec, s[20:21]
	v_and_b32_e32 v2, 0x100, v3
	v_cmp_ne_u32_e32 vcc, 0, v2
	s_mov_b64 s[20:21], -1
                                        ; implicit-def: $vgpr8_vgpr9
	s_and_saveexec_b64 s[76:77], vcc
	s_cbranch_execz .LBB4_71
; %bb.68:                               ;   in Loop: Header=BB4_49 Depth=1
	v_mad_u64_u32 v[12:13], s[20:21], v1, 24, v[6:7]
                                        ; implicit-def: $vgpr8_vgpr9
	v_mov_b32_e32 v2, v13
	v_mad_u64_u32 v[4:5], s[20:21], v53, 24, v[2:3]
	v_mov_b32_e32 v13, v4
	flat_load_dword v2, v[12:13]
	s_waitcnt vmcnt(0) lgkmcnt(0)
	v_cmp_ne_u32_e32 vcc, 1, v2
	v_cmp_eq_u32_e64 s[20:21], 1, v2
	s_and_saveexec_b64 s[78:79], s[20:21]
	s_cbranch_execz .LBB4_70
; %bb.69:                               ;   in Loop: Header=BB4_49 Depth=1
	flat_load_dword v8, v[12:13] offset:4 glc
	s_waitcnt vmcnt(0) lgkmcnt(0)
	v_ashrrev_i32_e32 v9, 31, v8
.LBB4_70:                               ;   in Loop: Header=BB4_49 Depth=1
	s_or_b64 exec, exec, s[78:79]
	s_orn2_b64 s[20:21], vcc, exec
.LBB4_71:                               ;   in Loop: Header=BB4_49 Depth=1
	s_or_b64 exec, exec, s[76:77]
	s_and_saveexec_b64 s[76:77], s[20:21]
	s_cbranch_execz .LBB4_73
; %bb.72:                               ;   in Loop: Header=BB4_49 Depth=1
	buffer_load_dword v5, off, s[0:3], s33 offset:128 ; 4-byte Folded Reload
	v_mul_lo_u32 v4, v1, v21
	s_waitcnt vmcnt(0)
	v_mul_lo_u32 v2, v53, v5
	v_mad_u64_u32 v[8:9], s[20:21], v1, v5, 0
	v_add3_u32 v9, v9, v4, v2
.LBB4_73:                               ;   in Loop: Header=BB4_49 Depth=1
	s_or_b64 exec, exec, s[76:77]
	v_cmp_eq_u32_e32 vcc, 0, v0
	buffer_load_dword v0, off, s[0:3], s33 offset:80 ; 4-byte Folded Reload
	buffer_load_dword v1, off, s[0:3], s33 offset:84 ; 4-byte Folded Reload
	v_cndmask_b32_e32 v2, v25, v26, vcc
	s_waitcnt vmcnt(0)
	v_add_co_u32_e32 v0, vcc, v0, v8
	v_addc_co_u32_e32 v1, vcc, v1, v9, vcc
	v_add_u32_e32 v2, v0, v2
	ds_write_b64 v2, v[0:1] offset:584
	v_and_b32_e32 v0, 0x2000, v3
	v_cmp_ne_u32_e32 vcc, 0, v0
	s_and_saveexec_b64 s[20:21], vcc
	s_cbranch_execz .LBB4_75
; %bb.74:                               ;   in Loop: Header=BB4_49 Depth=1
	ds_read_b64 v[0:1], v0 offset:872
	s_waitcnt lgkmcnt(0)
	v_add_co_u32_e32 v0, vcc, 1, v0
	v_addc_co_u32_e32 v1, vcc, 0, v1, vcc
	ds_write_b64 v0, v[0:1] offset:872
.LBB4_75:                               ;   in Loop: Header=BB4_49 Depth=1
	s_or_b64 exec, exec, s[20:21]
	v_mov_b32_e32 v8, v10
	v_mov_b32_e32 v9, v11
.LBB4_76:                               ;   in Loop: Header=BB4_49 Depth=1
	s_or_b64 exec, exec, s[22:23]
	s_and_saveexec_b64 s[20:21], s[10:11]
	s_cbranch_execz .LBB4_95
; %bb.77:                               ;   in Loop: Header=BB4_49 Depth=1
	s_and_saveexec_b64 s[22:23], s[42:43]
	s_xor_b64 s[22:23], exec, s[22:23]
	s_cbranch_execz .LBB4_92
; %bb.78:                               ;   in Loop: Header=BB4_49 Depth=1
	s_and_saveexec_b64 s[76:77], s[12:13]
	s_cbranch_execz .LBB4_91
; %bb.79:                               ;   in Loop: Header=BB4_49 Depth=1
	s_mov_b64 s[88:89], exec
	v_mbcnt_lo_u32_b32 v0, s88, 0
	v_mbcnt_hi_u32_b32 v0, s89, v0
	v_cmp_eq_u32_e32 vcc, 0, v0
	s_waitcnt lgkmcnt(0)
	buffer_wbinvl1_vol
	s_and_saveexec_b64 s[78:79], vcc
	s_cbranch_execz .LBB4_81
; %bb.80:                               ;   in Loop: Header=BB4_49 Depth=1
	s_bcnt1_i32_b64 s88, s[88:89]
	v_mov_b32_e32 v52, s88
	ds_add_u64 v0, v[52:53]
	s_trap 2
.LBB4_81:                               ;   in Loop: Header=BB4_49 Depth=1
	s_or_b64 exec, exec, s[78:79]
	s_trap 2
	ds_read_b64 v[0:1], v0
	s_waitcnt lgkmcnt(0)
	buffer_load_dword v2, off, s[0:3], s33 offset:68 ; 4-byte Folded Reload
	s_waitcnt vmcnt(0)
	v_add_co_u32_e32 v36, vcc, v36, v2
	v_addc_co_u32_e32 v37, vcc, 0, v37, vcc
	v_cmp_lt_u64_e32 vcc, v[0:1], v[36:37]
	s_and_saveexec_b64 s[78:79], vcc
	s_cbranch_execz .LBB4_90
; %bb.82:                               ;   in Loop: Header=BB4_49 Depth=1
	s_mov_b32 s34, 0
	s_mov_b64 s[88:89], 0
                                        ; implicit-def: $sgpr90_sgpr91
                                        ; implicit-def: $sgpr92_sgpr93
	s_branch .LBB4_84
.LBB4_83:                               ;   in Loop: Header=BB4_84 Depth=2
	s_or_b64 exec, exec, s[30:31]
	s_and_b64 s[94:95], exec, vcc
	s_or_b64 s[88:89], s[94:95], s[88:89]
	s_andn2_b64 s[90:91], s[90:91], exec
	s_and_b64 s[94:95], s[92:93], exec
	s_or_b64 s[90:91], s[90:91], s[94:95]
	s_andn2_b64 exec, exec, s[88:89]
	s_cbranch_execz .LBB4_88
.LBB4_84:                               ;   Parent Loop BB4_49 Depth=1
                                        ; =>  This Inner Loop Header: Depth=2
	s_add_i32 s34, s34, 1
	s_cmpk_lg_i32 s34, 0x2710
	s_cselect_b64 s[94:95], -1, 0
	s_and_b64 vcc, exec, s[94:95]
	s_cbranch_vccz .LBB4_86
; %bb.85:                               ;   in Loop: Header=BB4_84 Depth=2
	s_mov_b64 vcc, -1
	s_or_b64 s[92:93], s[92:93], exec
	s_and_saveexec_b64 s[30:31], s[94:95]
	s_cbranch_execz .LBB4_83
	s_branch .LBB4_87
.LBB4_86:                               ;   in Loop: Header=BB4_84 Depth=2
	s_trap 2
	ds_read_b64 v[0:1], v0
	s_andn2_b64 s[94:95], s[94:95], exec
	s_mov_b32 s34, 0
	s_waitcnt lgkmcnt(0)
	flat_load_dword v0, v[0:1] glc
	s_waitcnt vmcnt(0) lgkmcnt(0)
	buffer_wbinvl1_vol
	v_cmp_eq_u32_e32 vcc, 0, v0
	s_and_b64 vcc, vcc, exec
	s_or_b64 s[94:95], s[94:95], vcc
	s_mov_b64 vcc, -1
	s_or_b64 s[92:93], s[92:93], exec
	s_and_saveexec_b64 s[30:31], s[94:95]
	s_cbranch_execz .LBB4_83
.LBB4_87:                               ;   in Loop: Header=BB4_84 Depth=2
	s_sleep 1
	s_trap 2
	ds_read_b64 v[0:1], v0
	s_waitcnt lgkmcnt(0)
	s_andn2_b64 s[92:93], s[92:93], exec
	v_cmp_ge_u64_e32 vcc, v[0:1], v[36:37]
	s_orn2_b64 vcc, vcc, exec
	s_branch .LBB4_83
.LBB4_88:                               ;   in Loop: Header=BB4_49 Depth=1
	s_or_b64 exec, exec, s[88:89]
	s_and_saveexec_b64 s[88:89], s[90:91]
	s_xor_b64 s[88:89], exec, s[88:89]
	s_cbranch_execz .LBB4_90
; %bb.89:                               ;   in Loop: Header=BB4_49 Depth=1
	ds_write_b32 v0, v24
	s_trap 2
.LBB4_90:                               ;   in Loop: Header=BB4_49 Depth=1
	s_or_b64 exec, exec, s[78:79]
	;;#ASMSTART
	s_wakeup
	;;#ASMEND
.LBB4_91:                               ;   in Loop: Header=BB4_49 Depth=1
	s_or_b64 exec, exec, s[76:77]
.LBB4_92:                               ;   in Loop: Header=BB4_49 Depth=1
	s_andn2_saveexec_b64 s[22:23], s[22:23]
	s_cbranch_execz .LBB4_94
; %bb.93:                               ;   in Loop: Header=BB4_49 Depth=1
	s_waitcnt lgkmcnt(0)
	buffer_wbinvl1_vol
	s_barrier
.LBB4_94:                               ;   in Loop: Header=BB4_49 Depth=1
	s_or_b64 exec, exec, s[22:23]
.LBB4_95:                               ;   in Loop: Header=BB4_49 Depth=1
	s_or_b64 exec, exec, s[20:21]
	s_trap 2
	ds_read_b32 v0, v0
	v_and_b32_e32 v1, 0x4000, v3
	v_cmp_ne_u32_e32 vcc, 0, v1
	s_and_b64 s[22:23], s[46:47], vcc
	s_and_saveexec_b64 s[20:21], s[22:23]
	s_cbranch_execz .LBB4_114
; %bb.96:                               ;   in Loop: Header=BB4_49 Depth=1
	s_and_saveexec_b64 s[22:23], s[42:43]
	s_xor_b64 s[22:23], exec, s[22:23]
	s_cbranch_execz .LBB4_111
; %bb.97:                               ;   in Loop: Header=BB4_49 Depth=1
	s_and_saveexec_b64 s[76:77], s[12:13]
	s_cbranch_execz .LBB4_110
; %bb.98:                               ;   in Loop: Header=BB4_49 Depth=1
	s_mov_b64 s[88:89], exec
	v_mbcnt_lo_u32_b32 v1, s88, 0
	v_mbcnt_hi_u32_b32 v1, s89, v1
	v_cmp_eq_u32_e32 vcc, 0, v1
	s_waitcnt lgkmcnt(0)
	buffer_wbinvl1_vol
	s_and_saveexec_b64 s[78:79], vcc
	s_cbranch_execz .LBB4_100
; %bb.99:                               ;   in Loop: Header=BB4_49 Depth=1
	s_bcnt1_i32_b64 s88, s[88:89]
	v_mov_b32_e32 v52, s88
	ds_add_u64 v0, v[52:53]
	s_trap 2
.LBB4_100:                              ;   in Loop: Header=BB4_49 Depth=1
	s_or_b64 exec, exec, s[78:79]
	s_trap 2
	ds_read_b64 v[1:2], v0
	s_waitcnt lgkmcnt(0)
	buffer_load_dword v4, off, s[0:3], s33 offset:68 ; 4-byte Folded Reload
	s_waitcnt vmcnt(0)
	v_add_co_u32_e32 v36, vcc, v36, v4
	v_addc_co_u32_e32 v37, vcc, 0, v37, vcc
	v_cmp_lt_u64_e32 vcc, v[1:2], v[36:37]
	s_and_saveexec_b64 s[78:79], vcc
	s_cbranch_execz .LBB4_109
; %bb.101:                              ;   in Loop: Header=BB4_49 Depth=1
	s_mov_b32 s34, 0
	s_mov_b64 s[88:89], 0
                                        ; implicit-def: $sgpr90_sgpr91
                                        ; implicit-def: $sgpr92_sgpr93
	s_branch .LBB4_103
.LBB4_102:                              ;   in Loop: Header=BB4_103 Depth=2
	s_or_b64 exec, exec, s[30:31]
	s_and_b64 s[94:95], exec, vcc
	s_or_b64 s[88:89], s[94:95], s[88:89]
	s_andn2_b64 s[90:91], s[90:91], exec
	s_and_b64 s[94:95], s[92:93], exec
	s_or_b64 s[90:91], s[90:91], s[94:95]
	s_andn2_b64 exec, exec, s[88:89]
	s_cbranch_execz .LBB4_107
.LBB4_103:                              ;   Parent Loop BB4_49 Depth=1
                                        ; =>  This Inner Loop Header: Depth=2
	s_add_i32 s34, s34, 1
	s_cmpk_lg_i32 s34, 0x2710
	s_cselect_b64 s[94:95], -1, 0
	s_and_b64 vcc, exec, s[94:95]
	s_cbranch_vccz .LBB4_105
; %bb.104:                              ;   in Loop: Header=BB4_103 Depth=2
	s_mov_b64 vcc, -1
	s_or_b64 s[92:93], s[92:93], exec
	s_and_saveexec_b64 s[30:31], s[94:95]
	s_cbranch_execz .LBB4_102
	s_branch .LBB4_106
.LBB4_105:                              ;   in Loop: Header=BB4_103 Depth=2
	s_trap 2
	ds_read_b64 v[1:2], v0
	s_andn2_b64 s[94:95], s[94:95], exec
	s_mov_b32 s34, 0
	s_waitcnt lgkmcnt(0)
	flat_load_dword v1, v[1:2] glc
	s_waitcnt vmcnt(0) lgkmcnt(0)
	buffer_wbinvl1_vol
	v_cmp_eq_u32_e32 vcc, 0, v1
	s_and_b64 vcc, vcc, exec
	s_or_b64 s[94:95], s[94:95], vcc
	s_mov_b64 vcc, -1
	s_or_b64 s[92:93], s[92:93], exec
	s_and_saveexec_b64 s[30:31], s[94:95]
	s_cbranch_execz .LBB4_102
.LBB4_106:                              ;   in Loop: Header=BB4_103 Depth=2
	s_sleep 1
	s_trap 2
	ds_read_b64 v[1:2], v0
	s_waitcnt lgkmcnt(0)
	s_andn2_b64 s[92:93], s[92:93], exec
	v_cmp_ge_u64_e32 vcc, v[1:2], v[36:37]
	s_orn2_b64 vcc, vcc, exec
	s_branch .LBB4_102
.LBB4_107:                              ;   in Loop: Header=BB4_49 Depth=1
	s_or_b64 exec, exec, s[88:89]
	s_and_saveexec_b64 s[88:89], s[90:91]
	s_xor_b64 s[88:89], exec, s[88:89]
	s_cbranch_execz .LBB4_109
; %bb.108:                              ;   in Loop: Header=BB4_49 Depth=1
	ds_write_b32 v0, v24
	s_trap 2
.LBB4_109:                              ;   in Loop: Header=BB4_49 Depth=1
	s_or_b64 exec, exec, s[78:79]
	;;#ASMSTART
	s_wakeup
	;;#ASMEND
.LBB4_110:                              ;   in Loop: Header=BB4_49 Depth=1
	s_or_b64 exec, exec, s[76:77]
.LBB4_111:                              ;   in Loop: Header=BB4_49 Depth=1
	s_andn2_saveexec_b64 s[22:23], s[22:23]
	s_cbranch_execz .LBB4_113
; %bb.112:                              ;   in Loop: Header=BB4_49 Depth=1
	s_waitcnt lgkmcnt(0)
	buffer_wbinvl1_vol
	s_barrier
.LBB4_113:                              ;   in Loop: Header=BB4_49 Depth=1
	s_or_b64 exec, exec, s[22:23]
.LBB4_114:                              ;   in Loop: Header=BB4_49 Depth=1
	s_or_b64 exec, exec, s[20:21]
	s_trap 2
	s_waitcnt lgkmcnt(0)
	ds_read_b64 v[4:5], v0
	s_waitcnt lgkmcnt(0)
	v_cmp_eq_u64_e32 vcc, 0, v[4:5]
	s_cbranch_vccnz .LBB4_122
; %bb.115:                              ;   in Loop: Header=BB4_49 Depth=1
	s_trap 2
	ds_read_b64 v[59:60], v0
	s_waitcnt lgkmcnt(0)
	v_cmp_eq_u64_e32 vcc, 0, v[59:60]
	s_cbranch_vccnz .LBB4_122
; %bb.116:                              ;   in Loop: Header=BB4_49 Depth=1
	s_mov_b64 s[22:23], -1
	s_and_saveexec_b64 s[20:21], s[14:15]
	s_cbranch_execz .LBB4_118
; %bb.117:                              ;   in Loop: Header=BB4_49 Depth=1
	ds_read_b32 v1, v0 offset:720
	s_waitcnt lgkmcnt(0)
	v_and_b32_e32 v1, 15, v1
	v_cmp_eq_u32_e32 vcc, 0, v1
	s_orn2_b64 s[22:23], vcc, exec
.LBB4_118:                              ;   in Loop: Header=BB4_49 Depth=1
	s_or_b64 exec, exec, s[20:21]
	s_and_saveexec_b64 s[20:21], s[16:17]
	s_cbranch_execz .LBB4_120
; %bb.119:                              ;   in Loop: Header=BB4_49 Depth=1
	ds_read_b32 v1, v0 offset:784
	s_waitcnt lgkmcnt(0)
	v_and_b32_e32 v1, 15, v1
	v_cmp_eq_u32_e32 vcc, 0, v1
	s_and_b64 s[76:77], s[22:23], vcc
	s_andn2_b64 s[22:23], s[22:23], exec
	s_and_b64 s[76:77], s[76:77], exec
	s_or_b64 s[22:23], s[22:23], s[76:77]
.LBB4_120:                              ;   in Loop: Header=BB4_49 Depth=1
	s_or_b64 exec, exec, s[20:21]
	v_cmp_eq_u32_e32 vcc, 0, v0
	v_mov_b32_e32 v0, v14
	buffer_store_dword v0, off, s[0:3], s33 offset:140 ; 4-byte Folded Spill
	s_nop 0
	buffer_store_dword v1, off, s[0:3], s33 offset:144 ; 4-byte Folded Spill
	buffer_load_dword v40, off, s[0:3], s33 offset:156 ; 4-byte Folded Reload
	s_xor_b64 s[22:23], s[22:23], -1
	v_cndmask_b32_e32 v57, 0, v14, vcc
	v_cndmask_b32_e64 v0, 0, 1, s[22:23]
	s_mov_b64 s[20:21], -1
	v_cmp_ne_u32_e32 vcc, 0, v0
	v_mov_b32_e32 v14, 0
	v_mov_b32_e32 v2, v57
	;; [unrolled: 1-line block ×3, first 2 shown]
	s_cbranch_vccz .LBB4_123
; %bb.121:                              ;   in Loop: Header=BB4_49 Depth=1
	s_and_saveexec_b64 s[22:23], s[20:21]
	s_cbranch_execnz .LBB4_1480
	s_branch .LBB4_2032
.LBB4_122:                              ;   in Loop: Header=BB4_49 Depth=1
	s_mov_b64 s[20:21], 0
	s_and_saveexec_b64 s[22:23], s[10:11]
	s_cbranch_execnz .LBB4_2033
	s_branch .LBB4_2051
.LBB4_123:                              ;   in Loop: Header=BB4_49 Depth=1
	v_lshrrev_b32_e32 v0, 11, v57
	v_sub_u32_e32 v42, v0, v22
	v_cmp_lt_i32_e32 vcc, 0, v42
	s_mov_b64 s[22:23], exec
	s_and_b64 s[20:21], s[22:23], vcc
	buffer_store_dword v4, off, s[0:3], s33 offset:172 ; 4-byte Folded Spill
	s_nop 0
	buffer_store_dword v5, off, s[0:3], s33 offset:176 ; 4-byte Folded Spill
	s_mov_b64 exec, s[20:21]
	s_cbranch_execz .LBB4_1023
; %bb.124:                              ;   in Loop: Header=BB4_49 Depth=1
	buffer_store_dword v57, off, s[0:3], s33 offset:164 ; 4-byte Folded Spill
	s_trap 2
	buffer_load_dword v2, off, s[0:3], s33 offset:224 ; 4-byte Folded Reload
	ds_read_b64 v[0:1], v0
	s_mov_b64 s[76:77], 0
	s_waitcnt vmcnt(0)
	v_add_co_u32_e32 v46, vcc, v4, v2
	buffer_load_dword v4, off, s[0:3], s33 offset:228 ; 4-byte Folded Reload
	s_waitcnt vmcnt(0)
	v_addc_co_u32_e32 v47, vcc, v5, v4, vcc
	s_waitcnt lgkmcnt(0)
	v_add_co_u32_e32 v56, vcc, v0, v2
	v_addc_co_u32_e32 v57, vcc, v1, v4, vcc
	v_add_co_u32_e32 v58, vcc, v59, v2
	buffer_store_dword v59, off, s[0:3], s33 offset:212 ; 4-byte Folded Spill
	s_nop 0
	buffer_store_dword v60, off, s[0:3], s33 offset:216 ; 4-byte Folded Spill
	v_addc_co_u32_e32 v59, vcc, v60, v4, vcc
	s_branch .LBB4_126
.LBB4_125:                              ;   in Loop: Header=BB4_126 Depth=2
	s_or_b64 exec, exec, s[20:21]
	v_lshl_or_b32 v11, v44, 8, v29
	v_lshlrev_b32_e32 v12, 16, v30
	v_lshlrev_b32_e32 v13, 24, v45
	v_or3_b32 v12, v11, v12, v13
	buffer_load_dword v11, off, s[0:3], s33 offset:72 ; 4-byte Folded Reload
	v_lshlrev_b32_e32 v13, 16, v27
	v_lshlrev_b32_e32 v2, 24, v2
	;; [unrolled: 1-line block ×3, first 2 shown]
	v_lshl_or_b32 v15, v35, 8, v34
	v_lshlrev_b32_e32 v16, 24, v19
	v_lshlrev_b32_e32 v0, 24, v0
	;; [unrolled: 1-line block ×3, first 2 shown]
	s_waitcnt vmcnt(0)
	v_lshl_or_b32 v11, v11, 8, v40
	v_or3_b32 v11, v11, v13, v2
	v_lshl_or_b32 v2, v61, 8, v60
	v_lshlrev_b32_e32 v13, 16, v62
	v_or3_b32 v13, v2, v13, v14
	v_lshlrev_b32_e32 v2, 24, v21
	v_lshlrev_b32_e32 v14, 16, v22
	v_or3_b32 v14, v15, v14, v2
	v_lshl_or_b32 v2, v41, 8, v31
	v_lshlrev_b32_e32 v15, 16, v18
	v_or3_b32 v16, v2, v15, v16
	v_lshl_or_b32 v2, v24, 8, v23
	;; [unrolled: 3-line block ×3, first 2 shown]
	v_lshlrev_b32_e32 v2, 16, v43
	v_or3_b32 v17, v0, v2, v1
	v_lshlrev_b32_e32 v0, 24, v10
	v_lshlrev_b32_e32 v1, 16, v5
	v_lshl_or_b32 v2, v4, 8, v26
	v_or3_b32 v18, v2, v1, v0
	global_store_dwordx4 v[58:59], v[11:14], off glc slc
	global_store_dwordx4 v[58:59], v[15:18], off offset:1024 glc slc
	buffer_load_dword v1, off, s[0:3], s33 offset:112 ; 4-byte Folded Reload
	buffer_load_dword v0, off, s[0:3], s33 offset:68 ; 4-byte Folded Reload
	s_waitcnt vmcnt(1)
	v_add_co_u32_e32 v46, vcc, v46, v1
	v_addc_co_u32_e32 v47, vcc, 0, v47, vcc
	v_add_co_u32_e32 v56, vcc, v56, v1
	v_addc_co_u32_e32 v57, vcc, 0, v57, vcc
	s_waitcnt vmcnt(0)
	v_sub_u32_e32 v42, v42, v0
	v_cmp_gt_i32_e32 vcc, 1, v42
	s_or_b64 s[76:77], vcc, s[76:77]
	v_add_co_u32_e32 v58, vcc, v58, v1
	v_addc_co_u32_e32 v59, vcc, 0, v59, vcc
	s_andn2_b64 exec, exec, s[76:77]
	s_cbranch_execz .LBB4_1022
.LBB4_126:                              ;   Parent Loop BB4_49 Depth=1
                                        ; =>  This Inner Loop Header: Depth=2
	global_load_dwordx4 v[22:25], v[46:47], off glc slc
	global_load_dwordx4 v[14:17], v[46:47], off offset:1024 glc slc
	global_load_dwordx4 v[18:21], v[56:57], off glc slc
	global_load_dwordx4 v[10:13], v[56:57], off offset:1024 glc slc
	v_mov_b32_e32 v0, 0
	v_mov_b32_e32 v1, 0
	s_waitcnt vmcnt(3)
	v_cmp_ne_u16_sdwa s[78:79], v22, v53 src0_sel:BYTE_0 src1_sel:DWORD
	s_and_saveexec_b64 s[20:21], s[78:79]
	s_cbranch_execz .LBB4_132
; %bb.127:                              ;   in Loop: Header=BB4_126 Depth=2
	v_cmp_ne_u16_sdwa s[88:89], v22, s52 src0_sel:BYTE_0 src1_sel:DWORD
	v_bfrev_b32_e32 v1, 1
	s_and_saveexec_b64 s[78:79], s[88:89]
	s_cbranch_execz .LBB4_131
; %bb.128:                              ;   in Loop: Header=BB4_126 Depth=2
	v_and_b32_e32 v2, 0x7f, v22
	v_cmp_ne_u32_e32 vcc, s53, v2
	v_mov_b32_e32 v1, 0x7f800001
	s_and_saveexec_b64 s[88:89], vcc
	s_cbranch_execz .LBB4_130
; %bb.129:                              ;   in Loop: Header=BB4_126 Depth=2
	v_and_b32_e32 v1, 7, v22
	v_ffbh_u32_e32 v1, v1
	v_min_u32_e32 v1, 32, v1
	v_lshrrev_b32_e32 v4, 3, v2
	v_cmp_gt_u32_e32 vcc, 8, v2
	v_subrev_u32_e32 v2, 28, v1
	v_sub_u32_e32 v1, 29, v1
	v_cndmask_b32_e32 v4, v4, v1, vcc
	v_cndmask_b32_e32 v1, 0, v2, vcc
	v_lshlrev_b64 v[1:2], v1, v[22:23]
	v_lshlrev_b32_e32 v2, 24, v22
	v_lshlrev_b32_e32 v1, 20, v1
	v_and_b32_e32 v1, 0x700000, v1
	v_and_b32_e32 v2, 0x80000000, v2
	v_lshl_add_u32 v4, v4, 23, v50
	v_or3_b32 v1, v2, v4, v1
.LBB4_130:                              ;   in Loop: Header=BB4_126 Depth=2
	s_or_b64 exec, exec, s[88:89]
.LBB4_131:                              ;   in Loop: Header=BB4_126 Depth=2
	s_or_b64 exec, exec, s[78:79]
.LBB4_132:                              ;   in Loop: Header=BB4_126 Depth=2
	s_or_b64 exec, exec, s[20:21]
	s_waitcnt vmcnt(1)
	v_cmp_ne_u16_sdwa s[78:79], v18, v53 src0_sel:BYTE_0 src1_sel:DWORD
	s_and_saveexec_b64 s[20:21], s[78:79]
	s_cbranch_execz .LBB4_138
; %bb.133:                              ;   in Loop: Header=BB4_126 Depth=2
	v_cmp_ne_u16_sdwa s[88:89], v18, s52 src0_sel:BYTE_0 src1_sel:DWORD
	v_bfrev_b32_e32 v0, 1
	s_and_saveexec_b64 s[78:79], s[88:89]
	s_cbranch_execz .LBB4_137
; %bb.134:                              ;   in Loop: Header=BB4_126 Depth=2
	v_and_b32_e32 v2, 0x7f, v18
	v_cmp_ne_u32_e32 vcc, s53, v2
	v_mov_b32_e32 v0, 0x7f800001
	s_and_saveexec_b64 s[88:89], vcc
	s_cbranch_execz .LBB4_136
; %bb.135:                              ;   in Loop: Header=BB4_126 Depth=2
	v_and_b32_e32 v0, 7, v18
	v_ffbh_u32_e32 v0, v0
	v_min_u32_e32 v0, 32, v0
	v_lshrrev_b32_e32 v4, 3, v2
	v_cmp_gt_u32_e32 vcc, 8, v2
	v_subrev_u32_e32 v2, 28, v0
	v_sub_u32_e32 v0, 29, v0
	v_cndmask_b32_e32 v2, 0, v2, vcc
	v_cndmask_b32_e32 v0, v4, v0, vcc
	v_lshlrev_b64 v[4:5], v2, v[18:19]
	v_lshl_add_u32 v0, v0, 23, v50
	v_lshlrev_b32_e32 v2, 20, v4
	v_lshlrev_b32_e32 v4, 24, v18
	v_and_b32_e32 v2, 0x700000, v2
	v_and_b32_e32 v4, 0x80000000, v4
	v_or3_b32 v0, v4, v0, v2
.LBB4_136:                              ;   in Loop: Header=BB4_126 Depth=2
	s_or_b64 exec, exec, s[88:89]
.LBB4_137:                              ;   in Loop: Header=BB4_126 Depth=2
	s_or_b64 exec, exec, s[78:79]
.LBB4_138:                              ;   in Loop: Header=BB4_126 Depth=2
	s_or_b64 exec, exec, s[20:21]
	v_add_f32_e32 v1, v1, v0
	v_and_b32_e32 v52, 0x7f800000, v1
	v_cmp_ne_u64_e32 vcc, s[56:57], v[52:53]
                                        ; implicit-def: $vgpr40
	s_and_saveexec_b64 s[20:21], vcc
	s_xor_b64 s[78:79], exec, s[20:21]
	s_cbranch_execz .LBB4_152
; %bb.139:                              ;   in Loop: Header=BB4_126 Depth=2
	v_and_b32_e32 v52, 0x7fffffff, v1
	v_cmp_gt_u64_e32 vcc, s[58:59], v[52:53]
	v_and_b32_sdwa v0, v1, s52 dst_sel:DWORD dst_unused:UNUSED_PAD src0_sel:BYTE_3 src1_sel:DWORD
                                        ; implicit-def: $vgpr40
	s_and_saveexec_b64 s[20:21], vcc
	s_xor_b64 s[88:89], exec, s[20:21]
	s_cbranch_execz .LBB4_149
; %bb.140:                              ;   in Loop: Header=BB4_126 Depth=2
	v_mov_b32_e32 v40, 0
	v_cmp_ne_u32_e32 vcc, 0, v1
	s_and_saveexec_b64 s[90:91], vcc
	s_cbranch_execz .LBB4_148
; %bb.141:                              ;   in Loop: Header=BB4_126 Depth=2
	v_and_b32_e32 v4, 0x7fffff, v1
	v_bfe_u32 v1, v1, 23, 8
	v_cmp_gt_u32_e64 s[20:21], s54, v1
	v_sub_u32_e32 v2, 0x79, v1
	v_cmp_eq_u32_e32 vcc, 0, v1
	v_cndmask_b32_e64 v2, 0, v2, s[20:21]
	v_mov_b32_e32 v26, 0x78
	v_or_b32_e32 v5, 0x800000, v4
	v_cndmask_b32_e32 v2, v2, v26, vcc
	v_cndmask_b32_e32 v52, v5, v4, vcc
	v_add_u32_e32 v4, 20, v2
	v_lshlrev_b64 v[4:5], v4, -1
	v_add_u32_e32 v26, 19, v2
	v_lshlrev_b64 v[26:27], v26, 1
	v_lshrrev_b64 v[60:61], v2, v[52:53]
	v_bfi_b32 v5, v5, 0, 0
	v_bfi_b32 v4, v4, 0, v52
	v_cmp_eq_u64_e64 s[20:21], v[4:5], v[26:27]
	v_mov_b32_e32 v62, v61
	v_mov_b32_e32 v61, v60
	s_and_saveexec_b64 s[92:93], s[20:21]
; %bb.142:                              ;   in Loop: Header=BB4_126 Depth=2
	v_bfe_u32 v4, v60, 20, 1
	v_add_co_u32_e64 v4, s[20:21], v60, v4
	v_add_co_u32_e64 v61, s[20:21], -1, v4
; %bb.143:                              ;   in Loop: Header=BB4_126 Depth=2
	s_or_b64 exec, exec, s[92:93]
	v_add_u32_e32 v1, 0xffffff81, v1
	v_mov_b32_e32 v4, 0xffffff82
	v_cndmask_b32_e32 v1, v1, v4, vcc
	v_lshrrev_b32_e32 v4, 23, v60
	v_add3_u32 v4, v2, v1, v4
	v_add_u32_e32 v2, 6, v4
	v_and_b32_e32 v1, 0xfffff, v61
	v_add_u32_e32 v52, v1, v60
	v_cmp_ne_u32_e32 vcc, 0, v2
                                        ; implicit-def: $vgpr60_vgpr61
                                        ; implicit-def: $vgpr1
	s_and_saveexec_b64 s[20:21], vcc
	s_xor_b64 s[20:21], exec, s[20:21]
; %bb.144:                              ;   in Loop: Header=BB4_126 Depth=2
	v_cmp_lt_u64_e32 vcc, s[60:61], v[52:53]
	v_add_u32_e32 v1, 7, v4
	v_cndmask_b32_e32 v1, v2, v1, vcc
	v_cndmask_b32_e64 v2, 0, 1, vcc
	v_lshrrev_b64 v[60:61], v2, v[52:53]
; %bb.145:                              ;   in Loop: Header=BB4_126 Depth=2
	s_andn2_saveexec_b64 s[20:21], s[20:21]
; %bb.146:                              ;   in Loop: Header=BB4_126 Depth=2
	v_mov_b32_e32 v61, v53
	v_bfe_u32 v1, v52, 23, 1
	v_mov_b32_e32 v60, v52
; %bb.147:                              ;   in Loop: Header=BB4_126 Depth=2
	s_or_b64 exec, exec, s[20:21]
	v_lshrrev_b64 v[4:5], 20, v[60:61]
	v_cmp_gt_i32_e32 vcc, 16, v1
	v_cndmask_b32_e32 v5, 0, v5, vcc
	v_cndmask_b32_e32 v4, 7, v4, vcc
	v_cmp_eq_u32_e32 vcc, 0, v1
	v_min_i32_e32 v1, 15, v1
	v_cmp_eq_u64_e64 s[20:21], 0, v[4:5]
	v_lshlrev_b32_e32 v1, 3, v1
	v_and_b32_e32 v1, 0xf8, v1
	v_and_or_b32 v1, v4, 7, v1
	s_and_b64 s[20:21], vcc, s[20:21]
	v_cndmask_b32_e64 v1, v1, 0, s[20:21]
	v_or_b32_e32 v40, v1, v0
.LBB4_148:                              ;   in Loop: Header=BB4_126 Depth=2
	s_or_b64 exec, exec, s[90:91]
                                        ; implicit-def: $vgpr0
.LBB4_149:                              ;   in Loop: Header=BB4_126 Depth=2
	s_andn2_saveexec_b64 s[20:21], s[88:89]
; %bb.150:                              ;   in Loop: Header=BB4_126 Depth=2
	v_or_b32_e32 v40, 0x7e, v0
; %bb.151:                              ;   in Loop: Header=BB4_126 Depth=2
	s_or_b64 exec, exec, s[20:21]
                                        ; implicit-def: $vgpr1
.LBB4_152:                              ;   in Loop: Header=BB4_126 Depth=2
	s_andn2_saveexec_b64 s[20:21], s[78:79]
; %bb.153:                              ;   in Loop: Header=BB4_126 Depth=2
	v_or_b32_sdwa v40, v1, s53 dst_sel:DWORD dst_unused:UNUSED_PAD src0_sel:BYTE_3 src1_sel:DWORD
; %bb.154:                              ;   in Loop: Header=BB4_126 Depth=2
	s_or_b64 exec, exec, s[20:21]
	v_lshrrev_b16_e32 v30, 8, v22
	v_cmp_ne_u16_e32 vcc, 0, v30
	v_mov_b32_e32 v0, 0
	v_mov_b32_e32 v1, 0
	s_and_saveexec_b64 s[20:21], vcc
	s_cbranch_execz .LBB4_160
; %bb.155:                              ;   in Loop: Header=BB4_126 Depth=2
	v_cmp_ne_u16_e32 vcc, s52, v30
	v_bfrev_b32_e32 v1, 1
	s_and_saveexec_b64 s[78:79], vcc
	s_cbranch_execz .LBB4_159
; %bb.156:                              ;   in Loop: Header=BB4_126 Depth=2
	v_and_b32_e32 v2, 0x7f, v30
	v_cmp_ne_u32_e32 vcc, s53, v2
	v_mov_b32_e32 v1, 0x7f800001
	s_and_saveexec_b64 s[88:89], vcc
	s_cbranch_execz .LBB4_158
; %bb.157:                              ;   in Loop: Header=BB4_126 Depth=2
	v_and_b32_e32 v4, 7, v30
	v_ffbh_u32_e32 v1, v4
	v_min_u32_e32 v26, 32, v1
	v_subrev_u32_e32 v1, 28, v26
	v_lshrrev_b32_e32 v5, 3, v2
	v_cmp_gt_u32_e32 vcc, 8, v2
	v_lshlrev_b64 v[1:2], v1, v[30:31]
	v_sub_u32_e32 v2, 29, v26
	v_and_b32_e32 v1, 7, v1
	v_cndmask_b32_e32 v2, v5, v2, vcc
	v_cndmask_b32_e32 v1, v4, v1, vcc
	v_lshlrev_b32_e32 v4, 16, v22
	v_lshlrev_b32_e32 v1, 20, v1
	v_and_b32_e32 v4, 0x80000000, v4
	v_lshl_add_u32 v2, v2, 23, v50
	v_or3_b32 v1, v4, v2, v1
.LBB4_158:                              ;   in Loop: Header=BB4_126 Depth=2
	s_or_b64 exec, exec, s[88:89]
.LBB4_159:                              ;   in Loop: Header=BB4_126 Depth=2
	s_or_b64 exec, exec, s[78:79]
.LBB4_160:                              ;   in Loop: Header=BB4_126 Depth=2
	s_or_b64 exec, exec, s[20:21]
	v_lshrrev_b16_e32 v30, 8, v18
	v_cmp_ne_u16_e32 vcc, 0, v30
	s_and_saveexec_b64 s[20:21], vcc
	s_cbranch_execz .LBB4_166
; %bb.161:                              ;   in Loop: Header=BB4_126 Depth=2
	v_cmp_ne_u16_e32 vcc, s52, v30
	v_bfrev_b32_e32 v0, 1
	s_and_saveexec_b64 s[78:79], vcc
	s_cbranch_execz .LBB4_165
; %bb.162:                              ;   in Loop: Header=BB4_126 Depth=2
	v_and_b32_e32 v2, 0x7f, v30
	v_cmp_ne_u32_e32 vcc, s53, v2
	v_mov_b32_e32 v0, 0x7f800001
	s_and_saveexec_b64 s[88:89], vcc
	s_cbranch_execz .LBB4_164
; %bb.163:                              ;   in Loop: Header=BB4_126 Depth=2
	v_and_b32_e32 v0, 7, v30
	v_lshrrev_b32_e32 v26, 3, v2
	v_cmp_gt_u32_e32 vcc, 8, v2
	v_ffbh_u32_e32 v2, v0
	v_min_u32_e32 v2, 32, v2
	v_subrev_u32_e32 v4, 28, v2
	v_lshlrev_b64 v[4:5], v4, v[30:31]
	v_sub_u32_e32 v2, 29, v2
	v_and_b32_e32 v4, 7, v4
	v_cndmask_b32_e32 v2, v26, v2, vcc
	v_cndmask_b32_e32 v0, v0, v4, vcc
	v_lshlrev_b32_e32 v4, 16, v18
	v_lshlrev_b32_e32 v0, 20, v0
	v_and_b32_e32 v4, 0x80000000, v4
	v_lshl_add_u32 v2, v2, 23, v50
	v_or3_b32 v0, v4, v2, v0
.LBB4_164:                              ;   in Loop: Header=BB4_126 Depth=2
	s_or_b64 exec, exec, s[88:89]
.LBB4_165:                              ;   in Loop: Header=BB4_126 Depth=2
	s_or_b64 exec, exec, s[78:79]
.LBB4_166:                              ;   in Loop: Header=BB4_126 Depth=2
	s_or_b64 exec, exec, s[20:21]
	v_add_f32_e32 v1, v1, v0
	v_and_b32_e32 v52, 0x7f800000, v1
	v_cmp_ne_u64_e32 vcc, s[56:57], v[52:53]
                                        ; implicit-def: $vgpr0
                                        ; kill: killed $vgpr0
	s_and_saveexec_b64 s[20:21], vcc
	s_xor_b64 s[78:79], exec, s[20:21]
	s_cbranch_execz .LBB4_180
; %bb.167:                              ;   in Loop: Header=BB4_126 Depth=2
	v_and_b32_e32 v52, 0x7fffffff, v1
	v_cmp_gt_u64_e32 vcc, s[58:59], v[52:53]
	v_and_b32_sdwa v0, v1, s52 dst_sel:DWORD dst_unused:UNUSED_PAD src0_sel:BYTE_3 src1_sel:DWORD
                                        ; implicit-def: $vgpr2
                                        ; kill: killed $vgpr2
	s_and_saveexec_b64 s[20:21], vcc
	s_xor_b64 s[88:89], exec, s[20:21]
	s_cbranch_execz .LBB4_177
; %bb.168:                              ;   in Loop: Header=BB4_126 Depth=2
	v_mov_b32_e32 v2, 0
	v_cmp_ne_u32_e32 vcc, 0, v1
	buffer_store_dword v2, off, s[0:3], s33 offset:72 ; 4-byte Folded Spill
	s_and_saveexec_b64 s[90:91], vcc
	s_cbranch_execz .LBB4_176
; %bb.169:                              ;   in Loop: Header=BB4_126 Depth=2
	v_and_b32_e32 v4, 0x7fffff, v1
	v_bfe_u32 v1, v1, 23, 8
	v_cmp_gt_u32_e64 s[20:21], s54, v1
	v_sub_u32_e32 v2, 0x79, v1
	v_cmp_eq_u32_e32 vcc, 0, v1
	v_cndmask_b32_e64 v2, 0, v2, s[20:21]
	v_mov_b32_e32 v26, 0x78
	v_or_b32_e32 v5, 0x800000, v4
	v_cndmask_b32_e32 v2, v2, v26, vcc
	v_cndmask_b32_e32 v52, v5, v4, vcc
	v_add_u32_e32 v4, 20, v2
	v_lshlrev_b64 v[4:5], v4, -1
	v_add_u32_e32 v26, 19, v2
	v_lshlrev_b64 v[26:27], v26, 1
	v_lshrrev_b64 v[60:61], v2, v[52:53]
	v_bfi_b32 v5, v5, 0, 0
	v_bfi_b32 v4, v4, 0, v52
	v_cmp_eq_u64_e64 s[20:21], v[4:5], v[26:27]
	v_mov_b32_e32 v62, v61
	v_mov_b32_e32 v61, v60
	s_and_saveexec_b64 s[92:93], s[20:21]
; %bb.170:                              ;   in Loop: Header=BB4_126 Depth=2
	v_bfe_u32 v4, v60, 20, 1
	v_add_co_u32_e64 v4, s[20:21], v60, v4
	v_add_co_u32_e64 v61, s[20:21], -1, v4
; %bb.171:                              ;   in Loop: Header=BB4_126 Depth=2
	s_or_b64 exec, exec, s[92:93]
	v_add_u32_e32 v1, 0xffffff81, v1
	v_mov_b32_e32 v4, 0xffffff82
	v_cndmask_b32_e32 v1, v1, v4, vcc
	v_lshrrev_b32_e32 v4, 23, v60
	v_add3_u32 v4, v2, v1, v4
	v_add_u32_e32 v2, 6, v4
	v_and_b32_e32 v1, 0xfffff, v61
	v_add_u32_e32 v52, v1, v60
	v_cmp_ne_u32_e32 vcc, 0, v2
                                        ; implicit-def: $vgpr60_vgpr61
                                        ; implicit-def: $vgpr1
	s_and_saveexec_b64 s[20:21], vcc
	s_xor_b64 s[20:21], exec, s[20:21]
; %bb.172:                              ;   in Loop: Header=BB4_126 Depth=2
	v_cmp_lt_u64_e32 vcc, s[60:61], v[52:53]
	v_add_u32_e32 v1, 7, v4
	v_cndmask_b32_e32 v1, v2, v1, vcc
	v_cndmask_b32_e64 v2, 0, 1, vcc
	v_lshrrev_b64 v[60:61], v2, v[52:53]
; %bb.173:                              ;   in Loop: Header=BB4_126 Depth=2
	s_andn2_saveexec_b64 s[20:21], s[20:21]
; %bb.174:                              ;   in Loop: Header=BB4_126 Depth=2
	v_mov_b32_e32 v61, v53
	v_bfe_u32 v1, v52, 23, 1
	v_mov_b32_e32 v60, v52
; %bb.175:                              ;   in Loop: Header=BB4_126 Depth=2
	s_or_b64 exec, exec, s[20:21]
	v_lshrrev_b64 v[4:5], 20, v[60:61]
	v_cmp_gt_i32_e32 vcc, 16, v1
	v_cndmask_b32_e32 v5, 0, v5, vcc
	v_cndmask_b32_e32 v4, 7, v4, vcc
	v_cmp_eq_u32_e32 vcc, 0, v1
	v_min_i32_e32 v1, 15, v1
	v_cmp_eq_u64_e64 s[20:21], 0, v[4:5]
	v_lshlrev_b32_e32 v1, 3, v1
	v_and_b32_e32 v1, 0xf8, v1
	v_and_or_b32 v1, v4, 7, v1
	s_and_b64 s[20:21], vcc, s[20:21]
	v_cndmask_b32_e64 v1, v1, 0, s[20:21]
	v_or_b32_e32 v0, v1, v0
	buffer_store_dword v0, off, s[0:3], s33 offset:72 ; 4-byte Folded Spill
.LBB4_176:                              ;   in Loop: Header=BB4_126 Depth=2
	s_or_b64 exec, exec, s[90:91]
                                        ; implicit-def: $vgpr0
.LBB4_177:                              ;   in Loop: Header=BB4_126 Depth=2
	s_andn2_saveexec_b64 s[20:21], s[88:89]
	s_cbranch_execz .LBB4_179
; %bb.178:                              ;   in Loop: Header=BB4_126 Depth=2
	v_or_b32_e32 v0, 0x7e, v0
	buffer_store_dword v0, off, s[0:3], s33 offset:72 ; 4-byte Folded Spill
.LBB4_179:                              ;   in Loop: Header=BB4_126 Depth=2
	s_or_b64 exec, exec, s[20:21]
                                        ; implicit-def: $vgpr1
.LBB4_180:                              ;   in Loop: Header=BB4_126 Depth=2
	s_andn2_saveexec_b64 s[20:21], s[78:79]
	s_cbranch_execz .LBB4_182
; %bb.181:                              ;   in Loop: Header=BB4_126 Depth=2
	v_or_b32_sdwa v0, v1, s53 dst_sel:DWORD dst_unused:UNUSED_PAD src0_sel:BYTE_3 src1_sel:DWORD
	buffer_store_dword v0, off, s[0:3], s33 offset:72 ; 4-byte Folded Spill
.LBB4_182:                              ;   in Loop: Header=BB4_126 Depth=2
	s_or_b64 exec, exec, s[20:21]
	v_lshrrev_b32_e32 v30, 16, v22
	v_cmp_ne_u16_sdwa s[78:79], v30, v53 src0_sel:BYTE_0 src1_sel:DWORD
	v_mov_b32_e32 v0, 0
	v_mov_b32_e32 v1, 0
	s_and_saveexec_b64 s[20:21], s[78:79]
	s_cbranch_execz .LBB4_188
; %bb.183:                              ;   in Loop: Header=BB4_126 Depth=2
	v_cmp_ne_u16_sdwa s[88:89], v30, s52 src0_sel:BYTE_0 src1_sel:DWORD
	v_bfrev_b32_e32 v1, 1
	s_and_saveexec_b64 s[78:79], s[88:89]
	s_cbranch_execz .LBB4_187
; %bb.184:                              ;   in Loop: Header=BB4_126 Depth=2
	v_bfe_u32 v2, v22, 16, 7
	v_cmp_ne_u32_e32 vcc, s53, v2
	v_mov_b32_e32 v1, 0x7f800001
	s_and_saveexec_b64 s[88:89], vcc
	s_cbranch_execz .LBB4_186
; %bb.185:                              ;   in Loop: Header=BB4_126 Depth=2
	v_and_b32_e32 v4, 7, v30
	v_ffbh_u32_e32 v1, v4
	v_min_u32_e32 v26, 32, v1
	v_subrev_u32_e32 v1, 28, v26
	v_lshrrev_b32_e32 v5, 3, v2
	v_cmp_gt_u32_e32 vcc, 8, v2
	v_lshlrev_b64 v[1:2], v1, v[30:31]
	v_sub_u32_e32 v2, 29, v26
	v_and_b32_e32 v1, 7, v1
	v_cndmask_b32_e32 v2, v5, v2, vcc
	v_cndmask_b32_e32 v1, v4, v1, vcc
	v_lshlrev_b32_e32 v4, 24, v30
	v_lshlrev_b32_e32 v1, 20, v1
	v_and_b32_e32 v4, 0x80000000, v4
	v_lshl_add_u32 v2, v2, 23, v50
	v_or3_b32 v1, v4, v2, v1
.LBB4_186:                              ;   in Loop: Header=BB4_126 Depth=2
	s_or_b64 exec, exec, s[88:89]
.LBB4_187:                              ;   in Loop: Header=BB4_126 Depth=2
	s_or_b64 exec, exec, s[78:79]
.LBB4_188:                              ;   in Loop: Header=BB4_126 Depth=2
	s_or_b64 exec, exec, s[20:21]
	v_lshrrev_b32_e32 v30, 16, v18
	v_cmp_ne_u16_sdwa s[78:79], v30, v53 src0_sel:BYTE_0 src1_sel:DWORD
	s_and_saveexec_b64 s[20:21], s[78:79]
	s_cbranch_execz .LBB4_194
; %bb.189:                              ;   in Loop: Header=BB4_126 Depth=2
	v_cmp_ne_u16_sdwa s[88:89], v30, s52 src0_sel:BYTE_0 src1_sel:DWORD
	v_bfrev_b32_e32 v0, 1
	s_and_saveexec_b64 s[78:79], s[88:89]
	s_cbranch_execz .LBB4_193
; %bb.190:                              ;   in Loop: Header=BB4_126 Depth=2
	v_bfe_u32 v2, v18, 16, 7
	v_cmp_ne_u32_e32 vcc, s53, v2
	v_mov_b32_e32 v0, 0x7f800001
	s_and_saveexec_b64 s[88:89], vcc
	s_cbranch_execz .LBB4_192
; %bb.191:                              ;   in Loop: Header=BB4_126 Depth=2
	v_and_b32_e32 v0, 7, v30
	v_lshrrev_b32_e32 v26, 3, v2
	v_cmp_gt_u32_e32 vcc, 8, v2
	v_ffbh_u32_e32 v2, v0
	v_min_u32_e32 v2, 32, v2
	v_subrev_u32_e32 v4, 28, v2
	v_lshlrev_b64 v[4:5], v4, v[30:31]
	v_sub_u32_e32 v2, 29, v2
	v_and_b32_e32 v4, 7, v4
	v_cndmask_b32_e32 v2, v26, v2, vcc
	v_cndmask_b32_e32 v0, v0, v4, vcc
	v_lshlrev_b32_e32 v4, 8, v18
	v_lshlrev_b32_e32 v0, 20, v0
	v_and_b32_e32 v4, 0x80000000, v4
	v_lshl_add_u32 v2, v2, 23, v50
	v_or3_b32 v0, v4, v2, v0
.LBB4_192:                              ;   in Loop: Header=BB4_126 Depth=2
	s_or_b64 exec, exec, s[88:89]
.LBB4_193:                              ;   in Loop: Header=BB4_126 Depth=2
	s_or_b64 exec, exec, s[78:79]
.LBB4_194:                              ;   in Loop: Header=BB4_126 Depth=2
	s_or_b64 exec, exec, s[20:21]
	v_add_f32_e32 v1, v1, v0
	v_and_b32_e32 v52, 0x7f800000, v1
	v_cmp_ne_u64_e32 vcc, s[56:57], v[52:53]
                                        ; implicit-def: $vgpr27
	s_and_saveexec_b64 s[20:21], vcc
	s_xor_b64 s[78:79], exec, s[20:21]
	s_cbranch_execz .LBB4_208
; %bb.195:                              ;   in Loop: Header=BB4_126 Depth=2
	v_and_b32_e32 v52, 0x7fffffff, v1
	v_cmp_gt_u64_e32 vcc, s[58:59], v[52:53]
	v_and_b32_sdwa v0, v1, s52 dst_sel:DWORD dst_unused:UNUSED_PAD src0_sel:BYTE_3 src1_sel:DWORD
                                        ; implicit-def: $vgpr27
	s_and_saveexec_b64 s[20:21], vcc
	s_xor_b64 s[88:89], exec, s[20:21]
	s_cbranch_execz .LBB4_205
; %bb.196:                              ;   in Loop: Header=BB4_126 Depth=2
	v_mov_b32_e32 v27, 0
	v_cmp_ne_u32_e32 vcc, 0, v1
	s_and_saveexec_b64 s[90:91], vcc
	s_cbranch_execz .LBB4_204
; %bb.197:                              ;   in Loop: Header=BB4_126 Depth=2
	v_and_b32_e32 v4, 0x7fffff, v1
	v_bfe_u32 v1, v1, 23, 8
	v_cmp_gt_u32_e64 s[20:21], s54, v1
	v_sub_u32_e32 v2, 0x79, v1
	v_cmp_eq_u32_e32 vcc, 0, v1
	v_cndmask_b32_e64 v2, 0, v2, s[20:21]
	v_mov_b32_e32 v26, 0x78
	v_or_b32_e32 v5, 0x800000, v4
	v_cndmask_b32_e32 v2, v2, v26, vcc
	v_cndmask_b32_e32 v52, v5, v4, vcc
	v_add_u32_e32 v4, 20, v2
	v_lshlrev_b64 v[4:5], v4, -1
	v_add_u32_e32 v26, 19, v2
	v_lshlrev_b64 v[26:27], v26, 1
	v_lshrrev_b64 v[60:61], v2, v[52:53]
	v_bfi_b32 v5, v5, 0, 0
	v_bfi_b32 v4, v4, 0, v52
	v_cmp_eq_u64_e64 s[20:21], v[4:5], v[26:27]
	v_mov_b32_e32 v62, v61
	v_mov_b32_e32 v61, v60
	s_and_saveexec_b64 s[92:93], s[20:21]
; %bb.198:                              ;   in Loop: Header=BB4_126 Depth=2
	v_bfe_u32 v4, v60, 20, 1
	v_add_co_u32_e64 v4, s[20:21], v60, v4
	v_add_co_u32_e64 v61, s[20:21], -1, v4
; %bb.199:                              ;   in Loop: Header=BB4_126 Depth=2
	s_or_b64 exec, exec, s[92:93]
	v_add_u32_e32 v1, 0xffffff81, v1
	v_mov_b32_e32 v4, 0xffffff82
	v_cndmask_b32_e32 v1, v1, v4, vcc
	v_lshrrev_b32_e32 v4, 23, v60
	v_add3_u32 v4, v2, v1, v4
	v_add_u32_e32 v2, 6, v4
	v_and_b32_e32 v1, 0xfffff, v61
	v_add_u32_e32 v52, v1, v60
	v_cmp_ne_u32_e32 vcc, 0, v2
                                        ; implicit-def: $vgpr60_vgpr61
                                        ; implicit-def: $vgpr1
	s_and_saveexec_b64 s[20:21], vcc
	s_xor_b64 s[20:21], exec, s[20:21]
; %bb.200:                              ;   in Loop: Header=BB4_126 Depth=2
	v_cmp_lt_u64_e32 vcc, s[60:61], v[52:53]
	v_add_u32_e32 v1, 7, v4
	v_cndmask_b32_e32 v1, v2, v1, vcc
	v_cndmask_b32_e64 v2, 0, 1, vcc
	v_lshrrev_b64 v[60:61], v2, v[52:53]
; %bb.201:                              ;   in Loop: Header=BB4_126 Depth=2
	s_andn2_saveexec_b64 s[20:21], s[20:21]
; %bb.202:                              ;   in Loop: Header=BB4_126 Depth=2
	v_mov_b32_e32 v61, v53
	v_bfe_u32 v1, v52, 23, 1
	v_mov_b32_e32 v60, v52
; %bb.203:                              ;   in Loop: Header=BB4_126 Depth=2
	s_or_b64 exec, exec, s[20:21]
	v_lshrrev_b64 v[4:5], 20, v[60:61]
	v_cmp_gt_i32_e32 vcc, 16, v1
	v_cndmask_b32_e32 v5, 0, v5, vcc
	v_cndmask_b32_e32 v4, 7, v4, vcc
	v_cmp_eq_u32_e32 vcc, 0, v1
	v_min_i32_e32 v1, 15, v1
	v_cmp_eq_u64_e64 s[20:21], 0, v[4:5]
	v_lshlrev_b32_e32 v1, 3, v1
	v_and_b32_e32 v1, 0xf8, v1
	v_and_or_b32 v1, v4, 7, v1
	s_and_b64 s[20:21], vcc, s[20:21]
	v_cndmask_b32_e64 v1, v1, 0, s[20:21]
	v_or_b32_e32 v27, v1, v0
.LBB4_204:                              ;   in Loop: Header=BB4_126 Depth=2
	s_or_b64 exec, exec, s[90:91]
                                        ; implicit-def: $vgpr0
.LBB4_205:                              ;   in Loop: Header=BB4_126 Depth=2
	s_andn2_saveexec_b64 s[20:21], s[88:89]
; %bb.206:                              ;   in Loop: Header=BB4_126 Depth=2
	v_or_b32_e32 v27, 0x7e, v0
; %bb.207:                              ;   in Loop: Header=BB4_126 Depth=2
	s_or_b64 exec, exec, s[20:21]
                                        ; implicit-def: $vgpr1
.LBB4_208:                              ;   in Loop: Header=BB4_126 Depth=2
	s_andn2_saveexec_b64 s[20:21], s[78:79]
; %bb.209:                              ;   in Loop: Header=BB4_126 Depth=2
	v_or_b32_sdwa v27, v1, s53 dst_sel:DWORD dst_unused:UNUSED_PAD src0_sel:BYTE_3 src1_sel:DWORD
; %bb.210:                              ;   in Loop: Header=BB4_126 Depth=2
	s_or_b64 exec, exec, s[20:21]
	v_cmp_lt_u32_e32 vcc, s63, v22
	v_mov_b32_e32 v0, 0
	v_mov_b32_e32 v1, 0
	s_and_saveexec_b64 s[20:21], vcc
	s_cbranch_execz .LBB4_216
; %bb.211:                              ;   in Loop: Header=BB4_126 Depth=2
	v_lshrrev_b32_e32 v30, 24, v22
	v_cmp_ne_u32_e32 vcc, s52, v30
	v_bfrev_b32_e32 v1, 1
	s_and_saveexec_b64 s[78:79], vcc
	s_cbranch_execz .LBB4_215
; %bb.212:                              ;   in Loop: Header=BB4_126 Depth=2
	v_bfe_u32 v2, v22, 24, 7
	v_cmp_ne_u32_e32 vcc, s53, v2
	v_mov_b32_e32 v1, 0x7f800001
	s_and_saveexec_b64 s[88:89], vcc
	s_cbranch_execz .LBB4_214
; %bb.213:                              ;   in Loop: Header=BB4_126 Depth=2
	v_and_b32_e32 v4, 7, v30
	v_ffbh_u32_e32 v1, v4
	v_min_u32_e32 v26, 32, v1
	v_subrev_u32_e32 v1, 28, v26
	v_lshrrev_b32_e32 v5, 3, v2
	v_cmp_gt_u32_e32 vcc, 8, v2
	v_lshlrev_b64 v[1:2], v1, v[30:31]
	v_sub_u32_e32 v2, 29, v26
	v_and_b32_e32 v1, 7, v1
	v_cndmask_b32_e32 v2, v5, v2, vcc
	v_cndmask_b32_e32 v1, v4, v1, vcc
	v_lshlrev_b32_e32 v4, 24, v30
	v_lshlrev_b32_e32 v1, 20, v1
	v_and_b32_e32 v4, 0x80000000, v4
	v_lshl_add_u32 v2, v2, 23, v50
	v_or3_b32 v1, v4, v2, v1
.LBB4_214:                              ;   in Loop: Header=BB4_126 Depth=2
	s_or_b64 exec, exec, s[88:89]
.LBB4_215:                              ;   in Loop: Header=BB4_126 Depth=2
	s_or_b64 exec, exec, s[78:79]
.LBB4_216:                              ;   in Loop: Header=BB4_126 Depth=2
	s_or_b64 exec, exec, s[20:21]
	v_cmp_lt_u32_e32 vcc, s63, v18
	s_and_saveexec_b64 s[20:21], vcc
	s_cbranch_execz .LBB4_222
; %bb.217:                              ;   in Loop: Header=BB4_126 Depth=2
	v_lshrrev_b32_e32 v30, 24, v18
	v_cmp_ne_u32_e32 vcc, s52, v30
	v_bfrev_b32_e32 v0, 1
	s_and_saveexec_b64 s[78:79], vcc
	s_cbranch_execz .LBB4_221
; %bb.218:                              ;   in Loop: Header=BB4_126 Depth=2
	v_bfe_u32 v2, v18, 24, 7
	v_cmp_ne_u32_e32 vcc, s53, v2
	v_mov_b32_e32 v0, 0x7f800001
	s_and_saveexec_b64 s[88:89], vcc
	s_cbranch_execz .LBB4_220
; %bb.219:                              ;   in Loop: Header=BB4_126 Depth=2
	v_and_b32_e32 v0, 7, v30
	v_lshrrev_b32_e32 v26, 3, v2
	v_cmp_gt_u32_e32 vcc, 8, v2
	v_ffbh_u32_e32 v2, v0
	v_min_u32_e32 v2, 32, v2
	v_subrev_u32_e32 v4, 28, v2
	v_lshlrev_b64 v[4:5], v4, v[30:31]
	v_sub_u32_e32 v2, 29, v2
	v_and_b32_e32 v4, 7, v4
	v_cndmask_b32_e32 v2, v26, v2, vcc
	v_cndmask_b32_e32 v0, v0, v4, vcc
	v_lshlrev_b32_e32 v4, 24, v30
	v_lshlrev_b32_e32 v0, 20, v0
	v_and_b32_e32 v4, 0x80000000, v4
	v_lshl_add_u32 v2, v2, 23, v50
	v_or3_b32 v0, v4, v2, v0
.LBB4_220:                              ;   in Loop: Header=BB4_126 Depth=2
	s_or_b64 exec, exec, s[88:89]
.LBB4_221:                              ;   in Loop: Header=BB4_126 Depth=2
	s_or_b64 exec, exec, s[78:79]
.LBB4_222:                              ;   in Loop: Header=BB4_126 Depth=2
	s_or_b64 exec, exec, s[20:21]
	v_add_f32_e32 v1, v1, v0
	v_and_b32_e32 v52, 0x7f800000, v1
	v_cmp_ne_u64_e32 vcc, s[56:57], v[52:53]
                                        ; implicit-def: $vgpr2
	s_and_saveexec_b64 s[20:21], vcc
	s_xor_b64 s[78:79], exec, s[20:21]
	s_cbranch_execz .LBB4_236
; %bb.223:                              ;   in Loop: Header=BB4_126 Depth=2
	v_and_b32_e32 v52, 0x7fffffff, v1
	v_cmp_gt_u64_e32 vcc, s[58:59], v[52:53]
	v_and_b32_sdwa v0, v1, s52 dst_sel:DWORD dst_unused:UNUSED_PAD src0_sel:BYTE_3 src1_sel:DWORD
                                        ; implicit-def: $vgpr2
	s_and_saveexec_b64 s[20:21], vcc
	s_xor_b64 s[88:89], exec, s[20:21]
	s_cbranch_execz .LBB4_233
; %bb.224:                              ;   in Loop: Header=BB4_126 Depth=2
	v_mov_b32_e32 v2, 0
	v_cmp_ne_u32_e32 vcc, 0, v1
	s_and_saveexec_b64 s[90:91], vcc
	s_cbranch_execz .LBB4_232
; %bb.225:                              ;   in Loop: Header=BB4_126 Depth=2
	v_and_b32_e32 v4, 0x7fffff, v1
	v_bfe_u32 v1, v1, 23, 8
	v_cmp_gt_u32_e64 s[20:21], s54, v1
	v_sub_u32_e32 v2, 0x79, v1
	v_cmp_eq_u32_e32 vcc, 0, v1
	v_cndmask_b32_e64 v2, 0, v2, s[20:21]
	v_mov_b32_e32 v26, 0x78
	v_or_b32_e32 v5, 0x800000, v4
	v_cndmask_b32_e32 v2, v2, v26, vcc
	v_cndmask_b32_e32 v52, v5, v4, vcc
	v_add_u32_e32 v4, 20, v2
	v_lshlrev_b64 v[4:5], v4, -1
	v_add_u32_e32 v26, 19, v2
	v_lshlrev_b64 v[28:29], v26, 1
	v_lshrrev_b64 v[60:61], v2, v[52:53]
	v_bfi_b32 v5, v5, 0, 0
	v_bfi_b32 v4, v4, 0, v52
	v_cmp_eq_u64_e64 s[20:21], v[4:5], v[28:29]
	v_mov_b32_e32 v62, v61
	v_mov_b32_e32 v61, v60
	s_and_saveexec_b64 s[92:93], s[20:21]
; %bb.226:                              ;   in Loop: Header=BB4_126 Depth=2
	v_bfe_u32 v4, v60, 20, 1
	v_add_co_u32_e64 v4, s[20:21], v60, v4
	v_add_co_u32_e64 v61, s[20:21], -1, v4
; %bb.227:                              ;   in Loop: Header=BB4_126 Depth=2
	s_or_b64 exec, exec, s[92:93]
	v_add_u32_e32 v1, 0xffffff81, v1
	v_mov_b32_e32 v4, 0xffffff82
	v_cndmask_b32_e32 v1, v1, v4, vcc
	v_lshrrev_b32_e32 v4, 23, v60
	v_add3_u32 v4, v2, v1, v4
	v_add_u32_e32 v2, 6, v4
	v_and_b32_e32 v1, 0xfffff, v61
	v_add_u32_e32 v52, v1, v60
	v_cmp_ne_u32_e32 vcc, 0, v2
                                        ; implicit-def: $vgpr60_vgpr61
                                        ; implicit-def: $vgpr1
	s_and_saveexec_b64 s[20:21], vcc
	s_xor_b64 s[20:21], exec, s[20:21]
; %bb.228:                              ;   in Loop: Header=BB4_126 Depth=2
	v_cmp_lt_u64_e32 vcc, s[60:61], v[52:53]
	v_add_u32_e32 v1, 7, v4
	v_cndmask_b32_e32 v1, v2, v1, vcc
	v_cndmask_b32_e64 v2, 0, 1, vcc
	v_lshrrev_b64 v[60:61], v2, v[52:53]
; %bb.229:                              ;   in Loop: Header=BB4_126 Depth=2
	s_andn2_saveexec_b64 s[20:21], s[20:21]
; %bb.230:                              ;   in Loop: Header=BB4_126 Depth=2
	v_mov_b32_e32 v61, v53
	v_bfe_u32 v1, v52, 23, 1
	v_mov_b32_e32 v60, v52
; %bb.231:                              ;   in Loop: Header=BB4_126 Depth=2
	s_or_b64 exec, exec, s[20:21]
	v_lshrrev_b64 v[4:5], 20, v[60:61]
	v_cmp_gt_i32_e32 vcc, 16, v1
	v_cndmask_b32_e32 v5, 0, v5, vcc
	v_cndmask_b32_e32 v4, 7, v4, vcc
	v_cmp_eq_u32_e32 vcc, 0, v1
	v_min_i32_e32 v1, 15, v1
	v_cmp_eq_u64_e64 s[20:21], 0, v[4:5]
	v_lshlrev_b32_e32 v1, 3, v1
	v_and_b32_e32 v1, 0xf8, v1
	v_and_or_b32 v1, v4, 7, v1
	s_and_b64 s[20:21], vcc, s[20:21]
	v_cndmask_b32_e64 v1, v1, 0, s[20:21]
	v_or_b32_e32 v2, v1, v0
.LBB4_232:                              ;   in Loop: Header=BB4_126 Depth=2
	s_or_b64 exec, exec, s[90:91]
                                        ; implicit-def: $vgpr0
.LBB4_233:                              ;   in Loop: Header=BB4_126 Depth=2
	s_andn2_saveexec_b64 s[20:21], s[88:89]
; %bb.234:                              ;   in Loop: Header=BB4_126 Depth=2
	v_or_b32_e32 v2, 0x7e, v0
; %bb.235:                              ;   in Loop: Header=BB4_126 Depth=2
	s_or_b64 exec, exec, s[20:21]
                                        ; implicit-def: $vgpr1
.LBB4_236:                              ;   in Loop: Header=BB4_126 Depth=2
	s_andn2_saveexec_b64 s[20:21], s[78:79]
; %bb.237:                              ;   in Loop: Header=BB4_126 Depth=2
	v_or_b32_sdwa v2, v1, s53 dst_sel:DWORD dst_unused:UNUSED_PAD src0_sel:BYTE_3 src1_sel:DWORD
; %bb.238:                              ;   in Loop: Header=BB4_126 Depth=2
	s_or_b64 exec, exec, s[20:21]
	v_mov_b32_e32 v52, v23
	v_cmp_ne_u16_sdwa s[78:79], v23, v53 src0_sel:BYTE_0 src1_sel:DWORD
	v_mov_b32_e32 v1, 0
	v_mov_b32_e32 v0, 0
	s_and_saveexec_b64 s[20:21], s[78:79]
	s_cbranch_execz .LBB4_244
; %bb.239:                              ;   in Loop: Header=BB4_126 Depth=2
	v_cmp_ne_u16_sdwa s[88:89], v23, s52 src0_sel:BYTE_0 src1_sel:DWORD
	v_bfrev_b32_e32 v0, 1
	s_and_saveexec_b64 s[78:79], s[88:89]
	s_cbranch_execz .LBB4_243
; %bb.240:                              ;   in Loop: Header=BB4_126 Depth=2
	v_and_b32_e32 v4, 0x7f, v23
	v_cmp_ne_u32_e32 vcc, s53, v4
	v_mov_b32_e32 v0, 0x7f800001
	s_and_saveexec_b64 s[88:89], vcc
	s_cbranch_execz .LBB4_242
; %bb.241:                              ;   in Loop: Header=BB4_126 Depth=2
	v_and_b32_e32 v0, 7, v23
	v_ffbh_u32_e32 v0, v0
	v_min_u32_e32 v0, 32, v0
	v_lshrrev_b32_e32 v5, 3, v4
	v_cmp_gt_u32_e32 vcc, 8, v4
	v_subrev_u32_e32 v4, 28, v0
	v_sub_u32_e32 v0, 29, v0
	v_cndmask_b32_e32 v4, 0, v4, vcc
	v_cndmask_b32_e32 v0, v5, v0, vcc
	v_lshlrev_b64 v[4:5], v4, v[52:53]
	v_lshlrev_b32_e32 v5, 24, v52
	v_lshlrev_b32_e32 v4, 20, v4
	v_and_b32_e32 v4, 0x700000, v4
	v_and_b32_e32 v5, 0x80000000, v5
	v_lshl_add_u32 v0, v0, 23, v50
	v_or3_b32 v0, v5, v0, v4
.LBB4_242:                              ;   in Loop: Header=BB4_126 Depth=2
	s_or_b64 exec, exec, s[88:89]
.LBB4_243:                              ;   in Loop: Header=BB4_126 Depth=2
	s_or_b64 exec, exec, s[78:79]
.LBB4_244:                              ;   in Loop: Header=BB4_126 Depth=2
	s_or_b64 exec, exec, s[20:21]
	v_cmp_ne_u16_sdwa s[78:79], v19, v53 src0_sel:BYTE_0 src1_sel:DWORD
	s_and_saveexec_b64 s[20:21], s[78:79]
	s_cbranch_execz .LBB4_250
; %bb.245:                              ;   in Loop: Header=BB4_126 Depth=2
	v_cmp_ne_u16_sdwa s[88:89], v19, s52 src0_sel:BYTE_0 src1_sel:DWORD
	v_bfrev_b32_e32 v1, 1
	s_and_saveexec_b64 s[78:79], s[88:89]
	s_cbranch_execz .LBB4_249
; %bb.246:                              ;   in Loop: Header=BB4_126 Depth=2
	v_and_b32_e32 v4, 0x7f, v19
	v_cmp_ne_u32_e32 vcc, s53, v4
	v_mov_b32_e32 v1, 0x7f800001
	s_and_saveexec_b64 s[88:89], vcc
	s_cbranch_execz .LBB4_248
; %bb.247:                              ;   in Loop: Header=BB4_126 Depth=2
	v_and_b32_e32 v1, 7, v19
	v_ffbh_u32_e32 v1, v1
	v_min_u32_e32 v1, 32, v1
	v_lshrrev_b32_e32 v5, 3, v4
	v_cmp_gt_u32_e32 vcc, 8, v4
	v_subrev_u32_e32 v4, 28, v1
	v_mov_b32_e32 v28, v19
	v_mov_b32_e32 v29, v53
	v_sub_u32_e32 v1, 29, v1
	v_cndmask_b32_e32 v4, 0, v4, vcc
	v_cndmask_b32_e32 v1, v5, v1, vcc
	v_lshlrev_b64 v[4:5], v4, v[28:29]
	v_lshlrev_b32_e32 v5, 24, v28
	v_lshlrev_b32_e32 v4, 20, v4
	v_and_b32_e32 v4, 0x700000, v4
	v_and_b32_e32 v5, 0x80000000, v5
	v_lshl_add_u32 v1, v1, 23, v50
	v_or3_b32 v1, v5, v1, v4
.LBB4_248:                              ;   in Loop: Header=BB4_126 Depth=2
	s_or_b64 exec, exec, s[88:89]
.LBB4_249:                              ;   in Loop: Header=BB4_126 Depth=2
	s_or_b64 exec, exec, s[78:79]
.LBB4_250:                              ;   in Loop: Header=BB4_126 Depth=2
	s_or_b64 exec, exec, s[20:21]
	v_add_f32_e32 v1, v0, v1
	v_and_b32_e32 v4, 0x7f800000, v1
	v_mov_b32_e32 v5, v53
	v_cmp_ne_u64_e32 vcc, s[56:57], v[4:5]
                                        ; implicit-def: $vgpr29
	s_and_saveexec_b64 s[20:21], vcc
	s_xor_b64 s[78:79], exec, s[20:21]
	s_cbranch_execz .LBB4_264
; %bb.251:                              ;   in Loop: Header=BB4_126 Depth=2
	v_and_b32_e32 v4, 0x7fffffff, v1
	v_mov_b32_e32 v5, v53
	v_cmp_gt_u64_e32 vcc, s[58:59], v[4:5]
	v_and_b32_sdwa v0, v1, s52 dst_sel:DWORD dst_unused:UNUSED_PAD src0_sel:BYTE_3 src1_sel:DWORD
                                        ; implicit-def: $vgpr29
	s_and_saveexec_b64 s[20:21], vcc
	s_xor_b64 s[88:89], exec, s[20:21]
	s_cbranch_execz .LBB4_261
; %bb.252:                              ;   in Loop: Header=BB4_126 Depth=2
	v_mov_b32_e32 v29, 0
	v_cmp_ne_u32_e32 vcc, 0, v1
	s_and_saveexec_b64 s[90:91], vcc
	s_cbranch_execz .LBB4_260
; %bb.253:                              ;   in Loop: Header=BB4_126 Depth=2
	v_and_b32_e32 v5, 0x7fffff, v1
	v_bfe_u32 v1, v1, 23, 8
	v_cmp_gt_u32_e64 s[20:21], s54, v1
	v_sub_u32_e32 v4, 0x79, v1
	v_cmp_eq_u32_e32 vcc, 0, v1
	v_cndmask_b32_e64 v4, 0, v4, s[20:21]
	v_mov_b32_e32 v28, 0x78
	v_or_b32_e32 v26, 0x800000, v5
	v_cndmask_b32_e32 v4, v4, v28, vcc
	v_cndmask_b32_e32 v28, v26, v5, vcc
	v_add_u32_e32 v5, 20, v4
	v_mov_b32_e32 v29, v53
	v_lshlrev_b64 v[30:31], v5, -1
	v_add_u32_e32 v5, 19, v4
	v_lshlrev_b64 v[34:35], v5, 1
	v_lshrrev_b64 v[60:61], v4, v[28:29]
	v_bfi_b32 v31, v31, 0, 0
	v_bfi_b32 v30, v30, 0, v28
	v_cmp_eq_u64_e64 s[20:21], v[30:31], v[34:35]
	v_mov_b32_e32 v62, v61
	v_mov_b32_e32 v61, v60
	s_and_saveexec_b64 s[92:93], s[20:21]
; %bb.254:                              ;   in Loop: Header=BB4_126 Depth=2
	v_bfe_u32 v5, v60, 20, 1
	v_add_co_u32_e64 v5, s[20:21], v60, v5
	v_add_co_u32_e64 v61, s[20:21], -1, v5
; %bb.255:                              ;   in Loop: Header=BB4_126 Depth=2
	s_or_b64 exec, exec, s[92:93]
	v_add_u32_e32 v1, 0xffffff81, v1
	v_mov_b32_e32 v5, 0xffffff82
	v_cndmask_b32_e32 v1, v1, v5, vcc
	v_lshrrev_b32_e32 v5, 23, v60
	v_add3_u32 v5, v4, v1, v5
	v_add_u32_e32 v4, 6, v5
	v_and_b32_e32 v1, 0xfffff, v61
	v_add_u32_e32 v60, v1, v60
	v_mov_b32_e32 v61, v53
	v_cmp_ne_u32_e32 vcc, 0, v4
                                        ; implicit-def: $vgpr1
	s_and_saveexec_b64 s[20:21], vcc
	s_xor_b64 s[20:21], exec, s[20:21]
; %bb.256:                              ;   in Loop: Header=BB4_126 Depth=2
	v_cmp_lt_u64_e32 vcc, s[60:61], v[60:61]
	v_add_u32_e32 v1, 7, v5
	v_cndmask_b32_e32 v1, v4, v1, vcc
	v_cndmask_b32_e64 v4, 0, 1, vcc
	v_lshrrev_b64 v[60:61], v4, v[60:61]
; %bb.257:                              ;   in Loop: Header=BB4_126 Depth=2
	s_andn2_saveexec_b64 s[20:21], s[20:21]
; %bb.258:                              ;   in Loop: Header=BB4_126 Depth=2
	v_bfe_u32 v1, v60, 23, 1
; %bb.259:                              ;   in Loop: Header=BB4_126 Depth=2
	s_or_b64 exec, exec, s[20:21]
	v_lshrrev_b64 v[4:5], 20, v[60:61]
	v_cmp_gt_i32_e32 vcc, 16, v1
	v_cndmask_b32_e32 v5, 0, v5, vcc
	v_cndmask_b32_e32 v4, 7, v4, vcc
	v_cmp_eq_u32_e32 vcc, 0, v1
	v_min_i32_e32 v1, 15, v1
	v_cmp_eq_u64_e64 s[20:21], 0, v[4:5]
	v_lshlrev_b32_e32 v1, 3, v1
	v_and_b32_e32 v1, 0xf8, v1
	v_and_or_b32 v1, v4, 7, v1
	s_and_b64 s[20:21], vcc, s[20:21]
	v_cndmask_b32_e64 v1, v1, 0, s[20:21]
	v_or_b32_e32 v29, v1, v0
.LBB4_260:                              ;   in Loop: Header=BB4_126 Depth=2
	s_or_b64 exec, exec, s[90:91]
                                        ; implicit-def: $vgpr0
.LBB4_261:                              ;   in Loop: Header=BB4_126 Depth=2
	s_andn2_saveexec_b64 s[20:21], s[88:89]
; %bb.262:                              ;   in Loop: Header=BB4_126 Depth=2
	v_or_b32_e32 v29, 0x7e, v0
; %bb.263:                              ;   in Loop: Header=BB4_126 Depth=2
	s_or_b64 exec, exec, s[20:21]
                                        ; implicit-def: $vgpr1
.LBB4_264:                              ;   in Loop: Header=BB4_126 Depth=2
	s_andn2_saveexec_b64 s[20:21], s[78:79]
; %bb.265:                              ;   in Loop: Header=BB4_126 Depth=2
	v_or_b32_sdwa v29, v1, s53 dst_sel:DWORD dst_unused:UNUSED_PAD src0_sel:BYTE_3 src1_sel:DWORD
; %bb.266:                              ;   in Loop: Header=BB4_126 Depth=2
	s_or_b64 exec, exec, s[20:21]
	v_lshrrev_b16_e32 v30, 8, v52
	v_cmp_ne_u16_e32 vcc, 0, v30
	v_mov_b32_e32 v0, 0
	v_mov_b32_e32 v1, 0
	s_and_saveexec_b64 s[20:21], vcc
	s_cbranch_execz .LBB4_272
; %bb.267:                              ;   in Loop: Header=BB4_126 Depth=2
	v_cmp_ne_u16_e32 vcc, s52, v30
	v_bfrev_b32_e32 v1, 1
	s_and_saveexec_b64 s[78:79], vcc
	s_cbranch_execz .LBB4_271
; %bb.268:                              ;   in Loop: Header=BB4_126 Depth=2
	v_and_b32_e32 v4, 0x7f, v30
	v_cmp_ne_u32_e32 vcc, s53, v4
	v_mov_b32_e32 v1, 0x7f800001
	s_and_saveexec_b64 s[88:89], vcc
	s_cbranch_execz .LBB4_270
; %bb.269:                              ;   in Loop: Header=BB4_126 Depth=2
	v_and_b32_e32 v1, 7, v30
	v_lshrrev_b32_e32 v26, 3, v4
	v_cmp_gt_u32_e32 vcc, 8, v4
	v_ffbh_u32_e32 v4, v1
	v_min_u32_e32 v28, 32, v4
	v_subrev_u32_e32 v4, 28, v28
	v_lshlrev_b64 v[4:5], v4, v[30:31]
	v_sub_u32_e32 v5, 29, v28
	v_and_b32_e32 v4, 7, v4
	v_cndmask_b32_e32 v5, v26, v5, vcc
	v_cndmask_b32_e32 v1, v1, v4, vcc
	v_lshlrev_b32_e32 v4, 16, v52
	v_lshlrev_b32_e32 v1, 20, v1
	v_and_b32_e32 v4, 0x80000000, v4
	v_lshl_add_u32 v5, v5, 23, v50
	v_or3_b32 v1, v4, v5, v1
.LBB4_270:                              ;   in Loop: Header=BB4_126 Depth=2
	s_or_b64 exec, exec, s[88:89]
.LBB4_271:                              ;   in Loop: Header=BB4_126 Depth=2
	s_or_b64 exec, exec, s[78:79]
.LBB4_272:                              ;   in Loop: Header=BB4_126 Depth=2
	s_or_b64 exec, exec, s[20:21]
	v_lshrrev_b16_e32 v30, 8, v19
	v_cmp_ne_u16_e32 vcc, 0, v30
	s_and_saveexec_b64 s[20:21], vcc
	s_cbranch_execz .LBB4_278
; %bb.273:                              ;   in Loop: Header=BB4_126 Depth=2
	v_cmp_ne_u16_e32 vcc, s52, v30
	v_bfrev_b32_e32 v0, 1
	s_and_saveexec_b64 s[78:79], vcc
	s_cbranch_execz .LBB4_277
; %bb.274:                              ;   in Loop: Header=BB4_126 Depth=2
	v_and_b32_e32 v4, 0x7f, v30
	v_cmp_ne_u32_e32 vcc, s53, v4
	v_mov_b32_e32 v0, 0x7f800001
	s_and_saveexec_b64 s[88:89], vcc
	s_cbranch_execz .LBB4_276
; %bb.275:                              ;   in Loop: Header=BB4_126 Depth=2
	v_and_b32_e32 v0, 7, v30
	v_lshrrev_b32_e32 v26, 3, v4
	v_cmp_gt_u32_e32 vcc, 8, v4
	v_ffbh_u32_e32 v4, v0
	v_min_u32_e32 v28, 32, v4
	v_subrev_u32_e32 v4, 28, v28
	v_lshlrev_b64 v[4:5], v4, v[30:31]
	v_sub_u32_e32 v5, 29, v28
	v_and_b32_e32 v4, 7, v4
	v_cndmask_b32_e32 v5, v26, v5, vcc
	v_cndmask_b32_e32 v0, v0, v4, vcc
	v_lshlrev_b32_e32 v4, 16, v19
	v_lshlrev_b32_e32 v0, 20, v0
	v_and_b32_e32 v4, 0x80000000, v4
	v_lshl_add_u32 v5, v5, 23, v50
	v_or3_b32 v0, v4, v5, v0
.LBB4_276:                              ;   in Loop: Header=BB4_126 Depth=2
	s_or_b64 exec, exec, s[88:89]
.LBB4_277:                              ;   in Loop: Header=BB4_126 Depth=2
	s_or_b64 exec, exec, s[78:79]
.LBB4_278:                              ;   in Loop: Header=BB4_126 Depth=2
	s_or_b64 exec, exec, s[20:21]
	v_add_f32_e32 v1, v1, v0
	v_and_b32_e32 v52, 0x7f800000, v1
	v_cmp_ne_u64_e32 vcc, s[56:57], v[52:53]
                                        ; implicit-def: $vgpr44
	s_and_saveexec_b64 s[20:21], vcc
	s_xor_b64 s[78:79], exec, s[20:21]
	s_cbranch_execz .LBB4_292
; %bb.279:                              ;   in Loop: Header=BB4_126 Depth=2
	v_and_b32_e32 v52, 0x7fffffff, v1
	v_cmp_gt_u64_e32 vcc, s[58:59], v[52:53]
	v_and_b32_sdwa v0, v1, s52 dst_sel:DWORD dst_unused:UNUSED_PAD src0_sel:BYTE_3 src1_sel:DWORD
                                        ; implicit-def: $vgpr44
	s_and_saveexec_b64 s[20:21], vcc
	s_xor_b64 s[88:89], exec, s[20:21]
	s_cbranch_execz .LBB4_289
; %bb.280:                              ;   in Loop: Header=BB4_126 Depth=2
	v_mov_b32_e32 v44, 0
	v_cmp_ne_u32_e32 vcc, 0, v1
	s_and_saveexec_b64 s[90:91], vcc
	s_cbranch_execz .LBB4_288
; %bb.281:                              ;   in Loop: Header=BB4_126 Depth=2
	v_and_b32_e32 v5, 0x7fffff, v1
	v_bfe_u32 v1, v1, 23, 8
	v_cmp_gt_u32_e64 s[20:21], s54, v1
	v_sub_u32_e32 v4, 0x79, v1
	v_cmp_eq_u32_e32 vcc, 0, v1
	v_cndmask_b32_e64 v4, 0, v4, s[20:21]
	v_mov_b32_e32 v28, 0x78
	v_or_b32_e32 v26, 0x800000, v5
	v_cndmask_b32_e32 v4, v4, v28, vcc
	v_cndmask_b32_e32 v52, v26, v5, vcc
	v_add_u32_e32 v5, 20, v4
	v_lshlrev_b64 v[30:31], v5, -1
	v_add_u32_e32 v5, 19, v4
	v_lshlrev_b64 v[34:35], v5, 1
	v_lshrrev_b64 v[60:61], v4, v[52:53]
	v_bfi_b32 v31, v31, 0, 0
	v_bfi_b32 v30, v30, 0, v52
	v_cmp_eq_u64_e64 s[20:21], v[30:31], v[34:35]
	v_mov_b32_e32 v62, v61
	v_mov_b32_e32 v61, v60
	s_and_saveexec_b64 s[92:93], s[20:21]
; %bb.282:                              ;   in Loop: Header=BB4_126 Depth=2
	v_bfe_u32 v5, v60, 20, 1
	v_add_co_u32_e64 v5, s[20:21], v60, v5
	v_add_co_u32_e64 v61, s[20:21], -1, v5
; %bb.283:                              ;   in Loop: Header=BB4_126 Depth=2
	s_or_b64 exec, exec, s[92:93]
	v_add_u32_e32 v1, 0xffffff81, v1
	v_mov_b32_e32 v5, 0xffffff82
	v_cndmask_b32_e32 v1, v1, v5, vcc
	v_lshrrev_b32_e32 v5, 23, v60
	v_add3_u32 v5, v4, v1, v5
	v_add_u32_e32 v4, 6, v5
	v_and_b32_e32 v1, 0xfffff, v61
	v_add_u32_e32 v52, v1, v60
	v_cmp_ne_u32_e32 vcc, 0, v4
                                        ; implicit-def: $vgpr60_vgpr61
                                        ; implicit-def: $vgpr1
	s_and_saveexec_b64 s[20:21], vcc
	s_xor_b64 s[20:21], exec, s[20:21]
; %bb.284:                              ;   in Loop: Header=BB4_126 Depth=2
	v_cmp_lt_u64_e32 vcc, s[60:61], v[52:53]
	v_add_u32_e32 v1, 7, v5
	v_cndmask_b32_e32 v1, v4, v1, vcc
	v_cndmask_b32_e64 v4, 0, 1, vcc
	v_lshrrev_b64 v[60:61], v4, v[52:53]
; %bb.285:                              ;   in Loop: Header=BB4_126 Depth=2
	s_andn2_saveexec_b64 s[20:21], s[20:21]
; %bb.286:                              ;   in Loop: Header=BB4_126 Depth=2
	v_mov_b32_e32 v61, v53
	v_bfe_u32 v1, v52, 23, 1
	v_mov_b32_e32 v60, v52
; %bb.287:                              ;   in Loop: Header=BB4_126 Depth=2
	s_or_b64 exec, exec, s[20:21]
	v_lshrrev_b64 v[4:5], 20, v[60:61]
	v_cmp_gt_i32_e32 vcc, 16, v1
	v_cndmask_b32_e32 v5, 0, v5, vcc
	v_cndmask_b32_e32 v4, 7, v4, vcc
	v_cmp_eq_u32_e32 vcc, 0, v1
	v_min_i32_e32 v1, 15, v1
	v_cmp_eq_u64_e64 s[20:21], 0, v[4:5]
	v_lshlrev_b32_e32 v1, 3, v1
	v_and_b32_e32 v1, 0xf8, v1
	v_and_or_b32 v1, v4, 7, v1
	s_and_b64 s[20:21], vcc, s[20:21]
	v_cndmask_b32_e64 v1, v1, 0, s[20:21]
	v_or_b32_e32 v44, v1, v0
.LBB4_288:                              ;   in Loop: Header=BB4_126 Depth=2
	s_or_b64 exec, exec, s[90:91]
                                        ; implicit-def: $vgpr0
.LBB4_289:                              ;   in Loop: Header=BB4_126 Depth=2
	s_andn2_saveexec_b64 s[20:21], s[88:89]
; %bb.290:                              ;   in Loop: Header=BB4_126 Depth=2
	v_or_b32_e32 v44, 0x7e, v0
; %bb.291:                              ;   in Loop: Header=BB4_126 Depth=2
	s_or_b64 exec, exec, s[20:21]
                                        ; implicit-def: $vgpr1
.LBB4_292:                              ;   in Loop: Header=BB4_126 Depth=2
	s_andn2_saveexec_b64 s[20:21], s[78:79]
; %bb.293:                              ;   in Loop: Header=BB4_126 Depth=2
	v_or_b32_sdwa v44, v1, s53 dst_sel:DWORD dst_unused:UNUSED_PAD src0_sel:BYTE_3 src1_sel:DWORD
; %bb.294:                              ;   in Loop: Header=BB4_126 Depth=2
	s_or_b64 exec, exec, s[20:21]
	v_lshrrev_b32_e32 v30, 16, v23
	v_cmp_ne_u16_sdwa s[78:79], v30, v53 src0_sel:BYTE_0 src1_sel:DWORD
	v_mov_b32_e32 v0, 0
	v_mov_b32_e32 v1, 0
	s_and_saveexec_b64 s[20:21], s[78:79]
	s_cbranch_execz .LBB4_300
; %bb.295:                              ;   in Loop: Header=BB4_126 Depth=2
	v_cmp_ne_u16_sdwa s[88:89], v30, s52 src0_sel:BYTE_0 src1_sel:DWORD
	v_bfrev_b32_e32 v1, 1
	s_and_saveexec_b64 s[78:79], s[88:89]
	s_cbranch_execz .LBB4_299
; %bb.296:                              ;   in Loop: Header=BB4_126 Depth=2
	v_bfe_u32 v4, v23, 16, 7
	v_cmp_ne_u32_e32 vcc, s53, v4
	v_mov_b32_e32 v1, 0x7f800001
	s_and_saveexec_b64 s[88:89], vcc
	s_cbranch_execz .LBB4_298
; %bb.297:                              ;   in Loop: Header=BB4_126 Depth=2
	v_and_b32_e32 v1, 7, v30
	v_lshrrev_b32_e32 v26, 3, v4
	v_cmp_gt_u32_e32 vcc, 8, v4
	v_ffbh_u32_e32 v4, v1
	v_min_u32_e32 v28, 32, v4
	v_subrev_u32_e32 v4, 28, v28
	v_lshlrev_b64 v[4:5], v4, v[30:31]
	v_sub_u32_e32 v5, 29, v28
	v_and_b32_e32 v4, 7, v4
	v_cndmask_b32_e32 v5, v26, v5, vcc
	v_cndmask_b32_e32 v1, v1, v4, vcc
	v_lshlrev_b32_e32 v4, 24, v30
	v_lshlrev_b32_e32 v1, 20, v1
	v_and_b32_e32 v4, 0x80000000, v4
	v_lshl_add_u32 v5, v5, 23, v50
	v_or3_b32 v1, v4, v5, v1
.LBB4_298:                              ;   in Loop: Header=BB4_126 Depth=2
	s_or_b64 exec, exec, s[88:89]
.LBB4_299:                              ;   in Loop: Header=BB4_126 Depth=2
	s_or_b64 exec, exec, s[78:79]
.LBB4_300:                              ;   in Loop: Header=BB4_126 Depth=2
	s_or_b64 exec, exec, s[20:21]
	v_lshrrev_b32_e32 v30, 16, v19
	v_cmp_ne_u16_sdwa s[78:79], v30, v53 src0_sel:BYTE_0 src1_sel:DWORD
	s_and_saveexec_b64 s[20:21], s[78:79]
	s_cbranch_execz .LBB4_306
; %bb.301:                              ;   in Loop: Header=BB4_126 Depth=2
	v_cmp_ne_u16_sdwa s[88:89], v30, s52 src0_sel:BYTE_0 src1_sel:DWORD
	v_bfrev_b32_e32 v0, 1
	s_and_saveexec_b64 s[78:79], s[88:89]
	s_cbranch_execz .LBB4_305
; %bb.302:                              ;   in Loop: Header=BB4_126 Depth=2
	v_bfe_u32 v4, v19, 16, 7
	v_cmp_ne_u32_e32 vcc, s53, v4
	v_mov_b32_e32 v0, 0x7f800001
	s_and_saveexec_b64 s[88:89], vcc
	s_cbranch_execz .LBB4_304
; %bb.303:                              ;   in Loop: Header=BB4_126 Depth=2
	v_and_b32_e32 v0, 7, v30
	v_lshrrev_b32_e32 v26, 3, v4
	v_cmp_gt_u32_e32 vcc, 8, v4
	v_ffbh_u32_e32 v4, v0
	v_min_u32_e32 v28, 32, v4
	v_subrev_u32_e32 v4, 28, v28
	v_lshlrev_b64 v[4:5], v4, v[30:31]
	v_sub_u32_e32 v5, 29, v28
	v_and_b32_e32 v4, 7, v4
	v_cndmask_b32_e32 v5, v26, v5, vcc
	v_cndmask_b32_e32 v0, v0, v4, vcc
	v_lshlrev_b32_e32 v4, 8, v19
	v_lshlrev_b32_e32 v0, 20, v0
	v_and_b32_e32 v4, 0x80000000, v4
	v_lshl_add_u32 v5, v5, 23, v50
	v_or3_b32 v0, v4, v5, v0
.LBB4_304:                              ;   in Loop: Header=BB4_126 Depth=2
	s_or_b64 exec, exec, s[88:89]
.LBB4_305:                              ;   in Loop: Header=BB4_126 Depth=2
	s_or_b64 exec, exec, s[78:79]
.LBB4_306:                              ;   in Loop: Header=BB4_126 Depth=2
	s_or_b64 exec, exec, s[20:21]
	v_add_f32_e32 v1, v1, v0
	v_and_b32_e32 v52, 0x7f800000, v1
	v_cmp_ne_u64_e32 vcc, s[56:57], v[52:53]
                                        ; implicit-def: $vgpr30
	s_and_saveexec_b64 s[20:21], vcc
	s_xor_b64 s[78:79], exec, s[20:21]
	s_cbranch_execz .LBB4_320
; %bb.307:                              ;   in Loop: Header=BB4_126 Depth=2
	v_and_b32_e32 v52, 0x7fffffff, v1
	v_cmp_gt_u64_e32 vcc, s[58:59], v[52:53]
	v_and_b32_sdwa v0, v1, s52 dst_sel:DWORD dst_unused:UNUSED_PAD src0_sel:BYTE_3 src1_sel:DWORD
                                        ; implicit-def: $vgpr30
	s_and_saveexec_b64 s[20:21], vcc
	s_xor_b64 s[88:89], exec, s[20:21]
	s_cbranch_execz .LBB4_317
; %bb.308:                              ;   in Loop: Header=BB4_126 Depth=2
	v_mov_b32_e32 v30, 0
	v_cmp_ne_u32_e32 vcc, 0, v1
	s_and_saveexec_b64 s[90:91], vcc
	s_cbranch_execz .LBB4_316
; %bb.309:                              ;   in Loop: Header=BB4_126 Depth=2
	v_and_b32_e32 v5, 0x7fffff, v1
	v_bfe_u32 v1, v1, 23, 8
	v_cmp_gt_u32_e64 s[20:21], s54, v1
	v_sub_u32_e32 v4, 0x79, v1
	v_cmp_eq_u32_e32 vcc, 0, v1
	v_cndmask_b32_e64 v4, 0, v4, s[20:21]
	v_mov_b32_e32 v28, 0x78
	v_or_b32_e32 v26, 0x800000, v5
	v_cndmask_b32_e32 v4, v4, v28, vcc
	v_cndmask_b32_e32 v52, v26, v5, vcc
	v_add_u32_e32 v5, 20, v4
	v_lshlrev_b64 v[30:31], v5, -1
	v_add_u32_e32 v5, 19, v4
	v_lshlrev_b64 v[34:35], v5, 1
	v_lshrrev_b64 v[60:61], v4, v[52:53]
	v_bfi_b32 v31, v31, 0, 0
	v_bfi_b32 v30, v30, 0, v52
	v_cmp_eq_u64_e64 s[20:21], v[30:31], v[34:35]
	v_mov_b32_e32 v62, v61
	v_mov_b32_e32 v61, v60
	s_and_saveexec_b64 s[92:93], s[20:21]
; %bb.310:                              ;   in Loop: Header=BB4_126 Depth=2
	v_bfe_u32 v5, v60, 20, 1
	v_add_co_u32_e64 v5, s[20:21], v60, v5
	v_add_co_u32_e64 v61, s[20:21], -1, v5
; %bb.311:                              ;   in Loop: Header=BB4_126 Depth=2
	s_or_b64 exec, exec, s[92:93]
	v_add_u32_e32 v1, 0xffffff81, v1
	v_mov_b32_e32 v5, 0xffffff82
	v_cndmask_b32_e32 v1, v1, v5, vcc
	v_lshrrev_b32_e32 v5, 23, v60
	v_add3_u32 v5, v4, v1, v5
	v_add_u32_e32 v4, 6, v5
	v_and_b32_e32 v1, 0xfffff, v61
	v_add_u32_e32 v52, v1, v60
	v_cmp_ne_u32_e32 vcc, 0, v4
                                        ; implicit-def: $vgpr60_vgpr61
                                        ; implicit-def: $vgpr1
	s_and_saveexec_b64 s[20:21], vcc
	s_xor_b64 s[20:21], exec, s[20:21]
; %bb.312:                              ;   in Loop: Header=BB4_126 Depth=2
	v_cmp_lt_u64_e32 vcc, s[60:61], v[52:53]
	v_add_u32_e32 v1, 7, v5
	v_cndmask_b32_e32 v1, v4, v1, vcc
	v_cndmask_b32_e64 v4, 0, 1, vcc
	v_lshrrev_b64 v[60:61], v4, v[52:53]
; %bb.313:                              ;   in Loop: Header=BB4_126 Depth=2
	s_andn2_saveexec_b64 s[20:21], s[20:21]
; %bb.314:                              ;   in Loop: Header=BB4_126 Depth=2
	v_mov_b32_e32 v61, v53
	v_bfe_u32 v1, v52, 23, 1
	v_mov_b32_e32 v60, v52
; %bb.315:                              ;   in Loop: Header=BB4_126 Depth=2
	s_or_b64 exec, exec, s[20:21]
	v_lshrrev_b64 v[4:5], 20, v[60:61]
	v_cmp_gt_i32_e32 vcc, 16, v1
	v_cndmask_b32_e32 v5, 0, v5, vcc
	v_cndmask_b32_e32 v4, 7, v4, vcc
	v_cmp_eq_u32_e32 vcc, 0, v1
	v_min_i32_e32 v1, 15, v1
	v_cmp_eq_u64_e64 s[20:21], 0, v[4:5]
	v_lshlrev_b32_e32 v1, 3, v1
	v_and_b32_e32 v1, 0xf8, v1
	v_and_or_b32 v1, v4, 7, v1
	s_and_b64 s[20:21], vcc, s[20:21]
	v_cndmask_b32_e64 v1, v1, 0, s[20:21]
	v_or_b32_e32 v30, v1, v0
.LBB4_316:                              ;   in Loop: Header=BB4_126 Depth=2
	s_or_b64 exec, exec, s[90:91]
                                        ; implicit-def: $vgpr0
.LBB4_317:                              ;   in Loop: Header=BB4_126 Depth=2
	s_andn2_saveexec_b64 s[20:21], s[88:89]
; %bb.318:                              ;   in Loop: Header=BB4_126 Depth=2
	v_or_b32_e32 v30, 0x7e, v0
; %bb.319:                              ;   in Loop: Header=BB4_126 Depth=2
	s_or_b64 exec, exec, s[20:21]
                                        ; implicit-def: $vgpr1
.LBB4_320:                              ;   in Loop: Header=BB4_126 Depth=2
	s_andn2_saveexec_b64 s[20:21], s[78:79]
; %bb.321:                              ;   in Loop: Header=BB4_126 Depth=2
	v_or_b32_sdwa v30, v1, s53 dst_sel:DWORD dst_unused:UNUSED_PAD src0_sel:BYTE_3 src1_sel:DWORD
; %bb.322:                              ;   in Loop: Header=BB4_126 Depth=2
	s_or_b64 exec, exec, s[20:21]
	v_cmp_lt_u64_e32 vcc, s[62:63], v[22:23]
	v_mov_b32_e32 v0, 0
	v_mov_b32_e32 v1, 0
	s_and_saveexec_b64 s[20:21], vcc
	s_cbranch_execz .LBB4_328
; %bb.323:                              ;   in Loop: Header=BB4_126 Depth=2
	v_lshrrev_b32_e32 v22, 24, v23
	v_cmp_ne_u32_e32 vcc, s52, v22
	v_bfrev_b32_e32 v1, 1
	s_and_saveexec_b64 s[78:79], vcc
	s_cbranch_execz .LBB4_327
; %bb.324:                              ;   in Loop: Header=BB4_126 Depth=2
	v_bfe_u32 v4, v23, 24, 7
	v_cmp_ne_u32_e32 vcc, s53, v4
	v_mov_b32_e32 v1, 0x7f800001
	s_and_saveexec_b64 s[88:89], vcc
	s_cbranch_execz .LBB4_326
; %bb.325:                              ;   in Loop: Header=BB4_126 Depth=2
	v_and_b32_e32 v1, 7, v22
	v_lshrrev_b32_e32 v23, 3, v4
	v_cmp_gt_u32_e32 vcc, 8, v4
	v_ffbh_u32_e32 v4, v1
	v_min_u32_e32 v26, 32, v4
	v_subrev_u32_e32 v4, 28, v26
	v_lshlrev_b64 v[4:5], v4, v[22:23]
	v_sub_u32_e32 v5, 29, v26
	v_and_b32_e32 v4, 7, v4
	v_cndmask_b32_e32 v5, v23, v5, vcc
	v_cndmask_b32_e32 v1, v1, v4, vcc
	v_lshlrev_b32_e32 v4, 24, v22
	v_lshlrev_b32_e32 v1, 20, v1
	v_and_b32_e32 v4, 0x80000000, v4
	v_lshl_add_u32 v5, v5, 23, v50
	v_or3_b32 v1, v4, v5, v1
.LBB4_326:                              ;   in Loop: Header=BB4_126 Depth=2
	s_or_b64 exec, exec, s[88:89]
.LBB4_327:                              ;   in Loop: Header=BB4_126 Depth=2
	s_or_b64 exec, exec, s[78:79]
.LBB4_328:                              ;   in Loop: Header=BB4_126 Depth=2
	s_or_b64 exec, exec, s[20:21]
	v_cmp_lt_u64_e32 vcc, s[62:63], v[18:19]
	s_and_saveexec_b64 s[20:21], vcc
	s_cbranch_execz .LBB4_334
; %bb.329:                              ;   in Loop: Header=BB4_126 Depth=2
	v_lshrrev_b32_e32 v18, 24, v19
	v_cmp_ne_u32_e32 vcc, s52, v18
	v_bfrev_b32_e32 v0, 1
	s_and_saveexec_b64 s[78:79], vcc
	s_cbranch_execz .LBB4_333
; %bb.330:                              ;   in Loop: Header=BB4_126 Depth=2
	v_bfe_u32 v4, v19, 24, 7
	v_cmp_ne_u32_e32 vcc, s53, v4
	v_mov_b32_e32 v0, 0x7f800001
	s_and_saveexec_b64 s[88:89], vcc
	s_cbranch_execz .LBB4_332
; %bb.331:                              ;   in Loop: Header=BB4_126 Depth=2
	v_and_b32_e32 v0, 7, v18
	v_lshrrev_b32_e32 v19, 3, v4
	v_cmp_gt_u32_e32 vcc, 8, v4
	v_ffbh_u32_e32 v4, v0
	v_min_u32_e32 v22, 32, v4
	v_subrev_u32_e32 v4, 28, v22
	v_lshlrev_b64 v[4:5], v4, v[18:19]
	v_sub_u32_e32 v5, 29, v22
	v_and_b32_e32 v4, 7, v4
	v_cndmask_b32_e32 v5, v19, v5, vcc
	v_cndmask_b32_e32 v0, v0, v4, vcc
	v_lshlrev_b32_e32 v4, 24, v18
	v_lshlrev_b32_e32 v0, 20, v0
	v_and_b32_e32 v4, 0x80000000, v4
	v_lshl_add_u32 v5, v5, 23, v50
	v_or3_b32 v0, v4, v5, v0
.LBB4_332:                              ;   in Loop: Header=BB4_126 Depth=2
	s_or_b64 exec, exec, s[88:89]
.LBB4_333:                              ;   in Loop: Header=BB4_126 Depth=2
	s_or_b64 exec, exec, s[78:79]
.LBB4_334:                              ;   in Loop: Header=BB4_126 Depth=2
	s_or_b64 exec, exec, s[20:21]
	v_add_f32_e32 v1, v1, v0
	v_and_b32_e32 v52, 0x7f800000, v1
	v_cmp_ne_u64_e32 vcc, s[56:57], v[52:53]
                                        ; implicit-def: $vgpr45
	s_and_saveexec_b64 s[20:21], vcc
	s_xor_b64 s[78:79], exec, s[20:21]
	s_cbranch_execz .LBB4_348
; %bb.335:                              ;   in Loop: Header=BB4_126 Depth=2
	v_and_b32_e32 v52, 0x7fffffff, v1
	v_cmp_gt_u64_e32 vcc, s[58:59], v[52:53]
	v_and_b32_sdwa v0, v1, s52 dst_sel:DWORD dst_unused:UNUSED_PAD src0_sel:BYTE_3 src1_sel:DWORD
                                        ; implicit-def: $vgpr45
	s_and_saveexec_b64 s[20:21], vcc
	s_xor_b64 s[88:89], exec, s[20:21]
	s_cbranch_execz .LBB4_345
; %bb.336:                              ;   in Loop: Header=BB4_126 Depth=2
	v_mov_b32_e32 v45, 0
	v_cmp_ne_u32_e32 vcc, 0, v1
	s_and_saveexec_b64 s[90:91], vcc
	s_cbranch_execz .LBB4_344
; %bb.337:                              ;   in Loop: Header=BB4_126 Depth=2
	v_and_b32_e32 v5, 0x7fffff, v1
	v_bfe_u32 v1, v1, 23, 8
	v_cmp_gt_u32_e64 s[20:21], s54, v1
	v_sub_u32_e32 v4, 0x79, v1
	v_cmp_eq_u32_e32 vcc, 0, v1
	v_cndmask_b32_e64 v4, 0, v4, s[20:21]
	v_mov_b32_e32 v19, 0x78
	v_or_b32_e32 v18, 0x800000, v5
	v_cndmask_b32_e32 v4, v4, v19, vcc
	v_cndmask_b32_e32 v52, v18, v5, vcc
	v_add_u32_e32 v5, 20, v4
	v_lshlrev_b64 v[18:19], v5, -1
	v_add_u32_e32 v5, 19, v4
	v_lshlrev_b64 v[22:23], v5, 1
	v_bfi_b32 v19, v19, 0, 0
	v_bfi_b32 v18, v18, 0, v52
	v_cmp_eq_u64_e64 s[20:21], v[18:19], v[22:23]
	v_lshrrev_b64 v[18:19], v4, v[52:53]
	v_mov_b32_e32 v23, v19
	v_mov_b32_e32 v22, v18
	s_and_saveexec_b64 s[92:93], s[20:21]
; %bb.338:                              ;   in Loop: Header=BB4_126 Depth=2
	v_bfe_u32 v5, v18, 20, 1
	v_add_co_u32_e64 v5, s[20:21], v18, v5
	v_add_co_u32_e64 v22, s[20:21], -1, v5
; %bb.339:                              ;   in Loop: Header=BB4_126 Depth=2
	s_or_b64 exec, exec, s[92:93]
	v_add_u32_e32 v1, 0xffffff81, v1
	v_mov_b32_e32 v5, 0xffffff82
	v_cndmask_b32_e32 v1, v1, v5, vcc
	v_lshrrev_b32_e32 v5, 23, v18
	v_add3_u32 v5, v4, v1, v5
	v_add_u32_e32 v4, 6, v5
	v_and_b32_e32 v1, 0xfffff, v22
	v_add_u32_e32 v52, v1, v18
	v_cmp_ne_u32_e32 vcc, 0, v4
                                        ; implicit-def: $vgpr18_vgpr19
                                        ; implicit-def: $vgpr1
	s_and_saveexec_b64 s[20:21], vcc
	s_xor_b64 s[20:21], exec, s[20:21]
; %bb.340:                              ;   in Loop: Header=BB4_126 Depth=2
	v_cmp_lt_u64_e32 vcc, s[60:61], v[52:53]
	v_add_u32_e32 v1, 7, v5
	v_cndmask_b32_e32 v1, v4, v1, vcc
	v_cndmask_b32_e64 v4, 0, 1, vcc
	v_lshrrev_b64 v[18:19], v4, v[52:53]
; %bb.341:                              ;   in Loop: Header=BB4_126 Depth=2
	s_andn2_saveexec_b64 s[20:21], s[20:21]
; %bb.342:                              ;   in Loop: Header=BB4_126 Depth=2
	v_mov_b32_e32 v18, v52
	v_bfe_u32 v1, v52, 23, 1
	v_mov_b32_e32 v19, v53
; %bb.343:                              ;   in Loop: Header=BB4_126 Depth=2
	s_or_b64 exec, exec, s[20:21]
	v_lshrrev_b64 v[4:5], 20, v[18:19]
	v_cmp_gt_i32_e32 vcc, 16, v1
	v_cndmask_b32_e32 v5, 0, v5, vcc
	v_cndmask_b32_e32 v4, 7, v4, vcc
	v_cmp_eq_u32_e32 vcc, 0, v1
	v_min_i32_e32 v1, 15, v1
	v_cmp_eq_u64_e64 s[20:21], 0, v[4:5]
	v_lshlrev_b32_e32 v1, 3, v1
	v_and_b32_e32 v1, 0xf8, v1
	v_and_or_b32 v1, v4, 7, v1
	s_and_b64 s[20:21], vcc, s[20:21]
	v_cndmask_b32_e64 v1, v1, 0, s[20:21]
	v_or_b32_e32 v45, v1, v0
.LBB4_344:                              ;   in Loop: Header=BB4_126 Depth=2
	s_or_b64 exec, exec, s[90:91]
                                        ; implicit-def: $vgpr0
.LBB4_345:                              ;   in Loop: Header=BB4_126 Depth=2
	s_andn2_saveexec_b64 s[20:21], s[88:89]
; %bb.346:                              ;   in Loop: Header=BB4_126 Depth=2
	v_or_b32_e32 v45, 0x7e, v0
; %bb.347:                              ;   in Loop: Header=BB4_126 Depth=2
	s_or_b64 exec, exec, s[20:21]
                                        ; implicit-def: $vgpr1
.LBB4_348:                              ;   in Loop: Header=BB4_126 Depth=2
	s_andn2_saveexec_b64 s[20:21], s[78:79]
; %bb.349:                              ;   in Loop: Header=BB4_126 Depth=2
	v_or_b32_sdwa v45, v1, s53 dst_sel:DWORD dst_unused:UNUSED_PAD src0_sel:BYTE_3 src1_sel:DWORD
; %bb.350:                              ;   in Loop: Header=BB4_126 Depth=2
	s_or_b64 exec, exec, s[20:21]
	v_cmp_ne_u16_sdwa s[78:79], v24, v53 src0_sel:BYTE_0 src1_sel:DWORD
	v_mov_b32_e32 v0, 0
	v_mov_b32_e32 v1, 0
	s_and_saveexec_b64 s[20:21], s[78:79]
	s_cbranch_execz .LBB4_356
; %bb.351:                              ;   in Loop: Header=BB4_126 Depth=2
	v_cmp_ne_u16_sdwa s[88:89], v24, s52 src0_sel:BYTE_0 src1_sel:DWORD
	v_bfrev_b32_e32 v1, 1
	s_and_saveexec_b64 s[78:79], s[88:89]
	s_cbranch_execz .LBB4_355
; %bb.352:                              ;   in Loop: Header=BB4_126 Depth=2
	v_and_b32_e32 v4, 0x7f, v24
	v_cmp_ne_u32_e32 vcc, s53, v4
	v_mov_b32_e32 v1, 0x7f800001
	s_and_saveexec_b64 s[88:89], vcc
	s_cbranch_execz .LBB4_354
; %bb.353:                              ;   in Loop: Header=BB4_126 Depth=2
	v_and_b32_e32 v1, 7, v24
	v_ffbh_u32_e32 v1, v1
	v_min_u32_e32 v1, 32, v1
	v_lshrrev_b32_e32 v5, 3, v4
	v_cmp_gt_u32_e32 vcc, 8, v4
	v_subrev_u32_e32 v4, 28, v1
	v_sub_u32_e32 v1, 29, v1
	v_cndmask_b32_e32 v4, 0, v4, vcc
	v_cndmask_b32_e32 v1, v5, v1, vcc
	v_lshlrev_b64 v[4:5], v4, v[24:25]
	v_lshlrev_b32_e32 v5, 24, v24
	v_lshlrev_b32_e32 v4, 20, v4
	v_and_b32_e32 v4, 0x700000, v4
	v_and_b32_e32 v5, 0x80000000, v5
	v_lshl_add_u32 v1, v1, 23, v50
	v_or3_b32 v1, v5, v1, v4
.LBB4_354:                              ;   in Loop: Header=BB4_126 Depth=2
	s_or_b64 exec, exec, s[88:89]
.LBB4_355:                              ;   in Loop: Header=BB4_126 Depth=2
	s_or_b64 exec, exec, s[78:79]
.LBB4_356:                              ;   in Loop: Header=BB4_126 Depth=2
	s_or_b64 exec, exec, s[20:21]
	v_cmp_ne_u16_sdwa s[78:79], v20, v53 src0_sel:BYTE_0 src1_sel:DWORD
	s_and_saveexec_b64 s[20:21], s[78:79]
	s_cbranch_execz .LBB4_362
; %bb.357:                              ;   in Loop: Header=BB4_126 Depth=2
	v_cmp_ne_u16_sdwa s[88:89], v20, s52 src0_sel:BYTE_0 src1_sel:DWORD
	v_bfrev_b32_e32 v0, 1
	s_and_saveexec_b64 s[78:79], s[88:89]
	s_cbranch_execz .LBB4_361
; %bb.358:                              ;   in Loop: Header=BB4_126 Depth=2
	v_and_b32_e32 v4, 0x7f, v20
	v_cmp_ne_u32_e32 vcc, s53, v4
	v_mov_b32_e32 v0, 0x7f800001
	s_and_saveexec_b64 s[88:89], vcc
	s_cbranch_execz .LBB4_360
; %bb.359:                              ;   in Loop: Header=BB4_126 Depth=2
	v_and_b32_e32 v0, 7, v20
	v_ffbh_u32_e32 v0, v0
	v_min_u32_e32 v0, 32, v0
	v_lshrrev_b32_e32 v5, 3, v4
	v_cmp_gt_u32_e32 vcc, 8, v4
	v_subrev_u32_e32 v4, 28, v0
	v_sub_u32_e32 v0, 29, v0
	v_cndmask_b32_e32 v4, 0, v4, vcc
	v_cndmask_b32_e32 v0, v5, v0, vcc
	v_lshlrev_b64 v[4:5], v4, v[20:21]
	v_lshlrev_b32_e32 v5, 24, v20
	v_lshlrev_b32_e32 v4, 20, v4
	v_and_b32_e32 v4, 0x700000, v4
	v_and_b32_e32 v5, 0x80000000, v5
	v_lshl_add_u32 v0, v0, 23, v50
	v_or3_b32 v0, v5, v0, v4
.LBB4_360:                              ;   in Loop: Header=BB4_126 Depth=2
	s_or_b64 exec, exec, s[88:89]
.LBB4_361:                              ;   in Loop: Header=BB4_126 Depth=2
	s_or_b64 exec, exec, s[78:79]
.LBB4_362:                              ;   in Loop: Header=BB4_126 Depth=2
	s_or_b64 exec, exec, s[20:21]
	v_add_f32_e32 v1, v1, v0
	v_and_b32_e32 v52, 0x7f800000, v1
	v_cmp_ne_u64_e32 vcc, s[56:57], v[52:53]
                                        ; implicit-def: $vgpr60
	s_and_saveexec_b64 s[20:21], vcc
	s_xor_b64 s[78:79], exec, s[20:21]
	s_cbranch_execz .LBB4_376
; %bb.363:                              ;   in Loop: Header=BB4_126 Depth=2
	v_and_b32_e32 v52, 0x7fffffff, v1
	v_cmp_gt_u64_e32 vcc, s[58:59], v[52:53]
	v_and_b32_sdwa v0, v1, s52 dst_sel:DWORD dst_unused:UNUSED_PAD src0_sel:BYTE_3 src1_sel:DWORD
                                        ; implicit-def: $vgpr60
	s_and_saveexec_b64 s[20:21], vcc
	s_xor_b64 s[88:89], exec, s[20:21]
	s_cbranch_execz .LBB4_373
; %bb.364:                              ;   in Loop: Header=BB4_126 Depth=2
	v_mov_b32_e32 v60, 0
	v_cmp_ne_u32_e32 vcc, 0, v1
	s_and_saveexec_b64 s[90:91], vcc
	s_cbranch_execz .LBB4_372
; %bb.365:                              ;   in Loop: Header=BB4_126 Depth=2
	v_and_b32_e32 v5, 0x7fffff, v1
	v_bfe_u32 v1, v1, 23, 8
	v_cmp_gt_u32_e64 s[20:21], s54, v1
	v_sub_u32_e32 v4, 0x79, v1
	v_cmp_eq_u32_e32 vcc, 0, v1
	v_cndmask_b32_e64 v4, 0, v4, s[20:21]
	v_mov_b32_e32 v19, 0x78
	v_or_b32_e32 v18, 0x800000, v5
	v_cndmask_b32_e32 v4, v4, v19, vcc
	v_cndmask_b32_e32 v52, v18, v5, vcc
	v_add_u32_e32 v5, 20, v4
	v_lshlrev_b64 v[18:19], v5, -1
	v_add_u32_e32 v5, 19, v4
	v_lshlrev_b64 v[22:23], v5, 1
	v_bfi_b32 v19, v19, 0, 0
	v_bfi_b32 v18, v18, 0, v52
	v_cmp_eq_u64_e64 s[20:21], v[18:19], v[22:23]
	v_lshrrev_b64 v[18:19], v4, v[52:53]
	v_mov_b32_e32 v23, v19
	v_mov_b32_e32 v22, v18
	s_and_saveexec_b64 s[92:93], s[20:21]
; %bb.366:                              ;   in Loop: Header=BB4_126 Depth=2
	v_bfe_u32 v5, v18, 20, 1
	v_add_co_u32_e64 v5, s[20:21], v18, v5
	v_add_co_u32_e64 v22, s[20:21], -1, v5
; %bb.367:                              ;   in Loop: Header=BB4_126 Depth=2
	s_or_b64 exec, exec, s[92:93]
	v_add_u32_e32 v1, 0xffffff81, v1
	v_mov_b32_e32 v5, 0xffffff82
	v_cndmask_b32_e32 v1, v1, v5, vcc
	v_lshrrev_b32_e32 v5, 23, v18
	v_add3_u32 v5, v4, v1, v5
	v_add_u32_e32 v4, 6, v5
	v_and_b32_e32 v1, 0xfffff, v22
	v_add_u32_e32 v52, v1, v18
	v_cmp_ne_u32_e32 vcc, 0, v4
                                        ; implicit-def: $vgpr18_vgpr19
                                        ; implicit-def: $vgpr1
	s_and_saveexec_b64 s[20:21], vcc
	s_xor_b64 s[20:21], exec, s[20:21]
; %bb.368:                              ;   in Loop: Header=BB4_126 Depth=2
	v_cmp_lt_u64_e32 vcc, s[60:61], v[52:53]
	v_add_u32_e32 v1, 7, v5
	v_cndmask_b32_e32 v1, v4, v1, vcc
	v_cndmask_b32_e64 v4, 0, 1, vcc
	v_lshrrev_b64 v[18:19], v4, v[52:53]
; %bb.369:                              ;   in Loop: Header=BB4_126 Depth=2
	s_andn2_saveexec_b64 s[20:21], s[20:21]
; %bb.370:                              ;   in Loop: Header=BB4_126 Depth=2
	v_mov_b32_e32 v18, v52
	v_bfe_u32 v1, v52, 23, 1
	v_mov_b32_e32 v19, v53
; %bb.371:                              ;   in Loop: Header=BB4_126 Depth=2
	s_or_b64 exec, exec, s[20:21]
	v_lshrrev_b64 v[4:5], 20, v[18:19]
	v_cmp_gt_i32_e32 vcc, 16, v1
	v_cndmask_b32_e32 v5, 0, v5, vcc
	v_cndmask_b32_e32 v4, 7, v4, vcc
	v_cmp_eq_u32_e32 vcc, 0, v1
	v_min_i32_e32 v1, 15, v1
	v_cmp_eq_u64_e64 s[20:21], 0, v[4:5]
	v_lshlrev_b32_e32 v1, 3, v1
	v_and_b32_e32 v1, 0xf8, v1
	v_and_or_b32 v1, v4, 7, v1
	s_and_b64 s[20:21], vcc, s[20:21]
	v_cndmask_b32_e64 v1, v1, 0, s[20:21]
	v_or_b32_e32 v60, v1, v0
.LBB4_372:                              ;   in Loop: Header=BB4_126 Depth=2
	s_or_b64 exec, exec, s[90:91]
                                        ; implicit-def: $vgpr0
.LBB4_373:                              ;   in Loop: Header=BB4_126 Depth=2
	s_andn2_saveexec_b64 s[20:21], s[88:89]
; %bb.374:                              ;   in Loop: Header=BB4_126 Depth=2
	v_or_b32_e32 v60, 0x7e, v0
; %bb.375:                              ;   in Loop: Header=BB4_126 Depth=2
	s_or_b64 exec, exec, s[20:21]
                                        ; implicit-def: $vgpr1
.LBB4_376:                              ;   in Loop: Header=BB4_126 Depth=2
	s_andn2_saveexec_b64 s[20:21], s[78:79]
; %bb.377:                              ;   in Loop: Header=BB4_126 Depth=2
	v_or_b32_sdwa v60, v1, s53 dst_sel:DWORD dst_unused:UNUSED_PAD src0_sel:BYTE_3 src1_sel:DWORD
; %bb.378:                              ;   in Loop: Header=BB4_126 Depth=2
	s_or_b64 exec, exec, s[20:21]
	v_lshrrev_b16_e32 v18, 8, v24
	v_cmp_ne_u16_e32 vcc, 0, v18
	v_mov_b32_e32 v0, 0
	v_mov_b32_e32 v1, 0
	s_and_saveexec_b64 s[20:21], vcc
	s_cbranch_execz .LBB4_384
; %bb.379:                              ;   in Loop: Header=BB4_126 Depth=2
	v_cmp_ne_u16_e32 vcc, s52, v18
	v_bfrev_b32_e32 v1, 1
	s_and_saveexec_b64 s[78:79], vcc
	s_cbranch_execz .LBB4_383
; %bb.380:                              ;   in Loop: Header=BB4_126 Depth=2
	v_and_b32_e32 v4, 0x7f, v18
	v_cmp_ne_u32_e32 vcc, s53, v4
	v_mov_b32_e32 v1, 0x7f800001
	s_and_saveexec_b64 s[88:89], vcc
	s_cbranch_execz .LBB4_382
; %bb.381:                              ;   in Loop: Header=BB4_126 Depth=2
	v_and_b32_e32 v1, 7, v18
	v_lshrrev_b32_e32 v19, 3, v4
	v_cmp_gt_u32_e32 vcc, 8, v4
	v_ffbh_u32_e32 v4, v1
	v_min_u32_e32 v22, 32, v4
	v_subrev_u32_e32 v4, 28, v22
	v_lshlrev_b64 v[4:5], v4, v[18:19]
	v_sub_u32_e32 v5, 29, v22
	v_and_b32_e32 v4, 7, v4
	v_cndmask_b32_e32 v5, v19, v5, vcc
	v_cndmask_b32_e32 v1, v1, v4, vcc
	v_lshlrev_b32_e32 v4, 16, v24
	v_lshlrev_b32_e32 v1, 20, v1
	v_and_b32_e32 v4, 0x80000000, v4
	v_lshl_add_u32 v5, v5, 23, v50
	v_or3_b32 v1, v4, v5, v1
.LBB4_382:                              ;   in Loop: Header=BB4_126 Depth=2
	s_or_b64 exec, exec, s[88:89]
.LBB4_383:                              ;   in Loop: Header=BB4_126 Depth=2
	s_or_b64 exec, exec, s[78:79]
.LBB4_384:                              ;   in Loop: Header=BB4_126 Depth=2
	s_or_b64 exec, exec, s[20:21]
	v_lshrrev_b16_e32 v18, 8, v20
	v_cmp_ne_u16_e32 vcc, 0, v18
	s_and_saveexec_b64 s[20:21], vcc
	s_cbranch_execz .LBB4_390
; %bb.385:                              ;   in Loop: Header=BB4_126 Depth=2
	v_cmp_ne_u16_e32 vcc, s52, v18
	v_bfrev_b32_e32 v0, 1
	s_and_saveexec_b64 s[78:79], vcc
	s_cbranch_execz .LBB4_389
; %bb.386:                              ;   in Loop: Header=BB4_126 Depth=2
	v_and_b32_e32 v4, 0x7f, v18
	v_cmp_ne_u32_e32 vcc, s53, v4
	v_mov_b32_e32 v0, 0x7f800001
	s_and_saveexec_b64 s[88:89], vcc
	s_cbranch_execz .LBB4_388
; %bb.387:                              ;   in Loop: Header=BB4_126 Depth=2
	v_and_b32_e32 v0, 7, v18
	v_lshrrev_b32_e32 v19, 3, v4
	v_cmp_gt_u32_e32 vcc, 8, v4
	v_ffbh_u32_e32 v4, v0
	v_min_u32_e32 v22, 32, v4
	v_subrev_u32_e32 v4, 28, v22
	v_lshlrev_b64 v[4:5], v4, v[18:19]
	v_sub_u32_e32 v5, 29, v22
	v_and_b32_e32 v4, 7, v4
	v_cndmask_b32_e32 v5, v19, v5, vcc
	v_cndmask_b32_e32 v0, v0, v4, vcc
	v_lshlrev_b32_e32 v4, 16, v20
	v_lshlrev_b32_e32 v0, 20, v0
	v_and_b32_e32 v4, 0x80000000, v4
	v_lshl_add_u32 v5, v5, 23, v50
	v_or3_b32 v0, v4, v5, v0
.LBB4_388:                              ;   in Loop: Header=BB4_126 Depth=2
	s_or_b64 exec, exec, s[88:89]
.LBB4_389:                              ;   in Loop: Header=BB4_126 Depth=2
	s_or_b64 exec, exec, s[78:79]
.LBB4_390:                              ;   in Loop: Header=BB4_126 Depth=2
	s_or_b64 exec, exec, s[20:21]
	v_add_f32_e32 v1, v1, v0
	v_and_b32_e32 v52, 0x7f800000, v1
	v_cmp_ne_u64_e32 vcc, s[56:57], v[52:53]
                                        ; implicit-def: $vgpr61
	s_and_saveexec_b64 s[20:21], vcc
	s_xor_b64 s[78:79], exec, s[20:21]
	s_cbranch_execz .LBB4_404
; %bb.391:                              ;   in Loop: Header=BB4_126 Depth=2
	v_and_b32_e32 v52, 0x7fffffff, v1
	v_cmp_gt_u64_e32 vcc, s[58:59], v[52:53]
	v_and_b32_sdwa v0, v1, s52 dst_sel:DWORD dst_unused:UNUSED_PAD src0_sel:BYTE_3 src1_sel:DWORD
                                        ; implicit-def: $vgpr61
	s_and_saveexec_b64 s[20:21], vcc
	s_xor_b64 s[88:89], exec, s[20:21]
	s_cbranch_execz .LBB4_401
; %bb.392:                              ;   in Loop: Header=BB4_126 Depth=2
	v_mov_b32_e32 v61, 0
	v_cmp_ne_u32_e32 vcc, 0, v1
	s_and_saveexec_b64 s[90:91], vcc
	s_cbranch_execz .LBB4_400
; %bb.393:                              ;   in Loop: Header=BB4_126 Depth=2
	v_and_b32_e32 v5, 0x7fffff, v1
	v_bfe_u32 v1, v1, 23, 8
	v_cmp_gt_u32_e64 s[20:21], s54, v1
	v_sub_u32_e32 v4, 0x79, v1
	v_cmp_eq_u32_e32 vcc, 0, v1
	v_cndmask_b32_e64 v4, 0, v4, s[20:21]
	v_mov_b32_e32 v19, 0x78
	v_or_b32_e32 v18, 0x800000, v5
	v_cndmask_b32_e32 v4, v4, v19, vcc
	v_cndmask_b32_e32 v52, v18, v5, vcc
	v_add_u32_e32 v5, 20, v4
	v_lshlrev_b64 v[18:19], v5, -1
	v_add_u32_e32 v5, 19, v4
	v_lshlrev_b64 v[22:23], v5, 1
	v_bfi_b32 v19, v19, 0, 0
	v_bfi_b32 v18, v18, 0, v52
	v_cmp_eq_u64_e64 s[20:21], v[18:19], v[22:23]
	v_lshrrev_b64 v[18:19], v4, v[52:53]
	v_mov_b32_e32 v23, v19
	v_mov_b32_e32 v22, v18
	s_and_saveexec_b64 s[92:93], s[20:21]
; %bb.394:                              ;   in Loop: Header=BB4_126 Depth=2
	v_bfe_u32 v5, v18, 20, 1
	v_add_co_u32_e64 v5, s[20:21], v18, v5
	v_add_co_u32_e64 v22, s[20:21], -1, v5
; %bb.395:                              ;   in Loop: Header=BB4_126 Depth=2
	s_or_b64 exec, exec, s[92:93]
	v_add_u32_e32 v1, 0xffffff81, v1
	v_mov_b32_e32 v5, 0xffffff82
	v_cndmask_b32_e32 v1, v1, v5, vcc
	v_lshrrev_b32_e32 v5, 23, v18
	v_add3_u32 v5, v4, v1, v5
	v_add_u32_e32 v4, 6, v5
	v_and_b32_e32 v1, 0xfffff, v22
	v_add_u32_e32 v52, v1, v18
	v_cmp_ne_u32_e32 vcc, 0, v4
                                        ; implicit-def: $vgpr18_vgpr19
                                        ; implicit-def: $vgpr1
	s_and_saveexec_b64 s[20:21], vcc
	s_xor_b64 s[20:21], exec, s[20:21]
; %bb.396:                              ;   in Loop: Header=BB4_126 Depth=2
	v_cmp_lt_u64_e32 vcc, s[60:61], v[52:53]
	v_add_u32_e32 v1, 7, v5
	v_cndmask_b32_e32 v1, v4, v1, vcc
	v_cndmask_b32_e64 v4, 0, 1, vcc
	v_lshrrev_b64 v[18:19], v4, v[52:53]
; %bb.397:                              ;   in Loop: Header=BB4_126 Depth=2
	s_andn2_saveexec_b64 s[20:21], s[20:21]
; %bb.398:                              ;   in Loop: Header=BB4_126 Depth=2
	v_mov_b32_e32 v18, v52
	v_bfe_u32 v1, v52, 23, 1
	v_mov_b32_e32 v19, v53
; %bb.399:                              ;   in Loop: Header=BB4_126 Depth=2
	s_or_b64 exec, exec, s[20:21]
	v_lshrrev_b64 v[4:5], 20, v[18:19]
	v_cmp_gt_i32_e32 vcc, 16, v1
	v_cndmask_b32_e32 v5, 0, v5, vcc
	v_cndmask_b32_e32 v4, 7, v4, vcc
	v_cmp_eq_u32_e32 vcc, 0, v1
	v_min_i32_e32 v1, 15, v1
	v_cmp_eq_u64_e64 s[20:21], 0, v[4:5]
	v_lshlrev_b32_e32 v1, 3, v1
	v_and_b32_e32 v1, 0xf8, v1
	v_and_or_b32 v1, v4, 7, v1
	s_and_b64 s[20:21], vcc, s[20:21]
	v_cndmask_b32_e64 v1, v1, 0, s[20:21]
	v_or_b32_e32 v61, v1, v0
.LBB4_400:                              ;   in Loop: Header=BB4_126 Depth=2
	s_or_b64 exec, exec, s[90:91]
                                        ; implicit-def: $vgpr0
.LBB4_401:                              ;   in Loop: Header=BB4_126 Depth=2
	s_andn2_saveexec_b64 s[20:21], s[88:89]
; %bb.402:                              ;   in Loop: Header=BB4_126 Depth=2
	v_or_b32_e32 v61, 0x7e, v0
; %bb.403:                              ;   in Loop: Header=BB4_126 Depth=2
	s_or_b64 exec, exec, s[20:21]
                                        ; implicit-def: $vgpr1
.LBB4_404:                              ;   in Loop: Header=BB4_126 Depth=2
	s_andn2_saveexec_b64 s[20:21], s[78:79]
; %bb.405:                              ;   in Loop: Header=BB4_126 Depth=2
	v_or_b32_sdwa v61, v1, s53 dst_sel:DWORD dst_unused:UNUSED_PAD src0_sel:BYTE_3 src1_sel:DWORD
; %bb.406:                              ;   in Loop: Header=BB4_126 Depth=2
	s_or_b64 exec, exec, s[20:21]
	v_lshrrev_b32_e32 v18, 16, v24
	v_cmp_ne_u16_sdwa s[78:79], v18, v53 src0_sel:BYTE_0 src1_sel:DWORD
	v_mov_b32_e32 v0, 0
	v_mov_b32_e32 v1, 0
	s_and_saveexec_b64 s[20:21], s[78:79]
	s_cbranch_execz .LBB4_412
; %bb.407:                              ;   in Loop: Header=BB4_126 Depth=2
	v_cmp_ne_u16_sdwa s[88:89], v18, s52 src0_sel:BYTE_0 src1_sel:DWORD
	v_bfrev_b32_e32 v1, 1
	s_and_saveexec_b64 s[78:79], s[88:89]
	s_cbranch_execz .LBB4_411
; %bb.408:                              ;   in Loop: Header=BB4_126 Depth=2
	v_bfe_u32 v4, v24, 16, 7
	v_cmp_ne_u32_e32 vcc, s53, v4
	v_mov_b32_e32 v1, 0x7f800001
	s_and_saveexec_b64 s[88:89], vcc
	s_cbranch_execz .LBB4_410
; %bb.409:                              ;   in Loop: Header=BB4_126 Depth=2
	v_and_b32_e32 v1, 7, v18
	v_lshrrev_b32_e32 v19, 3, v4
	v_cmp_gt_u32_e32 vcc, 8, v4
	v_ffbh_u32_e32 v4, v1
	v_min_u32_e32 v22, 32, v4
	v_subrev_u32_e32 v4, 28, v22
	v_lshlrev_b64 v[4:5], v4, v[18:19]
	v_sub_u32_e32 v5, 29, v22
	v_and_b32_e32 v4, 7, v4
	v_cndmask_b32_e32 v5, v19, v5, vcc
	v_cndmask_b32_e32 v1, v1, v4, vcc
	v_lshlrev_b32_e32 v4, 24, v18
	v_lshlrev_b32_e32 v1, 20, v1
	v_and_b32_e32 v4, 0x80000000, v4
	v_lshl_add_u32 v5, v5, 23, v50
	v_or3_b32 v1, v4, v5, v1
.LBB4_410:                              ;   in Loop: Header=BB4_126 Depth=2
	s_or_b64 exec, exec, s[88:89]
.LBB4_411:                              ;   in Loop: Header=BB4_126 Depth=2
	s_or_b64 exec, exec, s[78:79]
.LBB4_412:                              ;   in Loop: Header=BB4_126 Depth=2
	s_or_b64 exec, exec, s[20:21]
	v_lshrrev_b32_e32 v18, 16, v20
	v_cmp_ne_u16_sdwa s[78:79], v18, v53 src0_sel:BYTE_0 src1_sel:DWORD
	s_and_saveexec_b64 s[20:21], s[78:79]
	s_cbranch_execz .LBB4_418
; %bb.413:                              ;   in Loop: Header=BB4_126 Depth=2
	v_cmp_ne_u16_sdwa s[88:89], v18, s52 src0_sel:BYTE_0 src1_sel:DWORD
	v_bfrev_b32_e32 v0, 1
	s_and_saveexec_b64 s[78:79], s[88:89]
	s_cbranch_execz .LBB4_417
; %bb.414:                              ;   in Loop: Header=BB4_126 Depth=2
	v_bfe_u32 v4, v20, 16, 7
	v_cmp_ne_u32_e32 vcc, s53, v4
	v_mov_b32_e32 v0, 0x7f800001
	s_and_saveexec_b64 s[88:89], vcc
	s_cbranch_execz .LBB4_416
; %bb.415:                              ;   in Loop: Header=BB4_126 Depth=2
	v_and_b32_e32 v0, 7, v18
	v_lshrrev_b32_e32 v19, 3, v4
	v_cmp_gt_u32_e32 vcc, 8, v4
	v_ffbh_u32_e32 v4, v0
	v_min_u32_e32 v22, 32, v4
	v_subrev_u32_e32 v4, 28, v22
	v_lshlrev_b64 v[4:5], v4, v[18:19]
	v_sub_u32_e32 v5, 29, v22
	v_and_b32_e32 v4, 7, v4
	v_cndmask_b32_e32 v5, v19, v5, vcc
	v_cndmask_b32_e32 v0, v0, v4, vcc
	v_lshlrev_b32_e32 v4, 8, v20
	v_lshlrev_b32_e32 v0, 20, v0
	v_and_b32_e32 v4, 0x80000000, v4
	v_lshl_add_u32 v5, v5, 23, v50
	v_or3_b32 v0, v4, v5, v0
.LBB4_416:                              ;   in Loop: Header=BB4_126 Depth=2
	s_or_b64 exec, exec, s[88:89]
.LBB4_417:                              ;   in Loop: Header=BB4_126 Depth=2
	s_or_b64 exec, exec, s[78:79]
.LBB4_418:                              ;   in Loop: Header=BB4_126 Depth=2
	s_or_b64 exec, exec, s[20:21]
	v_add_f32_e32 v1, v1, v0
	v_and_b32_e32 v52, 0x7f800000, v1
	v_cmp_ne_u64_e32 vcc, s[56:57], v[52:53]
                                        ; implicit-def: $vgpr62
	s_and_saveexec_b64 s[20:21], vcc
	s_xor_b64 s[78:79], exec, s[20:21]
	s_cbranch_execz .LBB4_432
; %bb.419:                              ;   in Loop: Header=BB4_126 Depth=2
	v_and_b32_e32 v52, 0x7fffffff, v1
	v_cmp_gt_u64_e32 vcc, s[58:59], v[52:53]
	v_and_b32_sdwa v0, v1, s52 dst_sel:DWORD dst_unused:UNUSED_PAD src0_sel:BYTE_3 src1_sel:DWORD
                                        ; implicit-def: $vgpr62
	s_and_saveexec_b64 s[20:21], vcc
	s_xor_b64 s[88:89], exec, s[20:21]
	s_cbranch_execz .LBB4_429
; %bb.420:                              ;   in Loop: Header=BB4_126 Depth=2
	v_mov_b32_e32 v62, 0
	v_cmp_ne_u32_e32 vcc, 0, v1
	s_and_saveexec_b64 s[90:91], vcc
	s_cbranch_execz .LBB4_428
; %bb.421:                              ;   in Loop: Header=BB4_126 Depth=2
	v_and_b32_e32 v5, 0x7fffff, v1
	v_bfe_u32 v1, v1, 23, 8
	v_cmp_gt_u32_e64 s[20:21], s54, v1
	v_sub_u32_e32 v4, 0x79, v1
	v_cmp_eq_u32_e32 vcc, 0, v1
	v_cndmask_b32_e64 v4, 0, v4, s[20:21]
	v_mov_b32_e32 v19, 0x78
	v_or_b32_e32 v18, 0x800000, v5
	v_cndmask_b32_e32 v4, v4, v19, vcc
	v_cndmask_b32_e32 v52, v18, v5, vcc
	v_add_u32_e32 v5, 20, v4
	v_lshlrev_b64 v[18:19], v5, -1
	v_add_u32_e32 v5, 19, v4
	v_lshlrev_b64 v[22:23], v5, 1
	v_bfi_b32 v19, v19, 0, 0
	v_bfi_b32 v18, v18, 0, v52
	v_cmp_eq_u64_e64 s[20:21], v[18:19], v[22:23]
	v_lshrrev_b64 v[18:19], v4, v[52:53]
	v_mov_b32_e32 v23, v19
	v_mov_b32_e32 v22, v18
	s_and_saveexec_b64 s[92:93], s[20:21]
; %bb.422:                              ;   in Loop: Header=BB4_126 Depth=2
	v_bfe_u32 v5, v18, 20, 1
	v_add_co_u32_e64 v5, s[20:21], v18, v5
	v_add_co_u32_e64 v22, s[20:21], -1, v5
; %bb.423:                              ;   in Loop: Header=BB4_126 Depth=2
	s_or_b64 exec, exec, s[92:93]
	v_add_u32_e32 v1, 0xffffff81, v1
	v_mov_b32_e32 v5, 0xffffff82
	v_cndmask_b32_e32 v1, v1, v5, vcc
	v_lshrrev_b32_e32 v5, 23, v18
	v_add3_u32 v5, v4, v1, v5
	v_add_u32_e32 v4, 6, v5
	v_and_b32_e32 v1, 0xfffff, v22
	v_add_u32_e32 v52, v1, v18
	v_cmp_ne_u32_e32 vcc, 0, v4
                                        ; implicit-def: $vgpr18_vgpr19
                                        ; implicit-def: $vgpr1
	s_and_saveexec_b64 s[20:21], vcc
	s_xor_b64 s[20:21], exec, s[20:21]
; %bb.424:                              ;   in Loop: Header=BB4_126 Depth=2
	v_cmp_lt_u64_e32 vcc, s[60:61], v[52:53]
	v_add_u32_e32 v1, 7, v5
	v_cndmask_b32_e32 v1, v4, v1, vcc
	v_cndmask_b32_e64 v4, 0, 1, vcc
	v_lshrrev_b64 v[18:19], v4, v[52:53]
; %bb.425:                              ;   in Loop: Header=BB4_126 Depth=2
	s_andn2_saveexec_b64 s[20:21], s[20:21]
; %bb.426:                              ;   in Loop: Header=BB4_126 Depth=2
	v_mov_b32_e32 v18, v52
	v_bfe_u32 v1, v52, 23, 1
	v_mov_b32_e32 v19, v53
; %bb.427:                              ;   in Loop: Header=BB4_126 Depth=2
	s_or_b64 exec, exec, s[20:21]
	v_lshrrev_b64 v[4:5], 20, v[18:19]
	v_cmp_gt_i32_e32 vcc, 16, v1
	v_cndmask_b32_e32 v5, 0, v5, vcc
	v_cndmask_b32_e32 v4, 7, v4, vcc
	v_cmp_eq_u32_e32 vcc, 0, v1
	v_min_i32_e32 v1, 15, v1
	v_cmp_eq_u64_e64 s[20:21], 0, v[4:5]
	v_lshlrev_b32_e32 v1, 3, v1
	v_and_b32_e32 v1, 0xf8, v1
	v_and_or_b32 v1, v4, 7, v1
	s_and_b64 s[20:21], vcc, s[20:21]
	v_cndmask_b32_e64 v1, v1, 0, s[20:21]
	v_or_b32_e32 v62, v1, v0
.LBB4_428:                              ;   in Loop: Header=BB4_126 Depth=2
	s_or_b64 exec, exec, s[90:91]
                                        ; implicit-def: $vgpr0
.LBB4_429:                              ;   in Loop: Header=BB4_126 Depth=2
	s_andn2_saveexec_b64 s[20:21], s[88:89]
; %bb.430:                              ;   in Loop: Header=BB4_126 Depth=2
	v_or_b32_e32 v62, 0x7e, v0
; %bb.431:                              ;   in Loop: Header=BB4_126 Depth=2
	s_or_b64 exec, exec, s[20:21]
                                        ; implicit-def: $vgpr1
.LBB4_432:                              ;   in Loop: Header=BB4_126 Depth=2
	s_andn2_saveexec_b64 s[20:21], s[78:79]
; %bb.433:                              ;   in Loop: Header=BB4_126 Depth=2
	v_or_b32_sdwa v62, v1, s53 dst_sel:DWORD dst_unused:UNUSED_PAD src0_sel:BYTE_3 src1_sel:DWORD
; %bb.434:                              ;   in Loop: Header=BB4_126 Depth=2
	s_or_b64 exec, exec, s[20:21]
	v_cmp_lt_u32_e32 vcc, s63, v24
	v_mov_b32_e32 v0, 0
	v_mov_b32_e32 v1, 0
	s_and_saveexec_b64 s[20:21], vcc
	s_cbranch_execz .LBB4_440
; %bb.435:                              ;   in Loop: Header=BB4_126 Depth=2
	v_lshrrev_b32_e32 v18, 24, v24
	v_cmp_ne_u32_e32 vcc, s52, v18
	v_bfrev_b32_e32 v1, 1
	s_and_saveexec_b64 s[78:79], vcc
	s_cbranch_execz .LBB4_439
; %bb.436:                              ;   in Loop: Header=BB4_126 Depth=2
	v_bfe_u32 v4, v24, 24, 7
	v_cmp_ne_u32_e32 vcc, s53, v4
	v_mov_b32_e32 v1, 0x7f800001
	s_and_saveexec_b64 s[88:89], vcc
	s_cbranch_execz .LBB4_438
; %bb.437:                              ;   in Loop: Header=BB4_126 Depth=2
	v_and_b32_e32 v1, 7, v18
	v_lshrrev_b32_e32 v19, 3, v4
	v_cmp_gt_u32_e32 vcc, 8, v4
	v_ffbh_u32_e32 v4, v1
	v_min_u32_e32 v22, 32, v4
	v_subrev_u32_e32 v4, 28, v22
	v_lshlrev_b64 v[4:5], v4, v[18:19]
	v_sub_u32_e32 v5, 29, v22
	v_and_b32_e32 v4, 7, v4
	v_cndmask_b32_e32 v5, v19, v5, vcc
	v_cndmask_b32_e32 v1, v1, v4, vcc
	v_lshlrev_b32_e32 v4, 24, v18
	v_lshlrev_b32_e32 v1, 20, v1
	v_and_b32_e32 v4, 0x80000000, v4
	v_lshl_add_u32 v5, v5, 23, v50
	v_or3_b32 v1, v4, v5, v1
.LBB4_438:                              ;   in Loop: Header=BB4_126 Depth=2
	s_or_b64 exec, exec, s[88:89]
.LBB4_439:                              ;   in Loop: Header=BB4_126 Depth=2
	s_or_b64 exec, exec, s[78:79]
.LBB4_440:                              ;   in Loop: Header=BB4_126 Depth=2
	s_or_b64 exec, exec, s[20:21]
	v_cmp_lt_u32_e32 vcc, s63, v20
	s_and_saveexec_b64 s[20:21], vcc
	s_cbranch_execz .LBB4_446
; %bb.441:                              ;   in Loop: Header=BB4_126 Depth=2
	v_lshrrev_b32_e32 v18, 24, v20
	v_cmp_ne_u32_e32 vcc, s52, v18
	v_bfrev_b32_e32 v0, 1
	s_and_saveexec_b64 s[78:79], vcc
	s_cbranch_execz .LBB4_445
; %bb.442:                              ;   in Loop: Header=BB4_126 Depth=2
	v_bfe_u32 v4, v20, 24, 7
	v_cmp_ne_u32_e32 vcc, s53, v4
	v_mov_b32_e32 v0, 0x7f800001
	s_and_saveexec_b64 s[88:89], vcc
	s_cbranch_execz .LBB4_444
; %bb.443:                              ;   in Loop: Header=BB4_126 Depth=2
	v_and_b32_e32 v0, 7, v18
	v_lshrrev_b32_e32 v19, 3, v4
	v_cmp_gt_u32_e32 vcc, 8, v4
	v_ffbh_u32_e32 v4, v0
	v_min_u32_e32 v22, 32, v4
	v_subrev_u32_e32 v4, 28, v22
	v_lshlrev_b64 v[4:5], v4, v[18:19]
	v_sub_u32_e32 v5, 29, v22
	v_and_b32_e32 v4, 7, v4
	v_cndmask_b32_e32 v5, v19, v5, vcc
	v_cndmask_b32_e32 v0, v0, v4, vcc
	v_lshlrev_b32_e32 v4, 24, v18
	v_lshlrev_b32_e32 v0, 20, v0
	v_and_b32_e32 v4, 0x80000000, v4
	v_lshl_add_u32 v5, v5, 23, v50
	v_or3_b32 v0, v4, v5, v0
.LBB4_444:                              ;   in Loop: Header=BB4_126 Depth=2
	s_or_b64 exec, exec, s[88:89]
.LBB4_445:                              ;   in Loop: Header=BB4_126 Depth=2
	s_or_b64 exec, exec, s[78:79]
.LBB4_446:                              ;   in Loop: Header=BB4_126 Depth=2
	s_or_b64 exec, exec, s[20:21]
	v_add_f32_e32 v1, v1, v0
	v_and_b32_e32 v52, 0x7f800000, v1
	v_cmp_ne_u64_e32 vcc, s[56:57], v[52:53]
                                        ; implicit-def: $vgpr28
	s_and_saveexec_b64 s[20:21], vcc
	s_xor_b64 s[78:79], exec, s[20:21]
	s_cbranch_execz .LBB4_460
; %bb.447:                              ;   in Loop: Header=BB4_126 Depth=2
	v_and_b32_e32 v52, 0x7fffffff, v1
	v_cmp_gt_u64_e32 vcc, s[58:59], v[52:53]
	v_and_b32_sdwa v0, v1, s52 dst_sel:DWORD dst_unused:UNUSED_PAD src0_sel:BYTE_3 src1_sel:DWORD
                                        ; implicit-def: $vgpr28
	s_and_saveexec_b64 s[20:21], vcc
	s_xor_b64 s[88:89], exec, s[20:21]
	s_cbranch_execz .LBB4_457
; %bb.448:                              ;   in Loop: Header=BB4_126 Depth=2
	v_mov_b32_e32 v28, 0
	v_cmp_ne_u32_e32 vcc, 0, v1
	s_and_saveexec_b64 s[90:91], vcc
	s_cbranch_execz .LBB4_456
; %bb.449:                              ;   in Loop: Header=BB4_126 Depth=2
	v_and_b32_e32 v5, 0x7fffff, v1
	v_bfe_u32 v1, v1, 23, 8
	v_cmp_gt_u32_e64 s[20:21], s54, v1
	v_sub_u32_e32 v4, 0x79, v1
	v_cmp_eq_u32_e32 vcc, 0, v1
	v_cndmask_b32_e64 v4, 0, v4, s[20:21]
	v_mov_b32_e32 v19, 0x78
	v_or_b32_e32 v18, 0x800000, v5
	v_cndmask_b32_e32 v4, v4, v19, vcc
	v_cndmask_b32_e32 v52, v18, v5, vcc
	v_add_u32_e32 v5, 20, v4
	v_lshlrev_b64 v[18:19], v5, -1
	v_add_u32_e32 v5, 19, v4
	v_lshlrev_b64 v[22:23], v5, 1
	v_bfi_b32 v19, v19, 0, 0
	v_bfi_b32 v18, v18, 0, v52
	v_cmp_eq_u64_e64 s[20:21], v[18:19], v[22:23]
	v_lshrrev_b64 v[18:19], v4, v[52:53]
	v_mov_b32_e32 v23, v19
	v_mov_b32_e32 v22, v18
	s_and_saveexec_b64 s[92:93], s[20:21]
; %bb.450:                              ;   in Loop: Header=BB4_126 Depth=2
	v_bfe_u32 v5, v18, 20, 1
	v_add_co_u32_e64 v5, s[20:21], v18, v5
	v_add_co_u32_e64 v22, s[20:21], -1, v5
; %bb.451:                              ;   in Loop: Header=BB4_126 Depth=2
	s_or_b64 exec, exec, s[92:93]
	v_add_u32_e32 v1, 0xffffff81, v1
	v_mov_b32_e32 v5, 0xffffff82
	v_cndmask_b32_e32 v1, v1, v5, vcc
	v_lshrrev_b32_e32 v5, 23, v18
	v_add3_u32 v5, v4, v1, v5
	v_add_u32_e32 v4, 6, v5
	v_and_b32_e32 v1, 0xfffff, v22
	v_add_u32_e32 v52, v1, v18
	v_cmp_ne_u32_e32 vcc, 0, v4
                                        ; implicit-def: $vgpr18_vgpr19
                                        ; implicit-def: $vgpr1
	s_and_saveexec_b64 s[20:21], vcc
	s_xor_b64 s[20:21], exec, s[20:21]
; %bb.452:                              ;   in Loop: Header=BB4_126 Depth=2
	v_cmp_lt_u64_e32 vcc, s[60:61], v[52:53]
	v_add_u32_e32 v1, 7, v5
	v_cndmask_b32_e32 v1, v4, v1, vcc
	v_cndmask_b32_e64 v4, 0, 1, vcc
	v_lshrrev_b64 v[18:19], v4, v[52:53]
; %bb.453:                              ;   in Loop: Header=BB4_126 Depth=2
	s_andn2_saveexec_b64 s[20:21], s[20:21]
; %bb.454:                              ;   in Loop: Header=BB4_126 Depth=2
	v_mov_b32_e32 v18, v52
	v_bfe_u32 v1, v52, 23, 1
	v_mov_b32_e32 v19, v53
; %bb.455:                              ;   in Loop: Header=BB4_126 Depth=2
	s_or_b64 exec, exec, s[20:21]
	v_lshrrev_b64 v[4:5], 20, v[18:19]
	v_cmp_gt_i32_e32 vcc, 16, v1
	v_cndmask_b32_e32 v5, 0, v5, vcc
	v_cndmask_b32_e32 v4, 7, v4, vcc
	v_cmp_eq_u32_e32 vcc, 0, v1
	v_min_i32_e32 v1, 15, v1
	v_cmp_eq_u64_e64 s[20:21], 0, v[4:5]
	v_lshlrev_b32_e32 v1, 3, v1
	v_and_b32_e32 v1, 0xf8, v1
	v_and_or_b32 v1, v4, 7, v1
	s_and_b64 s[20:21], vcc, s[20:21]
	v_cndmask_b32_e64 v1, v1, 0, s[20:21]
	v_or_b32_e32 v28, v1, v0
.LBB4_456:                              ;   in Loop: Header=BB4_126 Depth=2
	s_or_b64 exec, exec, s[90:91]
                                        ; implicit-def: $vgpr0
.LBB4_457:                              ;   in Loop: Header=BB4_126 Depth=2
	s_andn2_saveexec_b64 s[20:21], s[88:89]
; %bb.458:                              ;   in Loop: Header=BB4_126 Depth=2
	v_or_b32_e32 v28, 0x7e, v0
; %bb.459:                              ;   in Loop: Header=BB4_126 Depth=2
	s_or_b64 exec, exec, s[20:21]
                                        ; implicit-def: $vgpr1
.LBB4_460:                              ;   in Loop: Header=BB4_126 Depth=2
	s_andn2_saveexec_b64 s[20:21], s[78:79]
; %bb.461:                              ;   in Loop: Header=BB4_126 Depth=2
	v_or_b32_sdwa v28, v1, s53 dst_sel:DWORD dst_unused:UNUSED_PAD src0_sel:BYTE_3 src1_sel:DWORD
; %bb.462:                              ;   in Loop: Header=BB4_126 Depth=2
	s_or_b64 exec, exec, s[20:21]
	v_mov_b32_e32 v52, v25
	v_cmp_ne_u16_sdwa s[78:79], v25, v53 src0_sel:BYTE_0 src1_sel:DWORD
	v_mov_b32_e32 v1, 0
	v_mov_b32_e32 v0, 0
	s_and_saveexec_b64 s[20:21], s[78:79]
	s_cbranch_execz .LBB4_468
; %bb.463:                              ;   in Loop: Header=BB4_126 Depth=2
	v_cmp_ne_u16_sdwa s[88:89], v25, s52 src0_sel:BYTE_0 src1_sel:DWORD
	v_bfrev_b32_e32 v0, 1
	s_and_saveexec_b64 s[78:79], s[88:89]
	s_cbranch_execz .LBB4_467
; %bb.464:                              ;   in Loop: Header=BB4_126 Depth=2
	v_and_b32_e32 v4, 0x7f, v25
	v_cmp_ne_u32_e32 vcc, s53, v4
	v_mov_b32_e32 v0, 0x7f800001
	s_and_saveexec_b64 s[88:89], vcc
	s_cbranch_execz .LBB4_466
; %bb.465:                              ;   in Loop: Header=BB4_126 Depth=2
	v_and_b32_e32 v0, 7, v25
	v_ffbh_u32_e32 v0, v0
	v_min_u32_e32 v0, 32, v0
	v_lshrrev_b32_e32 v5, 3, v4
	v_cmp_gt_u32_e32 vcc, 8, v4
	v_subrev_u32_e32 v4, 28, v0
	v_sub_u32_e32 v0, 29, v0
	v_cndmask_b32_e32 v4, 0, v4, vcc
	v_cndmask_b32_e32 v0, v5, v0, vcc
	v_lshlrev_b64 v[4:5], v4, v[52:53]
	v_lshlrev_b32_e32 v5, 24, v52
	v_lshlrev_b32_e32 v4, 20, v4
	v_and_b32_e32 v4, 0x700000, v4
	v_and_b32_e32 v5, 0x80000000, v5
	v_lshl_add_u32 v0, v0, 23, v50
	v_or3_b32 v0, v5, v0, v4
.LBB4_466:                              ;   in Loop: Header=BB4_126 Depth=2
	s_or_b64 exec, exec, s[88:89]
.LBB4_467:                              ;   in Loop: Header=BB4_126 Depth=2
	s_or_b64 exec, exec, s[78:79]
.LBB4_468:                              ;   in Loop: Header=BB4_126 Depth=2
	s_or_b64 exec, exec, s[20:21]
	v_cmp_ne_u16_sdwa s[78:79], v21, v53 src0_sel:BYTE_0 src1_sel:DWORD
	s_and_saveexec_b64 s[20:21], s[78:79]
	s_cbranch_execz .LBB4_474
; %bb.469:                              ;   in Loop: Header=BB4_126 Depth=2
	v_cmp_ne_u16_sdwa s[88:89], v21, s52 src0_sel:BYTE_0 src1_sel:DWORD
	v_bfrev_b32_e32 v1, 1
	s_and_saveexec_b64 s[78:79], s[88:89]
	s_cbranch_execz .LBB4_473
; %bb.470:                              ;   in Loop: Header=BB4_126 Depth=2
	v_and_b32_e32 v4, 0x7f, v21
	v_cmp_ne_u32_e32 vcc, s53, v4
	v_mov_b32_e32 v1, 0x7f800001
	s_and_saveexec_b64 s[88:89], vcc
	s_cbranch_execz .LBB4_472
; %bb.471:                              ;   in Loop: Header=BB4_126 Depth=2
	v_and_b32_e32 v1, 7, v21
	v_ffbh_u32_e32 v1, v1
	v_min_u32_e32 v1, 32, v1
	v_lshrrev_b32_e32 v5, 3, v4
	v_cmp_gt_u32_e32 vcc, 8, v4
	v_subrev_u32_e32 v4, 28, v1
	v_mov_b32_e32 v18, v21
	v_mov_b32_e32 v19, v53
	v_sub_u32_e32 v1, 29, v1
	v_cndmask_b32_e32 v4, 0, v4, vcc
	v_cndmask_b32_e32 v1, v5, v1, vcc
	v_lshlrev_b64 v[4:5], v4, v[18:19]
	v_lshlrev_b32_e32 v5, 24, v18
	v_lshlrev_b32_e32 v4, 20, v4
	v_and_b32_e32 v4, 0x700000, v4
	v_and_b32_e32 v5, 0x80000000, v5
	v_lshl_add_u32 v1, v1, 23, v50
	v_or3_b32 v1, v5, v1, v4
.LBB4_472:                              ;   in Loop: Header=BB4_126 Depth=2
	s_or_b64 exec, exec, s[88:89]
.LBB4_473:                              ;   in Loop: Header=BB4_126 Depth=2
	s_or_b64 exec, exec, s[78:79]
.LBB4_474:                              ;   in Loop: Header=BB4_126 Depth=2
	s_or_b64 exec, exec, s[20:21]
	v_add_f32_e32 v1, v0, v1
	v_and_b32_e32 v4, 0x7f800000, v1
	v_mov_b32_e32 v5, v53
	v_cmp_ne_u64_e32 vcc, s[56:57], v[4:5]
                                        ; implicit-def: $vgpr34
	s_and_saveexec_b64 s[20:21], vcc
	s_xor_b64 s[78:79], exec, s[20:21]
	s_cbranch_execz .LBB4_488
; %bb.475:                              ;   in Loop: Header=BB4_126 Depth=2
	v_and_b32_e32 v4, 0x7fffffff, v1
	v_mov_b32_e32 v5, v53
	v_cmp_gt_u64_e32 vcc, s[58:59], v[4:5]
	v_and_b32_sdwa v0, v1, s52 dst_sel:DWORD dst_unused:UNUSED_PAD src0_sel:BYTE_3 src1_sel:DWORD
                                        ; implicit-def: $vgpr34
	s_and_saveexec_b64 s[20:21], vcc
	s_xor_b64 s[88:89], exec, s[20:21]
	s_cbranch_execz .LBB4_485
; %bb.476:                              ;   in Loop: Header=BB4_126 Depth=2
	v_mov_b32_e32 v34, 0
	v_cmp_ne_u32_e32 vcc, 0, v1
	s_and_saveexec_b64 s[90:91], vcc
	s_cbranch_execz .LBB4_484
; %bb.477:                              ;   in Loop: Header=BB4_126 Depth=2
	v_and_b32_e32 v5, 0x7fffff, v1
	v_bfe_u32 v1, v1, 23, 8
	v_cmp_gt_u32_e64 s[20:21], s54, v1
	v_sub_u32_e32 v4, 0x79, v1
	v_cmp_eq_u32_e32 vcc, 0, v1
	v_cndmask_b32_e64 v4, 0, v4, s[20:21]
	v_mov_b32_e32 v19, 0x78
	v_or_b32_e32 v18, 0x800000, v5
	v_cndmask_b32_e32 v4, v4, v19, vcc
	v_cndmask_b32_e32 v18, v18, v5, vcc
	v_add_u32_e32 v5, 20, v4
	v_lshlrev_b64 v[22:23], v5, -1
	v_mov_b32_e32 v19, v53
	v_add_u32_e32 v5, 19, v4
	v_bfi_b32 v22, v22, 0, v18
	v_lshlrev_b64 v[34:35], v5, 1
	v_lshrrev_b64 v[18:19], v4, v[18:19]
	v_bfi_b32 v23, v23, 0, 0
	v_cmp_eq_u64_e64 s[20:21], v[22:23], v[34:35]
	v_mov_b32_e32 v23, v19
	v_mov_b32_e32 v22, v18
	s_and_saveexec_b64 s[92:93], s[20:21]
; %bb.478:                              ;   in Loop: Header=BB4_126 Depth=2
	v_bfe_u32 v5, v18, 20, 1
	v_add_co_u32_e64 v5, s[20:21], v18, v5
	v_add_co_u32_e64 v22, s[20:21], -1, v5
; %bb.479:                              ;   in Loop: Header=BB4_126 Depth=2
	s_or_b64 exec, exec, s[92:93]
	v_add_u32_e32 v1, 0xffffff81, v1
	v_mov_b32_e32 v5, 0xffffff82
	v_cndmask_b32_e32 v1, v1, v5, vcc
	v_lshrrev_b32_e32 v5, 23, v18
	v_add3_u32 v5, v4, v1, v5
	v_add_u32_e32 v4, 6, v5
	v_and_b32_e32 v1, 0xfffff, v22
	v_add_u32_e32 v18, v1, v18
	v_mov_b32_e32 v19, v53
	v_cmp_ne_u32_e32 vcc, 0, v4
                                        ; implicit-def: $vgpr1
	s_and_saveexec_b64 s[20:21], vcc
	s_xor_b64 s[20:21], exec, s[20:21]
; %bb.480:                              ;   in Loop: Header=BB4_126 Depth=2
	v_cmp_lt_u64_e32 vcc, s[60:61], v[18:19]
	v_add_u32_e32 v1, 7, v5
	v_cndmask_b32_e32 v1, v4, v1, vcc
	v_cndmask_b32_e64 v4, 0, 1, vcc
	v_lshrrev_b64 v[18:19], v4, v[18:19]
; %bb.481:                              ;   in Loop: Header=BB4_126 Depth=2
	s_andn2_saveexec_b64 s[20:21], s[20:21]
; %bb.482:                              ;   in Loop: Header=BB4_126 Depth=2
	v_bfe_u32 v1, v18, 23, 1
; %bb.483:                              ;   in Loop: Header=BB4_126 Depth=2
	s_or_b64 exec, exec, s[20:21]
	v_lshrrev_b64 v[4:5], 20, v[18:19]
	v_cmp_gt_i32_e32 vcc, 16, v1
	v_cndmask_b32_e32 v5, 0, v5, vcc
	v_cndmask_b32_e32 v4, 7, v4, vcc
	v_cmp_eq_u32_e32 vcc, 0, v1
	v_min_i32_e32 v1, 15, v1
	v_cmp_eq_u64_e64 s[20:21], 0, v[4:5]
	v_lshlrev_b32_e32 v1, 3, v1
	v_and_b32_e32 v1, 0xf8, v1
	v_and_or_b32 v1, v4, 7, v1
	s_and_b64 s[20:21], vcc, s[20:21]
	v_cndmask_b32_e64 v1, v1, 0, s[20:21]
	v_or_b32_e32 v34, v1, v0
.LBB4_484:                              ;   in Loop: Header=BB4_126 Depth=2
	s_or_b64 exec, exec, s[90:91]
                                        ; implicit-def: $vgpr0
.LBB4_485:                              ;   in Loop: Header=BB4_126 Depth=2
	s_andn2_saveexec_b64 s[20:21], s[88:89]
; %bb.486:                              ;   in Loop: Header=BB4_126 Depth=2
	v_or_b32_e32 v34, 0x7e, v0
; %bb.487:                              ;   in Loop: Header=BB4_126 Depth=2
	s_or_b64 exec, exec, s[20:21]
                                        ; implicit-def: $vgpr1
.LBB4_488:                              ;   in Loop: Header=BB4_126 Depth=2
	s_andn2_saveexec_b64 s[20:21], s[78:79]
; %bb.489:                              ;   in Loop: Header=BB4_126 Depth=2
	v_or_b32_sdwa v34, v1, s53 dst_sel:DWORD dst_unused:UNUSED_PAD src0_sel:BYTE_3 src1_sel:DWORD
; %bb.490:                              ;   in Loop: Header=BB4_126 Depth=2
	s_or_b64 exec, exec, s[20:21]
	v_lshrrev_b16_e32 v18, 8, v52
	v_cmp_ne_u16_e32 vcc, 0, v18
	v_mov_b32_e32 v0, 0
	v_mov_b32_e32 v1, 0
	s_and_saveexec_b64 s[20:21], vcc
	s_cbranch_execz .LBB4_496
; %bb.491:                              ;   in Loop: Header=BB4_126 Depth=2
	v_cmp_ne_u16_e32 vcc, s52, v18
	v_bfrev_b32_e32 v1, 1
	s_and_saveexec_b64 s[78:79], vcc
	s_cbranch_execz .LBB4_495
; %bb.492:                              ;   in Loop: Header=BB4_126 Depth=2
	v_and_b32_e32 v4, 0x7f, v18
	v_cmp_ne_u32_e32 vcc, s53, v4
	v_mov_b32_e32 v1, 0x7f800001
	s_and_saveexec_b64 s[88:89], vcc
	s_cbranch_execz .LBB4_494
; %bb.493:                              ;   in Loop: Header=BB4_126 Depth=2
	v_and_b32_e32 v1, 7, v18
	v_lshrrev_b32_e32 v19, 3, v4
	v_cmp_gt_u32_e32 vcc, 8, v4
	v_ffbh_u32_e32 v4, v1
	v_min_u32_e32 v22, 32, v4
	v_subrev_u32_e32 v4, 28, v22
	v_lshlrev_b64 v[4:5], v4, v[18:19]
	v_sub_u32_e32 v5, 29, v22
	v_and_b32_e32 v4, 7, v4
	v_cndmask_b32_e32 v5, v19, v5, vcc
	v_cndmask_b32_e32 v1, v1, v4, vcc
	v_lshlrev_b32_e32 v4, 16, v52
	v_lshlrev_b32_e32 v1, 20, v1
	v_and_b32_e32 v4, 0x80000000, v4
	v_lshl_add_u32 v5, v5, 23, v50
	v_or3_b32 v1, v4, v5, v1
.LBB4_494:                              ;   in Loop: Header=BB4_126 Depth=2
	s_or_b64 exec, exec, s[88:89]
.LBB4_495:                              ;   in Loop: Header=BB4_126 Depth=2
	s_or_b64 exec, exec, s[78:79]
.LBB4_496:                              ;   in Loop: Header=BB4_126 Depth=2
	s_or_b64 exec, exec, s[20:21]
	v_lshrrev_b16_e32 v18, 8, v21
	v_cmp_ne_u16_e32 vcc, 0, v18
	s_and_saveexec_b64 s[20:21], vcc
	s_cbranch_execz .LBB4_502
; %bb.497:                              ;   in Loop: Header=BB4_126 Depth=2
	v_cmp_ne_u16_e32 vcc, s52, v18
	v_bfrev_b32_e32 v0, 1
	s_and_saveexec_b64 s[78:79], vcc
	s_cbranch_execz .LBB4_501
; %bb.498:                              ;   in Loop: Header=BB4_126 Depth=2
	v_and_b32_e32 v4, 0x7f, v18
	v_cmp_ne_u32_e32 vcc, s53, v4
	v_mov_b32_e32 v0, 0x7f800001
	s_and_saveexec_b64 s[88:89], vcc
	s_cbranch_execz .LBB4_500
; %bb.499:                              ;   in Loop: Header=BB4_126 Depth=2
	v_and_b32_e32 v0, 7, v18
	v_lshrrev_b32_e32 v19, 3, v4
	v_cmp_gt_u32_e32 vcc, 8, v4
	v_ffbh_u32_e32 v4, v0
	v_min_u32_e32 v22, 32, v4
	v_subrev_u32_e32 v4, 28, v22
	v_lshlrev_b64 v[4:5], v4, v[18:19]
	v_sub_u32_e32 v5, 29, v22
	v_and_b32_e32 v4, 7, v4
	v_cndmask_b32_e32 v5, v19, v5, vcc
	v_cndmask_b32_e32 v0, v0, v4, vcc
	v_lshlrev_b32_e32 v4, 16, v21
	v_lshlrev_b32_e32 v0, 20, v0
	v_and_b32_e32 v4, 0x80000000, v4
	v_lshl_add_u32 v5, v5, 23, v50
	v_or3_b32 v0, v4, v5, v0
.LBB4_500:                              ;   in Loop: Header=BB4_126 Depth=2
	s_or_b64 exec, exec, s[88:89]
.LBB4_501:                              ;   in Loop: Header=BB4_126 Depth=2
	s_or_b64 exec, exec, s[78:79]
.LBB4_502:                              ;   in Loop: Header=BB4_126 Depth=2
	s_or_b64 exec, exec, s[20:21]
	v_add_f32_e32 v1, v1, v0
	v_and_b32_e32 v52, 0x7f800000, v1
	v_cmp_ne_u64_e32 vcc, s[56:57], v[52:53]
                                        ; implicit-def: $vgpr35
	s_and_saveexec_b64 s[20:21], vcc
	s_xor_b64 s[78:79], exec, s[20:21]
	s_cbranch_execz .LBB4_516
; %bb.503:                              ;   in Loop: Header=BB4_126 Depth=2
	v_and_b32_e32 v52, 0x7fffffff, v1
	v_cmp_gt_u64_e32 vcc, s[58:59], v[52:53]
	v_and_b32_sdwa v0, v1, s52 dst_sel:DWORD dst_unused:UNUSED_PAD src0_sel:BYTE_3 src1_sel:DWORD
                                        ; implicit-def: $vgpr35
	s_and_saveexec_b64 s[20:21], vcc
	s_xor_b64 s[88:89], exec, s[20:21]
	s_cbranch_execz .LBB4_513
; %bb.504:                              ;   in Loop: Header=BB4_126 Depth=2
	v_mov_b32_e32 v35, 0
	v_cmp_ne_u32_e32 vcc, 0, v1
	s_and_saveexec_b64 s[90:91], vcc
	s_cbranch_execz .LBB4_512
; %bb.505:                              ;   in Loop: Header=BB4_126 Depth=2
	v_and_b32_e32 v5, 0x7fffff, v1
	v_bfe_u32 v1, v1, 23, 8
	v_cmp_gt_u32_e64 s[20:21], s54, v1
	v_sub_u32_e32 v4, 0x79, v1
	v_cmp_eq_u32_e32 vcc, 0, v1
	v_cndmask_b32_e64 v4, 0, v4, s[20:21]
	v_mov_b32_e32 v19, 0x78
	v_or_b32_e32 v18, 0x800000, v5
	v_cndmask_b32_e32 v4, v4, v19, vcc
	v_cndmask_b32_e32 v52, v18, v5, vcc
	v_add_u32_e32 v5, 20, v4
	v_lshlrev_b64 v[18:19], v5, -1
	v_add_u32_e32 v5, 19, v4
	v_lshlrev_b64 v[22:23], v5, 1
	v_bfi_b32 v19, v19, 0, 0
	v_bfi_b32 v18, v18, 0, v52
	v_cmp_eq_u64_e64 s[20:21], v[18:19], v[22:23]
	v_lshrrev_b64 v[18:19], v4, v[52:53]
	v_mov_b32_e32 v23, v19
	v_mov_b32_e32 v22, v18
	s_and_saveexec_b64 s[92:93], s[20:21]
; %bb.506:                              ;   in Loop: Header=BB4_126 Depth=2
	v_bfe_u32 v5, v18, 20, 1
	v_add_co_u32_e64 v5, s[20:21], v18, v5
	v_add_co_u32_e64 v22, s[20:21], -1, v5
; %bb.507:                              ;   in Loop: Header=BB4_126 Depth=2
	s_or_b64 exec, exec, s[92:93]
	v_add_u32_e32 v1, 0xffffff81, v1
	v_mov_b32_e32 v5, 0xffffff82
	v_cndmask_b32_e32 v1, v1, v5, vcc
	v_lshrrev_b32_e32 v5, 23, v18
	v_add3_u32 v5, v4, v1, v5
	v_add_u32_e32 v4, 6, v5
	v_and_b32_e32 v1, 0xfffff, v22
	v_add_u32_e32 v52, v1, v18
	v_cmp_ne_u32_e32 vcc, 0, v4
                                        ; implicit-def: $vgpr18_vgpr19
                                        ; implicit-def: $vgpr1
	s_and_saveexec_b64 s[20:21], vcc
	s_xor_b64 s[20:21], exec, s[20:21]
; %bb.508:                              ;   in Loop: Header=BB4_126 Depth=2
	v_cmp_lt_u64_e32 vcc, s[60:61], v[52:53]
	v_add_u32_e32 v1, 7, v5
	v_cndmask_b32_e32 v1, v4, v1, vcc
	v_cndmask_b32_e64 v4, 0, 1, vcc
	v_lshrrev_b64 v[18:19], v4, v[52:53]
; %bb.509:                              ;   in Loop: Header=BB4_126 Depth=2
	s_andn2_saveexec_b64 s[20:21], s[20:21]
; %bb.510:                              ;   in Loop: Header=BB4_126 Depth=2
	v_mov_b32_e32 v18, v52
	v_bfe_u32 v1, v52, 23, 1
	v_mov_b32_e32 v19, v53
; %bb.511:                              ;   in Loop: Header=BB4_126 Depth=2
	s_or_b64 exec, exec, s[20:21]
	v_lshrrev_b64 v[4:5], 20, v[18:19]
	v_cmp_gt_i32_e32 vcc, 16, v1
	v_cndmask_b32_e32 v5, 0, v5, vcc
	v_cndmask_b32_e32 v4, 7, v4, vcc
	v_cmp_eq_u32_e32 vcc, 0, v1
	v_min_i32_e32 v1, 15, v1
	v_cmp_eq_u64_e64 s[20:21], 0, v[4:5]
	v_lshlrev_b32_e32 v1, 3, v1
	v_and_b32_e32 v1, 0xf8, v1
	v_and_or_b32 v1, v4, 7, v1
	s_and_b64 s[20:21], vcc, s[20:21]
	v_cndmask_b32_e64 v1, v1, 0, s[20:21]
	v_or_b32_e32 v35, v1, v0
.LBB4_512:                              ;   in Loop: Header=BB4_126 Depth=2
	s_or_b64 exec, exec, s[90:91]
                                        ; implicit-def: $vgpr0
.LBB4_513:                              ;   in Loop: Header=BB4_126 Depth=2
	s_andn2_saveexec_b64 s[20:21], s[88:89]
; %bb.514:                              ;   in Loop: Header=BB4_126 Depth=2
	v_or_b32_e32 v35, 0x7e, v0
; %bb.515:                              ;   in Loop: Header=BB4_126 Depth=2
	s_or_b64 exec, exec, s[20:21]
                                        ; implicit-def: $vgpr1
.LBB4_516:                              ;   in Loop: Header=BB4_126 Depth=2
	s_andn2_saveexec_b64 s[20:21], s[78:79]
; %bb.517:                              ;   in Loop: Header=BB4_126 Depth=2
	v_or_b32_sdwa v35, v1, s53 dst_sel:DWORD dst_unused:UNUSED_PAD src0_sel:BYTE_3 src1_sel:DWORD
; %bb.518:                              ;   in Loop: Header=BB4_126 Depth=2
	s_or_b64 exec, exec, s[20:21]
	v_lshrrev_b32_e32 v18, 16, v25
	v_cmp_ne_u16_sdwa s[78:79], v18, v53 src0_sel:BYTE_0 src1_sel:DWORD
	v_mov_b32_e32 v0, 0
	v_mov_b32_e32 v1, 0
	s_and_saveexec_b64 s[20:21], s[78:79]
	s_cbranch_execz .LBB4_524
; %bb.519:                              ;   in Loop: Header=BB4_126 Depth=2
	v_cmp_ne_u16_sdwa s[88:89], v18, s52 src0_sel:BYTE_0 src1_sel:DWORD
	v_bfrev_b32_e32 v1, 1
	s_and_saveexec_b64 s[78:79], s[88:89]
	s_cbranch_execz .LBB4_523
; %bb.520:                              ;   in Loop: Header=BB4_126 Depth=2
	v_bfe_u32 v4, v25, 16, 7
	v_cmp_ne_u32_e32 vcc, s53, v4
	v_mov_b32_e32 v1, 0x7f800001
	s_and_saveexec_b64 s[88:89], vcc
	s_cbranch_execz .LBB4_522
; %bb.521:                              ;   in Loop: Header=BB4_126 Depth=2
	v_and_b32_e32 v1, 7, v18
	v_lshrrev_b32_e32 v19, 3, v4
	v_cmp_gt_u32_e32 vcc, 8, v4
	v_ffbh_u32_e32 v4, v1
	v_min_u32_e32 v22, 32, v4
	v_subrev_u32_e32 v4, 28, v22
	v_lshlrev_b64 v[4:5], v4, v[18:19]
	v_sub_u32_e32 v5, 29, v22
	v_and_b32_e32 v4, 7, v4
	v_cndmask_b32_e32 v5, v19, v5, vcc
	v_cndmask_b32_e32 v1, v1, v4, vcc
	v_lshlrev_b32_e32 v4, 24, v18
	v_lshlrev_b32_e32 v1, 20, v1
	v_and_b32_e32 v4, 0x80000000, v4
	v_lshl_add_u32 v5, v5, 23, v50
	v_or3_b32 v1, v4, v5, v1
.LBB4_522:                              ;   in Loop: Header=BB4_126 Depth=2
	s_or_b64 exec, exec, s[88:89]
.LBB4_523:                              ;   in Loop: Header=BB4_126 Depth=2
	s_or_b64 exec, exec, s[78:79]
.LBB4_524:                              ;   in Loop: Header=BB4_126 Depth=2
	s_or_b64 exec, exec, s[20:21]
	v_lshrrev_b32_e32 v18, 16, v21
	v_cmp_ne_u16_sdwa s[78:79], v18, v53 src0_sel:BYTE_0 src1_sel:DWORD
	s_and_saveexec_b64 s[20:21], s[78:79]
	s_cbranch_execz .LBB4_530
; %bb.525:                              ;   in Loop: Header=BB4_126 Depth=2
	v_cmp_ne_u16_sdwa s[88:89], v18, s52 src0_sel:BYTE_0 src1_sel:DWORD
	v_bfrev_b32_e32 v0, 1
	s_and_saveexec_b64 s[78:79], s[88:89]
	s_cbranch_execz .LBB4_529
; %bb.526:                              ;   in Loop: Header=BB4_126 Depth=2
	v_bfe_u32 v4, v21, 16, 7
	v_cmp_ne_u32_e32 vcc, s53, v4
	v_mov_b32_e32 v0, 0x7f800001
	s_and_saveexec_b64 s[88:89], vcc
	s_cbranch_execz .LBB4_528
; %bb.527:                              ;   in Loop: Header=BB4_126 Depth=2
	v_and_b32_e32 v0, 7, v18
	v_lshrrev_b32_e32 v19, 3, v4
	v_cmp_gt_u32_e32 vcc, 8, v4
	v_ffbh_u32_e32 v4, v0
	v_min_u32_e32 v22, 32, v4
	v_subrev_u32_e32 v4, 28, v22
	v_lshlrev_b64 v[4:5], v4, v[18:19]
	v_sub_u32_e32 v5, 29, v22
	v_and_b32_e32 v4, 7, v4
	v_cndmask_b32_e32 v5, v19, v5, vcc
	v_cndmask_b32_e32 v0, v0, v4, vcc
	v_lshlrev_b32_e32 v4, 8, v21
	v_lshlrev_b32_e32 v0, 20, v0
	v_and_b32_e32 v4, 0x80000000, v4
	v_lshl_add_u32 v5, v5, 23, v50
	v_or3_b32 v0, v4, v5, v0
.LBB4_528:                              ;   in Loop: Header=BB4_126 Depth=2
	s_or_b64 exec, exec, s[88:89]
.LBB4_529:                              ;   in Loop: Header=BB4_126 Depth=2
	s_or_b64 exec, exec, s[78:79]
.LBB4_530:                              ;   in Loop: Header=BB4_126 Depth=2
	s_or_b64 exec, exec, s[20:21]
	v_add_f32_e32 v1, v1, v0
	v_and_b32_e32 v52, 0x7f800000, v1
	v_cmp_ne_u64_e32 vcc, s[56:57], v[52:53]
                                        ; implicit-def: $vgpr22
	s_and_saveexec_b64 s[20:21], vcc
	s_xor_b64 s[78:79], exec, s[20:21]
	s_cbranch_execz .LBB4_544
; %bb.531:                              ;   in Loop: Header=BB4_126 Depth=2
	v_and_b32_e32 v52, 0x7fffffff, v1
	v_cmp_gt_u64_e32 vcc, s[58:59], v[52:53]
	v_and_b32_sdwa v0, v1, s52 dst_sel:DWORD dst_unused:UNUSED_PAD src0_sel:BYTE_3 src1_sel:DWORD
                                        ; implicit-def: $vgpr22
	s_and_saveexec_b64 s[20:21], vcc
	s_xor_b64 s[88:89], exec, s[20:21]
	s_cbranch_execz .LBB4_541
; %bb.532:                              ;   in Loop: Header=BB4_126 Depth=2
	v_mov_b32_e32 v22, 0
	v_cmp_ne_u32_e32 vcc, 0, v1
	s_and_saveexec_b64 s[90:91], vcc
	s_cbranch_execz .LBB4_540
; %bb.533:                              ;   in Loop: Header=BB4_126 Depth=2
	v_and_b32_e32 v5, 0x7fffff, v1
	v_bfe_u32 v1, v1, 23, 8
	v_cmp_gt_u32_e64 s[20:21], s54, v1
	v_sub_u32_e32 v4, 0x79, v1
	v_cmp_eq_u32_e32 vcc, 0, v1
	v_cndmask_b32_e64 v4, 0, v4, s[20:21]
	v_mov_b32_e32 v19, 0x78
	v_or_b32_e32 v18, 0x800000, v5
	v_cndmask_b32_e32 v4, v4, v19, vcc
	v_cndmask_b32_e32 v52, v18, v5, vcc
	v_add_u32_e32 v5, 20, v4
	v_lshlrev_b64 v[18:19], v5, -1
	v_add_u32_e32 v5, 19, v4
	v_lshlrev_b64 v[22:23], v5, 1
	v_bfi_b32 v19, v19, 0, 0
	v_bfi_b32 v18, v18, 0, v52
	v_cmp_eq_u64_e64 s[20:21], v[18:19], v[22:23]
	v_lshrrev_b64 v[18:19], v4, v[52:53]
	v_mov_b32_e32 v23, v19
	v_mov_b32_e32 v22, v18
	s_and_saveexec_b64 s[92:93], s[20:21]
; %bb.534:                              ;   in Loop: Header=BB4_126 Depth=2
	v_bfe_u32 v5, v18, 20, 1
	v_add_co_u32_e64 v5, s[20:21], v18, v5
	v_add_co_u32_e64 v22, s[20:21], -1, v5
; %bb.535:                              ;   in Loop: Header=BB4_126 Depth=2
	s_or_b64 exec, exec, s[92:93]
	v_add_u32_e32 v1, 0xffffff81, v1
	v_mov_b32_e32 v5, 0xffffff82
	v_cndmask_b32_e32 v1, v1, v5, vcc
	v_lshrrev_b32_e32 v5, 23, v18
	v_add3_u32 v5, v4, v1, v5
	v_add_u32_e32 v4, 6, v5
	v_and_b32_e32 v1, 0xfffff, v22
	v_add_u32_e32 v52, v1, v18
	v_cmp_ne_u32_e32 vcc, 0, v4
                                        ; implicit-def: $vgpr18_vgpr19
                                        ; implicit-def: $vgpr1
	s_and_saveexec_b64 s[20:21], vcc
	s_xor_b64 s[20:21], exec, s[20:21]
; %bb.536:                              ;   in Loop: Header=BB4_126 Depth=2
	v_cmp_lt_u64_e32 vcc, s[60:61], v[52:53]
	v_add_u32_e32 v1, 7, v5
	v_cndmask_b32_e32 v1, v4, v1, vcc
	v_cndmask_b32_e64 v4, 0, 1, vcc
	v_lshrrev_b64 v[18:19], v4, v[52:53]
; %bb.537:                              ;   in Loop: Header=BB4_126 Depth=2
	s_andn2_saveexec_b64 s[20:21], s[20:21]
; %bb.538:                              ;   in Loop: Header=BB4_126 Depth=2
	v_mov_b32_e32 v18, v52
	v_bfe_u32 v1, v52, 23, 1
	v_mov_b32_e32 v19, v53
; %bb.539:                              ;   in Loop: Header=BB4_126 Depth=2
	s_or_b64 exec, exec, s[20:21]
	v_lshrrev_b64 v[4:5], 20, v[18:19]
	v_cmp_gt_i32_e32 vcc, 16, v1
	v_cndmask_b32_e32 v5, 0, v5, vcc
	v_cndmask_b32_e32 v4, 7, v4, vcc
	v_cmp_eq_u32_e32 vcc, 0, v1
	v_min_i32_e32 v1, 15, v1
	v_cmp_eq_u64_e64 s[20:21], 0, v[4:5]
	v_lshlrev_b32_e32 v1, 3, v1
	v_and_b32_e32 v1, 0xf8, v1
	v_and_or_b32 v1, v4, 7, v1
	s_and_b64 s[20:21], vcc, s[20:21]
	v_cndmask_b32_e64 v1, v1, 0, s[20:21]
	v_or_b32_e32 v22, v1, v0
.LBB4_540:                              ;   in Loop: Header=BB4_126 Depth=2
	s_or_b64 exec, exec, s[90:91]
                                        ; implicit-def: $vgpr0
.LBB4_541:                              ;   in Loop: Header=BB4_126 Depth=2
	s_andn2_saveexec_b64 s[20:21], s[88:89]
; %bb.542:                              ;   in Loop: Header=BB4_126 Depth=2
	v_or_b32_e32 v22, 0x7e, v0
; %bb.543:                              ;   in Loop: Header=BB4_126 Depth=2
	s_or_b64 exec, exec, s[20:21]
                                        ; implicit-def: $vgpr1
.LBB4_544:                              ;   in Loop: Header=BB4_126 Depth=2
	s_andn2_saveexec_b64 s[20:21], s[78:79]
; %bb.545:                              ;   in Loop: Header=BB4_126 Depth=2
	v_or_b32_sdwa v22, v1, s53 dst_sel:DWORD dst_unused:UNUSED_PAD src0_sel:BYTE_3 src1_sel:DWORD
; %bb.546:                              ;   in Loop: Header=BB4_126 Depth=2
	s_or_b64 exec, exec, s[20:21]
	v_cmp_lt_u64_e32 vcc, s[62:63], v[24:25]
	v_mov_b32_e32 v0, 0
	v_mov_b32_e32 v1, 0
	s_and_saveexec_b64 s[20:21], vcc
	s_cbranch_execz .LBB4_552
; %bb.547:                              ;   in Loop: Header=BB4_126 Depth=2
	v_lshrrev_b32_e32 v18, 24, v25
	v_cmp_ne_u32_e32 vcc, s52, v18
	v_bfrev_b32_e32 v1, 1
	s_and_saveexec_b64 s[78:79], vcc
	s_cbranch_execz .LBB4_551
; %bb.548:                              ;   in Loop: Header=BB4_126 Depth=2
	v_bfe_u32 v4, v25, 24, 7
	v_cmp_ne_u32_e32 vcc, s53, v4
	v_mov_b32_e32 v1, 0x7f800001
	s_and_saveexec_b64 s[88:89], vcc
	s_cbranch_execz .LBB4_550
; %bb.549:                              ;   in Loop: Header=BB4_126 Depth=2
	v_and_b32_e32 v1, 7, v18
	v_lshrrev_b32_e32 v19, 3, v4
	v_cmp_gt_u32_e32 vcc, 8, v4
	v_ffbh_u32_e32 v4, v1
	v_min_u32_e32 v23, 32, v4
	v_subrev_u32_e32 v4, 28, v23
	v_lshlrev_b64 v[4:5], v4, v[18:19]
	v_sub_u32_e32 v5, 29, v23
	v_and_b32_e32 v4, 7, v4
	v_cndmask_b32_e32 v5, v19, v5, vcc
	v_cndmask_b32_e32 v1, v1, v4, vcc
	v_lshlrev_b32_e32 v4, 24, v18
	v_lshlrev_b32_e32 v1, 20, v1
	v_and_b32_e32 v4, 0x80000000, v4
	v_lshl_add_u32 v5, v5, 23, v50
	v_or3_b32 v1, v4, v5, v1
.LBB4_550:                              ;   in Loop: Header=BB4_126 Depth=2
	s_or_b64 exec, exec, s[88:89]
.LBB4_551:                              ;   in Loop: Header=BB4_126 Depth=2
	s_or_b64 exec, exec, s[78:79]
.LBB4_552:                              ;   in Loop: Header=BB4_126 Depth=2
	s_or_b64 exec, exec, s[20:21]
	v_cmp_lt_u64_e32 vcc, s[62:63], v[20:21]
	s_and_saveexec_b64 s[20:21], vcc
	s_cbranch_execz .LBB4_558
; %bb.553:                              ;   in Loop: Header=BB4_126 Depth=2
	v_lshrrev_b32_e32 v18, 24, v21
	v_cmp_ne_u32_e32 vcc, s52, v18
	v_bfrev_b32_e32 v0, 1
	s_and_saveexec_b64 s[78:79], vcc
	s_cbranch_execz .LBB4_557
; %bb.554:                              ;   in Loop: Header=BB4_126 Depth=2
	v_bfe_u32 v4, v21, 24, 7
	v_cmp_ne_u32_e32 vcc, s53, v4
	v_mov_b32_e32 v0, 0x7f800001
	s_and_saveexec_b64 s[88:89], vcc
	s_cbranch_execz .LBB4_556
; %bb.555:                              ;   in Loop: Header=BB4_126 Depth=2
	v_and_b32_e32 v0, 7, v18
	v_lshrrev_b32_e32 v19, 3, v4
	v_cmp_gt_u32_e32 vcc, 8, v4
	v_ffbh_u32_e32 v4, v0
	v_min_u32_e32 v20, 32, v4
	v_subrev_u32_e32 v4, 28, v20
	v_lshlrev_b64 v[4:5], v4, v[18:19]
	v_sub_u32_e32 v5, 29, v20
	v_and_b32_e32 v4, 7, v4
	v_cndmask_b32_e32 v5, v19, v5, vcc
	v_cndmask_b32_e32 v0, v0, v4, vcc
	v_lshlrev_b32_e32 v4, 24, v18
	v_lshlrev_b32_e32 v0, 20, v0
	v_and_b32_e32 v4, 0x80000000, v4
	v_lshl_add_u32 v5, v5, 23, v50
	v_or3_b32 v0, v4, v5, v0
.LBB4_556:                              ;   in Loop: Header=BB4_126 Depth=2
	s_or_b64 exec, exec, s[88:89]
.LBB4_557:                              ;   in Loop: Header=BB4_126 Depth=2
	s_or_b64 exec, exec, s[78:79]
.LBB4_558:                              ;   in Loop: Header=BB4_126 Depth=2
	s_or_b64 exec, exec, s[20:21]
	v_add_f32_e32 v1, v1, v0
	v_and_b32_e32 v52, 0x7f800000, v1
	v_cmp_ne_u64_e32 vcc, s[56:57], v[52:53]
                                        ; implicit-def: $vgpr21
	s_and_saveexec_b64 s[20:21], vcc
	s_xor_b64 s[78:79], exec, s[20:21]
	s_cbranch_execz .LBB4_572
; %bb.559:                              ;   in Loop: Header=BB4_126 Depth=2
	v_and_b32_e32 v52, 0x7fffffff, v1
	v_cmp_gt_u64_e32 vcc, s[58:59], v[52:53]
	v_and_b32_sdwa v0, v1, s52 dst_sel:DWORD dst_unused:UNUSED_PAD src0_sel:BYTE_3 src1_sel:DWORD
                                        ; implicit-def: $vgpr21
	s_and_saveexec_b64 s[20:21], vcc
	s_xor_b64 s[88:89], exec, s[20:21]
	s_cbranch_execz .LBB4_569
; %bb.560:                              ;   in Loop: Header=BB4_126 Depth=2
	v_mov_b32_e32 v21, 0
	v_cmp_ne_u32_e32 vcc, 0, v1
	s_and_saveexec_b64 s[90:91], vcc
	s_cbranch_execz .LBB4_568
; %bb.561:                              ;   in Loop: Header=BB4_126 Depth=2
	v_and_b32_e32 v5, 0x7fffff, v1
	v_bfe_u32 v1, v1, 23, 8
	v_cmp_gt_u32_e64 s[20:21], s54, v1
	v_sub_u32_e32 v4, 0x79, v1
	v_cmp_eq_u32_e32 vcc, 0, v1
	v_cndmask_b32_e64 v4, 0, v4, s[20:21]
	v_mov_b32_e32 v19, 0x78
	v_or_b32_e32 v18, 0x800000, v5
	v_cndmask_b32_e32 v4, v4, v19, vcc
	v_cndmask_b32_e32 v52, v18, v5, vcc
	v_add_u32_e32 v5, 20, v4
	v_lshlrev_b64 v[18:19], v5, -1
	v_add_u32_e32 v5, 19, v4
	v_lshlrev_b64 v[20:21], v5, 1
	v_bfi_b32 v19, v19, 0, 0
	v_bfi_b32 v18, v18, 0, v52
	v_cmp_eq_u64_e64 s[20:21], v[18:19], v[20:21]
	v_lshrrev_b64 v[18:19], v4, v[52:53]
	v_mov_b32_e32 v20, v19
	v_mov_b32_e32 v19, v18
	s_and_saveexec_b64 s[92:93], s[20:21]
; %bb.562:                              ;   in Loop: Header=BB4_126 Depth=2
	v_bfe_u32 v5, v18, 20, 1
	v_add_co_u32_e64 v5, s[20:21], v18, v5
	v_add_co_u32_e64 v19, s[20:21], -1, v5
; %bb.563:                              ;   in Loop: Header=BB4_126 Depth=2
	s_or_b64 exec, exec, s[92:93]
	v_add_u32_e32 v1, 0xffffff81, v1
	v_mov_b32_e32 v5, 0xffffff82
	v_cndmask_b32_e32 v1, v1, v5, vcc
	v_lshrrev_b32_e32 v5, 23, v18
	v_add3_u32 v5, v4, v1, v5
	v_add_u32_e32 v4, 6, v5
	v_and_b32_e32 v1, 0xfffff, v19
	v_add_u32_e32 v52, v1, v18
	v_cmp_ne_u32_e32 vcc, 0, v4
                                        ; implicit-def: $vgpr18_vgpr19
                                        ; implicit-def: $vgpr1
	s_and_saveexec_b64 s[20:21], vcc
	s_xor_b64 s[20:21], exec, s[20:21]
; %bb.564:                              ;   in Loop: Header=BB4_126 Depth=2
	v_cmp_lt_u64_e32 vcc, s[60:61], v[52:53]
	v_add_u32_e32 v1, 7, v5
	v_cndmask_b32_e32 v1, v4, v1, vcc
	v_cndmask_b32_e64 v4, 0, 1, vcc
	v_lshrrev_b64 v[18:19], v4, v[52:53]
; %bb.565:                              ;   in Loop: Header=BB4_126 Depth=2
	s_andn2_saveexec_b64 s[20:21], s[20:21]
; %bb.566:                              ;   in Loop: Header=BB4_126 Depth=2
	v_mov_b32_e32 v18, v52
	v_bfe_u32 v1, v52, 23, 1
	v_mov_b32_e32 v19, v53
; %bb.567:                              ;   in Loop: Header=BB4_126 Depth=2
	s_or_b64 exec, exec, s[20:21]
	v_lshrrev_b64 v[4:5], 20, v[18:19]
	v_cmp_gt_i32_e32 vcc, 16, v1
	v_cndmask_b32_e32 v5, 0, v5, vcc
	v_cndmask_b32_e32 v4, 7, v4, vcc
	v_cmp_eq_u32_e32 vcc, 0, v1
	v_min_i32_e32 v1, 15, v1
	v_cmp_eq_u64_e64 s[20:21], 0, v[4:5]
	v_lshlrev_b32_e32 v1, 3, v1
	v_and_b32_e32 v1, 0xf8, v1
	v_and_or_b32 v1, v4, 7, v1
	s_and_b64 s[20:21], vcc, s[20:21]
	v_cndmask_b32_e64 v1, v1, 0, s[20:21]
	v_or_b32_e32 v21, v1, v0
.LBB4_568:                              ;   in Loop: Header=BB4_126 Depth=2
	s_or_b64 exec, exec, s[90:91]
                                        ; implicit-def: $vgpr0
.LBB4_569:                              ;   in Loop: Header=BB4_126 Depth=2
	s_andn2_saveexec_b64 s[20:21], s[88:89]
; %bb.570:                              ;   in Loop: Header=BB4_126 Depth=2
	v_or_b32_e32 v21, 0x7e, v0
; %bb.571:                              ;   in Loop: Header=BB4_126 Depth=2
	s_or_b64 exec, exec, s[20:21]
                                        ; implicit-def: $vgpr1
.LBB4_572:                              ;   in Loop: Header=BB4_126 Depth=2
	s_andn2_saveexec_b64 s[20:21], s[78:79]
; %bb.573:                              ;   in Loop: Header=BB4_126 Depth=2
	v_or_b32_sdwa v21, v1, s53 dst_sel:DWORD dst_unused:UNUSED_PAD src0_sel:BYTE_3 src1_sel:DWORD
; %bb.574:                              ;   in Loop: Header=BB4_126 Depth=2
	s_or_b64 exec, exec, s[20:21]
	v_cmp_ne_u16_sdwa s[78:79], v14, v53 src0_sel:BYTE_0 src1_sel:DWORD
	v_mov_b32_e32 v0, 0
	v_mov_b32_e32 v1, 0
	s_and_saveexec_b64 s[20:21], s[78:79]
	s_cbranch_execz .LBB4_580
; %bb.575:                              ;   in Loop: Header=BB4_126 Depth=2
	v_cmp_ne_u16_sdwa s[88:89], v14, s52 src0_sel:BYTE_0 src1_sel:DWORD
	v_bfrev_b32_e32 v1, 1
	s_and_saveexec_b64 s[78:79], s[88:89]
	s_cbranch_execz .LBB4_579
; %bb.576:                              ;   in Loop: Header=BB4_126 Depth=2
	v_and_b32_e32 v4, 0x7f, v14
	v_cmp_ne_u32_e32 vcc, s53, v4
	v_mov_b32_e32 v1, 0x7f800001
	s_and_saveexec_b64 s[88:89], vcc
	s_cbranch_execz .LBB4_578
; %bb.577:                              ;   in Loop: Header=BB4_126 Depth=2
	v_and_b32_e32 v1, 7, v14
	v_ffbh_u32_e32 v1, v1
	v_min_u32_e32 v1, 32, v1
	v_lshrrev_b32_e32 v5, 3, v4
	v_cmp_gt_u32_e32 vcc, 8, v4
	v_subrev_u32_e32 v4, 28, v1
	v_sub_u32_e32 v1, 29, v1
	v_cndmask_b32_e32 v4, 0, v4, vcc
	v_cndmask_b32_e32 v1, v5, v1, vcc
	v_lshlrev_b64 v[4:5], v4, v[14:15]
	v_lshlrev_b32_e32 v5, 24, v14
	v_lshlrev_b32_e32 v4, 20, v4
	v_and_b32_e32 v4, 0x700000, v4
	v_and_b32_e32 v5, 0x80000000, v5
	v_lshl_add_u32 v1, v1, 23, v50
	v_or3_b32 v1, v5, v1, v4
.LBB4_578:                              ;   in Loop: Header=BB4_126 Depth=2
	s_or_b64 exec, exec, s[88:89]
.LBB4_579:                              ;   in Loop: Header=BB4_126 Depth=2
	s_or_b64 exec, exec, s[78:79]
.LBB4_580:                              ;   in Loop: Header=BB4_126 Depth=2
	s_or_b64 exec, exec, s[20:21]
	s_waitcnt vmcnt(0)
	v_cmp_ne_u16_sdwa s[78:79], v10, v53 src0_sel:BYTE_0 src1_sel:DWORD
	s_and_saveexec_b64 s[20:21], s[78:79]
	s_cbranch_execz .LBB4_586
; %bb.581:                              ;   in Loop: Header=BB4_126 Depth=2
	v_cmp_ne_u16_sdwa s[88:89], v10, s52 src0_sel:BYTE_0 src1_sel:DWORD
	v_bfrev_b32_e32 v0, 1
	s_and_saveexec_b64 s[78:79], s[88:89]
	s_cbranch_execz .LBB4_585
; %bb.582:                              ;   in Loop: Header=BB4_126 Depth=2
	v_and_b32_e32 v4, 0x7f, v10
	v_cmp_ne_u32_e32 vcc, s53, v4
	v_mov_b32_e32 v0, 0x7f800001
	s_and_saveexec_b64 s[88:89], vcc
	s_cbranch_execz .LBB4_584
; %bb.583:                              ;   in Loop: Header=BB4_126 Depth=2
	v_and_b32_e32 v0, 7, v10
	v_ffbh_u32_e32 v0, v0
	v_min_u32_e32 v0, 32, v0
	v_lshrrev_b32_e32 v5, 3, v4
	v_cmp_gt_u32_e32 vcc, 8, v4
	v_subrev_u32_e32 v4, 28, v0
	v_sub_u32_e32 v0, 29, v0
	v_cndmask_b32_e32 v4, 0, v4, vcc
	v_cndmask_b32_e32 v0, v5, v0, vcc
	v_lshlrev_b64 v[4:5], v4, v[10:11]
	v_lshlrev_b32_e32 v5, 24, v10
	v_lshlrev_b32_e32 v4, 20, v4
	v_and_b32_e32 v4, 0x700000, v4
	v_and_b32_e32 v5, 0x80000000, v5
	v_lshl_add_u32 v0, v0, 23, v50
	v_or3_b32 v0, v5, v0, v4
.LBB4_584:                              ;   in Loop: Header=BB4_126 Depth=2
	s_or_b64 exec, exec, s[88:89]
.LBB4_585:                              ;   in Loop: Header=BB4_126 Depth=2
	s_or_b64 exec, exec, s[78:79]
.LBB4_586:                              ;   in Loop: Header=BB4_126 Depth=2
	s_or_b64 exec, exec, s[20:21]
	v_add_f32_e32 v1, v1, v0
	v_and_b32_e32 v52, 0x7f800000, v1
	v_cmp_ne_u64_e32 vcc, s[56:57], v[52:53]
                                        ; implicit-def: $vgpr23
	s_and_saveexec_b64 s[20:21], vcc
	s_xor_b64 s[78:79], exec, s[20:21]
	s_cbranch_execz .LBB4_600
; %bb.587:                              ;   in Loop: Header=BB4_126 Depth=2
	v_and_b32_e32 v52, 0x7fffffff, v1
	v_cmp_gt_u64_e32 vcc, s[58:59], v[52:53]
	v_and_b32_sdwa v0, v1, s52 dst_sel:DWORD dst_unused:UNUSED_PAD src0_sel:BYTE_3 src1_sel:DWORD
                                        ; implicit-def: $vgpr23
	s_and_saveexec_b64 s[20:21], vcc
	s_xor_b64 s[88:89], exec, s[20:21]
	s_cbranch_execz .LBB4_597
; %bb.588:                              ;   in Loop: Header=BB4_126 Depth=2
	v_mov_b32_e32 v23, 0
	v_cmp_ne_u32_e32 vcc, 0, v1
	s_and_saveexec_b64 s[90:91], vcc
	s_cbranch_execz .LBB4_596
; %bb.589:                              ;   in Loop: Header=BB4_126 Depth=2
	v_and_b32_e32 v5, 0x7fffff, v1
	v_bfe_u32 v1, v1, 23, 8
	v_cmp_gt_u32_e64 s[20:21], s54, v1
	v_sub_u32_e32 v4, 0x79, v1
	v_cmp_eq_u32_e32 vcc, 0, v1
	v_cndmask_b32_e64 v4, 0, v4, s[20:21]
	v_mov_b32_e32 v19, 0x78
	v_or_b32_e32 v18, 0x800000, v5
	v_cndmask_b32_e32 v4, v4, v19, vcc
	v_cndmask_b32_e32 v52, v18, v5, vcc
	v_add_u32_e32 v5, 20, v4
	v_lshlrev_b64 v[18:19], v5, -1
	v_add_u32_e32 v5, 19, v4
	v_lshlrev_b64 v[23:24], v5, 1
	v_bfi_b32 v19, v19, 0, 0
	v_bfi_b32 v18, v18, 0, v52
	v_cmp_eq_u64_e64 s[20:21], v[18:19], v[23:24]
	v_lshrrev_b64 v[18:19], v4, v[52:53]
	v_mov_b32_e32 v20, v19
	v_mov_b32_e32 v19, v18
	s_and_saveexec_b64 s[92:93], s[20:21]
; %bb.590:                              ;   in Loop: Header=BB4_126 Depth=2
	v_bfe_u32 v5, v18, 20, 1
	v_add_co_u32_e64 v5, s[20:21], v18, v5
	v_add_co_u32_e64 v19, s[20:21], -1, v5
; %bb.591:                              ;   in Loop: Header=BB4_126 Depth=2
	s_or_b64 exec, exec, s[92:93]
	v_add_u32_e32 v1, 0xffffff81, v1
	v_mov_b32_e32 v5, 0xffffff82
	v_cndmask_b32_e32 v1, v1, v5, vcc
	v_lshrrev_b32_e32 v5, 23, v18
	v_add3_u32 v5, v4, v1, v5
	v_add_u32_e32 v4, 6, v5
	v_and_b32_e32 v1, 0xfffff, v19
	v_add_u32_e32 v52, v1, v18
	v_cmp_ne_u32_e32 vcc, 0, v4
                                        ; implicit-def: $vgpr18_vgpr19
                                        ; implicit-def: $vgpr1
	s_and_saveexec_b64 s[20:21], vcc
	s_xor_b64 s[20:21], exec, s[20:21]
; %bb.592:                              ;   in Loop: Header=BB4_126 Depth=2
	v_cmp_lt_u64_e32 vcc, s[60:61], v[52:53]
	v_add_u32_e32 v1, 7, v5
	v_cndmask_b32_e32 v1, v4, v1, vcc
	v_cndmask_b32_e64 v4, 0, 1, vcc
	v_lshrrev_b64 v[18:19], v4, v[52:53]
; %bb.593:                              ;   in Loop: Header=BB4_126 Depth=2
	s_andn2_saveexec_b64 s[20:21], s[20:21]
; %bb.594:                              ;   in Loop: Header=BB4_126 Depth=2
	v_mov_b32_e32 v18, v52
	v_bfe_u32 v1, v52, 23, 1
	v_mov_b32_e32 v19, v53
; %bb.595:                              ;   in Loop: Header=BB4_126 Depth=2
	s_or_b64 exec, exec, s[20:21]
	v_lshrrev_b64 v[4:5], 20, v[18:19]
	v_cmp_gt_i32_e32 vcc, 16, v1
	v_cndmask_b32_e32 v5, 0, v5, vcc
	v_cndmask_b32_e32 v4, 7, v4, vcc
	v_cmp_eq_u32_e32 vcc, 0, v1
	v_min_i32_e32 v1, 15, v1
	v_cmp_eq_u64_e64 s[20:21], 0, v[4:5]
	v_lshlrev_b32_e32 v1, 3, v1
	v_and_b32_e32 v1, 0xf8, v1
	v_and_or_b32 v1, v4, 7, v1
	s_and_b64 s[20:21], vcc, s[20:21]
	v_cndmask_b32_e64 v1, v1, 0, s[20:21]
	v_or_b32_e32 v23, v1, v0
.LBB4_596:                              ;   in Loop: Header=BB4_126 Depth=2
	s_or_b64 exec, exec, s[90:91]
                                        ; implicit-def: $vgpr0
.LBB4_597:                              ;   in Loop: Header=BB4_126 Depth=2
	s_andn2_saveexec_b64 s[20:21], s[88:89]
; %bb.598:                              ;   in Loop: Header=BB4_126 Depth=2
	v_or_b32_e32 v23, 0x7e, v0
; %bb.599:                              ;   in Loop: Header=BB4_126 Depth=2
	s_or_b64 exec, exec, s[20:21]
                                        ; implicit-def: $vgpr1
.LBB4_600:                              ;   in Loop: Header=BB4_126 Depth=2
	s_andn2_saveexec_b64 s[20:21], s[78:79]
; %bb.601:                              ;   in Loop: Header=BB4_126 Depth=2
	v_or_b32_sdwa v23, v1, s53 dst_sel:DWORD dst_unused:UNUSED_PAD src0_sel:BYTE_3 src1_sel:DWORD
; %bb.602:                              ;   in Loop: Header=BB4_126 Depth=2
	s_or_b64 exec, exec, s[20:21]
	v_lshrrev_b16_e32 v18, 8, v14
	v_cmp_ne_u16_e32 vcc, 0, v18
	v_mov_b32_e32 v0, 0
	v_mov_b32_e32 v1, 0
	s_and_saveexec_b64 s[20:21], vcc
	s_cbranch_execz .LBB4_608
; %bb.603:                              ;   in Loop: Header=BB4_126 Depth=2
	v_cmp_ne_u16_e32 vcc, s52, v18
	v_bfrev_b32_e32 v1, 1
	s_and_saveexec_b64 s[78:79], vcc
	s_cbranch_execz .LBB4_607
; %bb.604:                              ;   in Loop: Header=BB4_126 Depth=2
	v_and_b32_e32 v4, 0x7f, v18
	v_cmp_ne_u32_e32 vcc, s53, v4
	v_mov_b32_e32 v1, 0x7f800001
	s_and_saveexec_b64 s[88:89], vcc
	s_cbranch_execz .LBB4_606
; %bb.605:                              ;   in Loop: Header=BB4_126 Depth=2
	v_and_b32_e32 v1, 7, v18
	v_lshrrev_b32_e32 v19, 3, v4
	v_cmp_gt_u32_e32 vcc, 8, v4
	v_ffbh_u32_e32 v4, v1
	v_min_u32_e32 v20, 32, v4
	v_subrev_u32_e32 v4, 28, v20
	v_lshlrev_b64 v[4:5], v4, v[18:19]
	v_sub_u32_e32 v5, 29, v20
	v_and_b32_e32 v4, 7, v4
	v_cndmask_b32_e32 v5, v19, v5, vcc
	v_cndmask_b32_e32 v1, v1, v4, vcc
	v_lshlrev_b32_e32 v4, 16, v14
	v_lshlrev_b32_e32 v1, 20, v1
	v_and_b32_e32 v4, 0x80000000, v4
	v_lshl_add_u32 v5, v5, 23, v50
	v_or3_b32 v1, v4, v5, v1
.LBB4_606:                              ;   in Loop: Header=BB4_126 Depth=2
	s_or_b64 exec, exec, s[88:89]
.LBB4_607:                              ;   in Loop: Header=BB4_126 Depth=2
	s_or_b64 exec, exec, s[78:79]
.LBB4_608:                              ;   in Loop: Header=BB4_126 Depth=2
	s_or_b64 exec, exec, s[20:21]
	v_lshrrev_b16_e32 v18, 8, v10
	v_cmp_ne_u16_e32 vcc, 0, v18
	s_and_saveexec_b64 s[20:21], vcc
	s_cbranch_execz .LBB4_614
; %bb.609:                              ;   in Loop: Header=BB4_126 Depth=2
	v_cmp_ne_u16_e32 vcc, s52, v18
	v_bfrev_b32_e32 v0, 1
	s_and_saveexec_b64 s[78:79], vcc
	s_cbranch_execz .LBB4_613
; %bb.610:                              ;   in Loop: Header=BB4_126 Depth=2
	v_and_b32_e32 v4, 0x7f, v18
	v_cmp_ne_u32_e32 vcc, s53, v4
	v_mov_b32_e32 v0, 0x7f800001
	s_and_saveexec_b64 s[88:89], vcc
	s_cbranch_execz .LBB4_612
; %bb.611:                              ;   in Loop: Header=BB4_126 Depth=2
	v_and_b32_e32 v0, 7, v18
	v_lshrrev_b32_e32 v19, 3, v4
	v_cmp_gt_u32_e32 vcc, 8, v4
	v_ffbh_u32_e32 v4, v0
	v_min_u32_e32 v20, 32, v4
	v_subrev_u32_e32 v4, 28, v20
	v_lshlrev_b64 v[4:5], v4, v[18:19]
	v_sub_u32_e32 v5, 29, v20
	v_and_b32_e32 v4, 7, v4
	v_cndmask_b32_e32 v5, v19, v5, vcc
	v_cndmask_b32_e32 v0, v0, v4, vcc
	v_lshlrev_b32_e32 v4, 16, v10
	v_lshlrev_b32_e32 v0, 20, v0
	v_and_b32_e32 v4, 0x80000000, v4
	v_lshl_add_u32 v5, v5, 23, v50
	v_or3_b32 v0, v4, v5, v0
.LBB4_612:                              ;   in Loop: Header=BB4_126 Depth=2
	s_or_b64 exec, exec, s[88:89]
.LBB4_613:                              ;   in Loop: Header=BB4_126 Depth=2
	s_or_b64 exec, exec, s[78:79]
.LBB4_614:                              ;   in Loop: Header=BB4_126 Depth=2
	s_or_b64 exec, exec, s[20:21]
	v_add_f32_e32 v1, v1, v0
	v_and_b32_e32 v52, 0x7f800000, v1
	v_cmp_ne_u64_e32 vcc, s[56:57], v[52:53]
                                        ; implicit-def: $vgpr24
	s_and_saveexec_b64 s[20:21], vcc
	s_xor_b64 s[78:79], exec, s[20:21]
	s_cbranch_execz .LBB4_628
; %bb.615:                              ;   in Loop: Header=BB4_126 Depth=2
	v_and_b32_e32 v52, 0x7fffffff, v1
	v_cmp_gt_u64_e32 vcc, s[58:59], v[52:53]
	v_and_b32_sdwa v0, v1, s52 dst_sel:DWORD dst_unused:UNUSED_PAD src0_sel:BYTE_3 src1_sel:DWORD
                                        ; implicit-def: $vgpr24
	s_and_saveexec_b64 s[20:21], vcc
	s_xor_b64 s[88:89], exec, s[20:21]
	s_cbranch_execz .LBB4_625
; %bb.616:                              ;   in Loop: Header=BB4_126 Depth=2
	v_mov_b32_e32 v24, 0
	v_cmp_ne_u32_e32 vcc, 0, v1
	s_and_saveexec_b64 s[90:91], vcc
	s_cbranch_execz .LBB4_624
; %bb.617:                              ;   in Loop: Header=BB4_126 Depth=2
	v_and_b32_e32 v5, 0x7fffff, v1
	v_bfe_u32 v1, v1, 23, 8
	v_cmp_gt_u32_e64 s[20:21], s54, v1
	v_sub_u32_e32 v4, 0x79, v1
	v_cmp_eq_u32_e32 vcc, 0, v1
	v_cndmask_b32_e64 v4, 0, v4, s[20:21]
	v_mov_b32_e32 v19, 0x78
	v_or_b32_e32 v18, 0x800000, v5
	v_cndmask_b32_e32 v4, v4, v19, vcc
	v_cndmask_b32_e32 v52, v18, v5, vcc
	v_add_u32_e32 v5, 20, v4
	v_lshlrev_b64 v[18:19], v5, -1
	v_add_u32_e32 v5, 19, v4
	v_lshlrev_b64 v[24:25], v5, 1
	v_bfi_b32 v19, v19, 0, 0
	v_bfi_b32 v18, v18, 0, v52
	v_cmp_eq_u64_e64 s[20:21], v[18:19], v[24:25]
	v_lshrrev_b64 v[18:19], v4, v[52:53]
	v_mov_b32_e32 v20, v19
	v_mov_b32_e32 v19, v18
	s_and_saveexec_b64 s[92:93], s[20:21]
; %bb.618:                              ;   in Loop: Header=BB4_126 Depth=2
	v_bfe_u32 v5, v18, 20, 1
	v_add_co_u32_e64 v5, s[20:21], v18, v5
	v_add_co_u32_e64 v19, s[20:21], -1, v5
; %bb.619:                              ;   in Loop: Header=BB4_126 Depth=2
	s_or_b64 exec, exec, s[92:93]
	v_add_u32_e32 v1, 0xffffff81, v1
	v_mov_b32_e32 v5, 0xffffff82
	v_cndmask_b32_e32 v1, v1, v5, vcc
	v_lshrrev_b32_e32 v5, 23, v18
	v_add3_u32 v5, v4, v1, v5
	v_add_u32_e32 v4, 6, v5
	v_and_b32_e32 v1, 0xfffff, v19
	v_add_u32_e32 v52, v1, v18
	v_cmp_ne_u32_e32 vcc, 0, v4
                                        ; implicit-def: $vgpr18_vgpr19
                                        ; implicit-def: $vgpr1
	s_and_saveexec_b64 s[20:21], vcc
	s_xor_b64 s[20:21], exec, s[20:21]
; %bb.620:                              ;   in Loop: Header=BB4_126 Depth=2
	v_cmp_lt_u64_e32 vcc, s[60:61], v[52:53]
	v_add_u32_e32 v1, 7, v5
	v_cndmask_b32_e32 v1, v4, v1, vcc
	v_cndmask_b32_e64 v4, 0, 1, vcc
	v_lshrrev_b64 v[18:19], v4, v[52:53]
; %bb.621:                              ;   in Loop: Header=BB4_126 Depth=2
	s_andn2_saveexec_b64 s[20:21], s[20:21]
; %bb.622:                              ;   in Loop: Header=BB4_126 Depth=2
	v_mov_b32_e32 v18, v52
	v_bfe_u32 v1, v52, 23, 1
	v_mov_b32_e32 v19, v53
; %bb.623:                              ;   in Loop: Header=BB4_126 Depth=2
	s_or_b64 exec, exec, s[20:21]
	v_lshrrev_b64 v[4:5], 20, v[18:19]
	v_cmp_gt_i32_e32 vcc, 16, v1
	v_cndmask_b32_e32 v5, 0, v5, vcc
	v_cndmask_b32_e32 v4, 7, v4, vcc
	v_cmp_eq_u32_e32 vcc, 0, v1
	v_min_i32_e32 v1, 15, v1
	v_cmp_eq_u64_e64 s[20:21], 0, v[4:5]
	v_lshlrev_b32_e32 v1, 3, v1
	v_and_b32_e32 v1, 0xf8, v1
	v_and_or_b32 v1, v4, 7, v1
	s_and_b64 s[20:21], vcc, s[20:21]
	v_cndmask_b32_e64 v1, v1, 0, s[20:21]
	v_or_b32_e32 v24, v1, v0
.LBB4_624:                              ;   in Loop: Header=BB4_126 Depth=2
	s_or_b64 exec, exec, s[90:91]
                                        ; implicit-def: $vgpr0
.LBB4_625:                              ;   in Loop: Header=BB4_126 Depth=2
	s_andn2_saveexec_b64 s[20:21], s[88:89]
; %bb.626:                              ;   in Loop: Header=BB4_126 Depth=2
	v_or_b32_e32 v24, 0x7e, v0
; %bb.627:                              ;   in Loop: Header=BB4_126 Depth=2
	s_or_b64 exec, exec, s[20:21]
                                        ; implicit-def: $vgpr1
.LBB4_628:                              ;   in Loop: Header=BB4_126 Depth=2
	s_andn2_saveexec_b64 s[20:21], s[78:79]
; %bb.629:                              ;   in Loop: Header=BB4_126 Depth=2
	v_or_b32_sdwa v24, v1, s53 dst_sel:DWORD dst_unused:UNUSED_PAD src0_sel:BYTE_3 src1_sel:DWORD
; %bb.630:                              ;   in Loop: Header=BB4_126 Depth=2
	s_or_b64 exec, exec, s[20:21]
	v_lshrrev_b32_e32 v18, 16, v14
	v_cmp_ne_u16_sdwa s[78:79], v18, v53 src0_sel:BYTE_0 src1_sel:DWORD
	v_mov_b32_e32 v0, 0
	v_mov_b32_e32 v1, 0
	s_and_saveexec_b64 s[20:21], s[78:79]
	s_cbranch_execz .LBB4_636
; %bb.631:                              ;   in Loop: Header=BB4_126 Depth=2
	v_cmp_ne_u16_sdwa s[88:89], v18, s52 src0_sel:BYTE_0 src1_sel:DWORD
	v_bfrev_b32_e32 v1, 1
	s_and_saveexec_b64 s[78:79], s[88:89]
	s_cbranch_execz .LBB4_635
; %bb.632:                              ;   in Loop: Header=BB4_126 Depth=2
	v_bfe_u32 v4, v14, 16, 7
	v_cmp_ne_u32_e32 vcc, s53, v4
	v_mov_b32_e32 v1, 0x7f800001
	s_and_saveexec_b64 s[88:89], vcc
	s_cbranch_execz .LBB4_634
; %bb.633:                              ;   in Loop: Header=BB4_126 Depth=2
	v_and_b32_e32 v1, 7, v18
	v_lshrrev_b32_e32 v19, 3, v4
	v_cmp_gt_u32_e32 vcc, 8, v4
	v_ffbh_u32_e32 v4, v1
	v_min_u32_e32 v20, 32, v4
	v_subrev_u32_e32 v4, 28, v20
	v_lshlrev_b64 v[4:5], v4, v[18:19]
	v_sub_u32_e32 v5, 29, v20
	v_and_b32_e32 v4, 7, v4
	v_cndmask_b32_e32 v5, v19, v5, vcc
	v_cndmask_b32_e32 v1, v1, v4, vcc
	v_lshlrev_b32_e32 v4, 24, v18
	v_lshlrev_b32_e32 v1, 20, v1
	v_and_b32_e32 v4, 0x80000000, v4
	v_lshl_add_u32 v5, v5, 23, v50
	v_or3_b32 v1, v4, v5, v1
.LBB4_634:                              ;   in Loop: Header=BB4_126 Depth=2
	s_or_b64 exec, exec, s[88:89]
.LBB4_635:                              ;   in Loop: Header=BB4_126 Depth=2
	s_or_b64 exec, exec, s[78:79]
.LBB4_636:                              ;   in Loop: Header=BB4_126 Depth=2
	s_or_b64 exec, exec, s[20:21]
	v_lshrrev_b32_e32 v18, 16, v10
	v_cmp_ne_u16_sdwa s[78:79], v18, v53 src0_sel:BYTE_0 src1_sel:DWORD
	s_and_saveexec_b64 s[20:21], s[78:79]
	s_cbranch_execz .LBB4_642
; %bb.637:                              ;   in Loop: Header=BB4_126 Depth=2
	v_cmp_ne_u16_sdwa s[88:89], v18, s52 src0_sel:BYTE_0 src1_sel:DWORD
	v_bfrev_b32_e32 v0, 1
	s_and_saveexec_b64 s[78:79], s[88:89]
	s_cbranch_execz .LBB4_641
; %bb.638:                              ;   in Loop: Header=BB4_126 Depth=2
	v_bfe_u32 v4, v10, 16, 7
	v_cmp_ne_u32_e32 vcc, s53, v4
	v_mov_b32_e32 v0, 0x7f800001
	s_and_saveexec_b64 s[88:89], vcc
	s_cbranch_execz .LBB4_640
; %bb.639:                              ;   in Loop: Header=BB4_126 Depth=2
	v_and_b32_e32 v0, 7, v18
	v_lshrrev_b32_e32 v19, 3, v4
	v_cmp_gt_u32_e32 vcc, 8, v4
	v_ffbh_u32_e32 v4, v0
	v_min_u32_e32 v20, 32, v4
	v_subrev_u32_e32 v4, 28, v20
	v_lshlrev_b64 v[4:5], v4, v[18:19]
	v_sub_u32_e32 v5, 29, v20
	v_and_b32_e32 v4, 7, v4
	v_cndmask_b32_e32 v5, v19, v5, vcc
	v_cndmask_b32_e32 v0, v0, v4, vcc
	v_lshlrev_b32_e32 v4, 8, v10
	v_lshlrev_b32_e32 v0, 20, v0
	v_and_b32_e32 v4, 0x80000000, v4
	v_lshl_add_u32 v5, v5, 23, v50
	v_or3_b32 v0, v4, v5, v0
.LBB4_640:                              ;   in Loop: Header=BB4_126 Depth=2
	s_or_b64 exec, exec, s[88:89]
.LBB4_641:                              ;   in Loop: Header=BB4_126 Depth=2
	s_or_b64 exec, exec, s[78:79]
.LBB4_642:                              ;   in Loop: Header=BB4_126 Depth=2
	s_or_b64 exec, exec, s[20:21]
	v_add_f32_e32 v1, v1, v0
	v_and_b32_e32 v52, 0x7f800000, v1
	v_cmp_ne_u64_e32 vcc, s[56:57], v[52:53]
                                        ; implicit-def: $vgpr25
	s_and_saveexec_b64 s[20:21], vcc
	s_xor_b64 s[78:79], exec, s[20:21]
	s_cbranch_execz .LBB4_656
; %bb.643:                              ;   in Loop: Header=BB4_126 Depth=2
	v_and_b32_e32 v52, 0x7fffffff, v1
	v_cmp_gt_u64_e32 vcc, s[58:59], v[52:53]
	v_and_b32_sdwa v0, v1, s52 dst_sel:DWORD dst_unused:UNUSED_PAD src0_sel:BYTE_3 src1_sel:DWORD
                                        ; implicit-def: $vgpr25
	s_and_saveexec_b64 s[20:21], vcc
	s_xor_b64 s[88:89], exec, s[20:21]
	s_cbranch_execz .LBB4_653
; %bb.644:                              ;   in Loop: Header=BB4_126 Depth=2
	v_mov_b32_e32 v25, 0
	v_cmp_ne_u32_e32 vcc, 0, v1
	s_and_saveexec_b64 s[90:91], vcc
	s_cbranch_execz .LBB4_652
; %bb.645:                              ;   in Loop: Header=BB4_126 Depth=2
	v_and_b32_e32 v5, 0x7fffff, v1
	v_bfe_u32 v1, v1, 23, 8
	v_cmp_gt_u32_e64 s[20:21], s54, v1
	v_sub_u32_e32 v4, 0x79, v1
	v_cmp_eq_u32_e32 vcc, 0, v1
	v_cndmask_b32_e64 v4, 0, v4, s[20:21]
	v_mov_b32_e32 v19, 0x78
	v_or_b32_e32 v18, 0x800000, v5
	v_cndmask_b32_e32 v4, v4, v19, vcc
	v_cndmask_b32_e32 v52, v18, v5, vcc
	v_add_u32_e32 v5, 20, v4
	v_lshlrev_b64 v[18:19], v5, -1
	v_add_u32_e32 v5, 19, v4
	v_lshlrev_b64 v[25:26], v5, 1
	v_bfi_b32 v19, v19, 0, 0
	v_bfi_b32 v18, v18, 0, v52
	v_cmp_eq_u64_e64 s[20:21], v[18:19], v[25:26]
	v_lshrrev_b64 v[18:19], v4, v[52:53]
	v_mov_b32_e32 v20, v19
	v_mov_b32_e32 v19, v18
	s_and_saveexec_b64 s[92:93], s[20:21]
; %bb.646:                              ;   in Loop: Header=BB4_126 Depth=2
	v_bfe_u32 v5, v18, 20, 1
	v_add_co_u32_e64 v5, s[20:21], v18, v5
	v_add_co_u32_e64 v19, s[20:21], -1, v5
; %bb.647:                              ;   in Loop: Header=BB4_126 Depth=2
	s_or_b64 exec, exec, s[92:93]
	v_add_u32_e32 v1, 0xffffff81, v1
	v_mov_b32_e32 v5, 0xffffff82
	v_cndmask_b32_e32 v1, v1, v5, vcc
	v_lshrrev_b32_e32 v5, 23, v18
	v_add3_u32 v5, v4, v1, v5
	v_add_u32_e32 v4, 6, v5
	v_and_b32_e32 v1, 0xfffff, v19
	v_add_u32_e32 v52, v1, v18
	v_cmp_ne_u32_e32 vcc, 0, v4
                                        ; implicit-def: $vgpr18_vgpr19
                                        ; implicit-def: $vgpr1
	s_and_saveexec_b64 s[20:21], vcc
	s_xor_b64 s[20:21], exec, s[20:21]
; %bb.648:                              ;   in Loop: Header=BB4_126 Depth=2
	v_cmp_lt_u64_e32 vcc, s[60:61], v[52:53]
	v_add_u32_e32 v1, 7, v5
	v_cndmask_b32_e32 v1, v4, v1, vcc
	v_cndmask_b32_e64 v4, 0, 1, vcc
	v_lshrrev_b64 v[18:19], v4, v[52:53]
; %bb.649:                              ;   in Loop: Header=BB4_126 Depth=2
	s_andn2_saveexec_b64 s[20:21], s[20:21]
; %bb.650:                              ;   in Loop: Header=BB4_126 Depth=2
	v_mov_b32_e32 v18, v52
	v_bfe_u32 v1, v52, 23, 1
	v_mov_b32_e32 v19, v53
; %bb.651:                              ;   in Loop: Header=BB4_126 Depth=2
	s_or_b64 exec, exec, s[20:21]
	v_lshrrev_b64 v[4:5], 20, v[18:19]
	v_cmp_gt_i32_e32 vcc, 16, v1
	v_cndmask_b32_e32 v5, 0, v5, vcc
	v_cndmask_b32_e32 v4, 7, v4, vcc
	v_cmp_eq_u32_e32 vcc, 0, v1
	v_min_i32_e32 v1, 15, v1
	v_cmp_eq_u64_e64 s[20:21], 0, v[4:5]
	v_lshlrev_b32_e32 v1, 3, v1
	v_and_b32_e32 v1, 0xf8, v1
	v_and_or_b32 v1, v4, 7, v1
	s_and_b64 s[20:21], vcc, s[20:21]
	v_cndmask_b32_e64 v1, v1, 0, s[20:21]
	v_or_b32_e32 v25, v1, v0
.LBB4_652:                              ;   in Loop: Header=BB4_126 Depth=2
	s_or_b64 exec, exec, s[90:91]
                                        ; implicit-def: $vgpr0
.LBB4_653:                              ;   in Loop: Header=BB4_126 Depth=2
	s_andn2_saveexec_b64 s[20:21], s[88:89]
; %bb.654:                              ;   in Loop: Header=BB4_126 Depth=2
	v_or_b32_e32 v25, 0x7e, v0
; %bb.655:                              ;   in Loop: Header=BB4_126 Depth=2
	s_or_b64 exec, exec, s[20:21]
                                        ; implicit-def: $vgpr1
.LBB4_656:                              ;   in Loop: Header=BB4_126 Depth=2
	s_andn2_saveexec_b64 s[20:21], s[78:79]
; %bb.657:                              ;   in Loop: Header=BB4_126 Depth=2
	v_or_b32_sdwa v25, v1, s53 dst_sel:DWORD dst_unused:UNUSED_PAD src0_sel:BYTE_3 src1_sel:DWORD
; %bb.658:                              ;   in Loop: Header=BB4_126 Depth=2
	s_or_b64 exec, exec, s[20:21]
	v_cmp_lt_u32_e32 vcc, s63, v14
	v_mov_b32_e32 v0, 0
	v_mov_b32_e32 v1, 0
	s_and_saveexec_b64 s[20:21], vcc
	s_cbranch_execz .LBB4_664
; %bb.659:                              ;   in Loop: Header=BB4_126 Depth=2
	v_lshrrev_b32_e32 v18, 24, v14
	v_cmp_ne_u32_e32 vcc, s52, v18
	v_bfrev_b32_e32 v1, 1
	s_and_saveexec_b64 s[78:79], vcc
	s_cbranch_execz .LBB4_663
; %bb.660:                              ;   in Loop: Header=BB4_126 Depth=2
	v_bfe_u32 v4, v14, 24, 7
	v_cmp_ne_u32_e32 vcc, s53, v4
	v_mov_b32_e32 v1, 0x7f800001
	s_and_saveexec_b64 s[88:89], vcc
	s_cbranch_execz .LBB4_662
; %bb.661:                              ;   in Loop: Header=BB4_126 Depth=2
	v_and_b32_e32 v1, 7, v18
	v_lshrrev_b32_e32 v19, 3, v4
	v_cmp_gt_u32_e32 vcc, 8, v4
	v_ffbh_u32_e32 v4, v1
	v_min_u32_e32 v20, 32, v4
	v_subrev_u32_e32 v4, 28, v20
	v_lshlrev_b64 v[4:5], v4, v[18:19]
	v_sub_u32_e32 v5, 29, v20
	v_and_b32_e32 v4, 7, v4
	v_cndmask_b32_e32 v5, v19, v5, vcc
	v_cndmask_b32_e32 v1, v1, v4, vcc
	v_lshlrev_b32_e32 v4, 24, v18
	v_lshlrev_b32_e32 v1, 20, v1
	v_and_b32_e32 v4, 0x80000000, v4
	v_lshl_add_u32 v5, v5, 23, v50
	v_or3_b32 v1, v4, v5, v1
.LBB4_662:                              ;   in Loop: Header=BB4_126 Depth=2
	s_or_b64 exec, exec, s[88:89]
.LBB4_663:                              ;   in Loop: Header=BB4_126 Depth=2
	s_or_b64 exec, exec, s[78:79]
.LBB4_664:                              ;   in Loop: Header=BB4_126 Depth=2
	s_or_b64 exec, exec, s[20:21]
	v_cmp_lt_u32_e32 vcc, s63, v10
	s_and_saveexec_b64 s[20:21], vcc
	s_cbranch_execz .LBB4_670
; %bb.665:                              ;   in Loop: Header=BB4_126 Depth=2
	v_lshrrev_b32_e32 v18, 24, v10
	v_cmp_ne_u32_e32 vcc, s52, v18
	v_bfrev_b32_e32 v0, 1
	s_and_saveexec_b64 s[78:79], vcc
	s_cbranch_execz .LBB4_669
; %bb.666:                              ;   in Loop: Header=BB4_126 Depth=2
	v_bfe_u32 v4, v10, 24, 7
	v_cmp_ne_u32_e32 vcc, s53, v4
	v_mov_b32_e32 v0, 0x7f800001
	s_and_saveexec_b64 s[88:89], vcc
	s_cbranch_execz .LBB4_668
; %bb.667:                              ;   in Loop: Header=BB4_126 Depth=2
	v_and_b32_e32 v0, 7, v18
	v_lshrrev_b32_e32 v19, 3, v4
	v_cmp_gt_u32_e32 vcc, 8, v4
	v_ffbh_u32_e32 v4, v0
	v_min_u32_e32 v20, 32, v4
	v_subrev_u32_e32 v4, 28, v20
	v_lshlrev_b64 v[4:5], v4, v[18:19]
	v_sub_u32_e32 v5, 29, v20
	v_and_b32_e32 v4, 7, v4
	v_cndmask_b32_e32 v5, v19, v5, vcc
	v_cndmask_b32_e32 v0, v0, v4, vcc
	v_lshlrev_b32_e32 v4, 24, v18
	v_lshlrev_b32_e32 v0, 20, v0
	v_and_b32_e32 v4, 0x80000000, v4
	v_lshl_add_u32 v5, v5, 23, v50
	v_or3_b32 v0, v4, v5, v0
.LBB4_668:                              ;   in Loop: Header=BB4_126 Depth=2
	s_or_b64 exec, exec, s[88:89]
.LBB4_669:                              ;   in Loop: Header=BB4_126 Depth=2
	s_or_b64 exec, exec, s[78:79]
.LBB4_670:                              ;   in Loop: Header=BB4_126 Depth=2
	s_or_b64 exec, exec, s[20:21]
	v_add_f32_e32 v4, v1, v0
	v_and_b32_e32 v52, 0x7f800000, v4
	v_cmp_ne_u64_e32 vcc, s[56:57], v[52:53]
                                        ; implicit-def: $vgpr0
	s_and_saveexec_b64 s[20:21], vcc
	s_xor_b64 s[78:79], exec, s[20:21]
	s_cbranch_execz .LBB4_684
; %bb.671:                              ;   in Loop: Header=BB4_126 Depth=2
	v_and_b32_e32 v52, 0x7fffffff, v4
	v_cmp_gt_u64_e32 vcc, s[58:59], v[52:53]
	v_and_b32_sdwa v1, v4, s52 dst_sel:DWORD dst_unused:UNUSED_PAD src0_sel:BYTE_3 src1_sel:DWORD
                                        ; implicit-def: $vgpr0
	s_and_saveexec_b64 s[20:21], vcc
	s_xor_b64 s[88:89], exec, s[20:21]
	s_cbranch_execz .LBB4_681
; %bb.672:                              ;   in Loop: Header=BB4_126 Depth=2
	v_mov_b32_e32 v0, 0
	v_cmp_ne_u32_e32 vcc, 0, v4
	s_and_saveexec_b64 s[90:91], vcc
	s_cbranch_execz .LBB4_680
; %bb.673:                              ;   in Loop: Header=BB4_126 Depth=2
	v_bfe_u32 v0, v4, 23, 8
	v_and_b32_e32 v5, 0x7fffff, v4
	v_cmp_gt_u32_e64 s[20:21], s54, v0
	v_sub_u32_e32 v4, 0x79, v0
	v_cmp_eq_u32_e32 vcc, 0, v0
	v_cndmask_b32_e64 v4, 0, v4, s[20:21]
	v_mov_b32_e32 v19, 0x78
	v_or_b32_e32 v18, 0x800000, v5
	v_cndmask_b32_e32 v4, v4, v19, vcc
	v_cndmask_b32_e32 v52, v18, v5, vcc
	v_add_u32_e32 v5, 20, v4
	v_lshlrev_b64 v[18:19], v5, -1
	v_add_u32_e32 v5, 19, v4
	v_lshlrev_b64 v[48:49], v5, 1
	v_bfi_b32 v19, v19, 0, 0
	v_bfi_b32 v18, v18, 0, v52
	v_cmp_eq_u64_e64 s[20:21], v[18:19], v[48:49]
	v_lshrrev_b64 v[18:19], v4, v[52:53]
	v_mov_b32_e32 v20, v19
	v_mov_b32_e32 v19, v18
	s_and_saveexec_b64 s[92:93], s[20:21]
; %bb.674:                              ;   in Loop: Header=BB4_126 Depth=2
	v_bfe_u32 v5, v18, 20, 1
	v_add_co_u32_e64 v5, s[20:21], v18, v5
	v_add_co_u32_e64 v19, s[20:21], -1, v5
; %bb.675:                              ;   in Loop: Header=BB4_126 Depth=2
	s_or_b64 exec, exec, s[92:93]
	v_add_u32_e32 v0, 0xffffff81, v0
	v_mov_b32_e32 v5, 0xffffff82
	v_cndmask_b32_e32 v0, v0, v5, vcc
	v_lshrrev_b32_e32 v5, 23, v18
	v_add3_u32 v5, v4, v0, v5
	v_add_u32_e32 v4, 6, v5
	v_and_b32_e32 v0, 0xfffff, v19
	v_add_u32_e32 v52, v0, v18
	v_cmp_ne_u32_e32 vcc, 0, v4
                                        ; implicit-def: $vgpr18_vgpr19
                                        ; implicit-def: $vgpr0
	s_and_saveexec_b64 s[20:21], vcc
	s_xor_b64 s[20:21], exec, s[20:21]
; %bb.676:                              ;   in Loop: Header=BB4_126 Depth=2
	v_cmp_lt_u64_e32 vcc, s[60:61], v[52:53]
	v_add_u32_e32 v0, 7, v5
	v_cndmask_b32_e32 v0, v4, v0, vcc
	v_cndmask_b32_e64 v4, 0, 1, vcc
	v_lshrrev_b64 v[18:19], v4, v[52:53]
; %bb.677:                              ;   in Loop: Header=BB4_126 Depth=2
	s_andn2_saveexec_b64 s[20:21], s[20:21]
; %bb.678:                              ;   in Loop: Header=BB4_126 Depth=2
	v_mov_b32_e32 v18, v52
	v_bfe_u32 v0, v52, 23, 1
	v_mov_b32_e32 v19, v53
; %bb.679:                              ;   in Loop: Header=BB4_126 Depth=2
	s_or_b64 exec, exec, s[20:21]
	v_lshrrev_b64 v[4:5], 20, v[18:19]
	v_cmp_gt_i32_e32 vcc, 16, v0
	v_cndmask_b32_e32 v5, 0, v5, vcc
	v_cndmask_b32_e32 v4, 7, v4, vcc
	v_cmp_eq_u32_e32 vcc, 0, v0
	v_min_i32_e32 v0, 15, v0
	v_cmp_eq_u64_e64 s[20:21], 0, v[4:5]
	v_lshlrev_b32_e32 v0, 3, v0
	v_and_b32_e32 v0, 0xf8, v0
	v_and_or_b32 v0, v4, 7, v0
	s_and_b64 s[20:21], vcc, s[20:21]
	v_cndmask_b32_e64 v0, v0, 0, s[20:21]
	v_or_b32_e32 v0, v0, v1
.LBB4_680:                              ;   in Loop: Header=BB4_126 Depth=2
	s_or_b64 exec, exec, s[90:91]
                                        ; implicit-def: $vgpr1
.LBB4_681:                              ;   in Loop: Header=BB4_126 Depth=2
	s_andn2_saveexec_b64 s[20:21], s[88:89]
; %bb.682:                              ;   in Loop: Header=BB4_126 Depth=2
	v_or_b32_e32 v0, 0x7e, v1
; %bb.683:                              ;   in Loop: Header=BB4_126 Depth=2
	s_or_b64 exec, exec, s[20:21]
                                        ; implicit-def: $vgpr4
.LBB4_684:                              ;   in Loop: Header=BB4_126 Depth=2
	s_andn2_saveexec_b64 s[20:21], s[78:79]
; %bb.685:                              ;   in Loop: Header=BB4_126 Depth=2
	v_or_b32_sdwa v0, v4, s53 dst_sel:DWORD dst_unused:UNUSED_PAD src0_sel:BYTE_3 src1_sel:DWORD
; %bb.686:                              ;   in Loop: Header=BB4_126 Depth=2
	s_or_b64 exec, exec, s[20:21]
	v_mov_b32_e32 v52, v15
	v_cmp_ne_u16_sdwa s[78:79], v15, v53 src0_sel:BYTE_0 src1_sel:DWORD
	v_mov_b32_e32 v4, 0
	v_mov_b32_e32 v1, 0
	s_and_saveexec_b64 s[20:21], s[78:79]
	s_cbranch_execz .LBB4_692
; %bb.687:                              ;   in Loop: Header=BB4_126 Depth=2
	v_cmp_ne_u16_sdwa s[88:89], v15, s52 src0_sel:BYTE_0 src1_sel:DWORD
	v_bfrev_b32_e32 v1, 1
	s_and_saveexec_b64 s[78:79], s[88:89]
	s_cbranch_execz .LBB4_691
; %bb.688:                              ;   in Loop: Header=BB4_126 Depth=2
	v_and_b32_e32 v5, 0x7f, v15
	v_cmp_ne_u32_e32 vcc, s53, v5
	v_mov_b32_e32 v1, 0x7f800001
	s_and_saveexec_b64 s[88:89], vcc
	s_cbranch_execz .LBB4_690
; %bb.689:                              ;   in Loop: Header=BB4_126 Depth=2
	v_and_b32_e32 v1, 7, v15
	v_ffbh_u32_e32 v1, v1
	v_min_u32_e32 v1, 32, v1
	v_lshrrev_b32_e32 v18, 3, v5
	v_cmp_gt_u32_e32 vcc, 8, v5
	v_subrev_u32_e32 v5, 28, v1
	v_sub_u32_e32 v1, 29, v1
	v_cndmask_b32_e32 v5, 0, v5, vcc
	v_cndmask_b32_e32 v1, v18, v1, vcc
	v_lshlrev_b64 v[18:19], v5, v[52:53]
	v_lshl_add_u32 v1, v1, 23, v50
	v_lshlrev_b32_e32 v5, 20, v18
	v_lshlrev_b32_e32 v18, 24, v52
	v_and_b32_e32 v5, 0x700000, v5
	v_and_b32_e32 v18, 0x80000000, v18
	v_or3_b32 v1, v18, v1, v5
.LBB4_690:                              ;   in Loop: Header=BB4_126 Depth=2
	s_or_b64 exec, exec, s[88:89]
.LBB4_691:                              ;   in Loop: Header=BB4_126 Depth=2
	s_or_b64 exec, exec, s[78:79]
.LBB4_692:                              ;   in Loop: Header=BB4_126 Depth=2
	s_or_b64 exec, exec, s[20:21]
	v_cmp_ne_u16_sdwa s[78:79], v11, v53 src0_sel:BYTE_0 src1_sel:DWORD
	s_and_saveexec_b64 s[20:21], s[78:79]
	s_cbranch_execz .LBB4_698
; %bb.693:                              ;   in Loop: Header=BB4_126 Depth=2
	v_cmp_ne_u16_sdwa s[88:89], v11, s52 src0_sel:BYTE_0 src1_sel:DWORD
	v_bfrev_b32_e32 v4, 1
	s_and_saveexec_b64 s[78:79], s[88:89]
	s_cbranch_execz .LBB4_697
; %bb.694:                              ;   in Loop: Header=BB4_126 Depth=2
	v_and_b32_e32 v5, 0x7f, v11
	v_cmp_ne_u32_e32 vcc, s53, v5
	v_mov_b32_e32 v4, 0x7f800001
	s_and_saveexec_b64 s[88:89], vcc
	s_cbranch_execz .LBB4_696
; %bb.695:                              ;   in Loop: Header=BB4_126 Depth=2
	v_and_b32_e32 v4, 7, v11
	v_ffbh_u32_e32 v4, v4
	v_min_u32_e32 v4, 32, v4
	v_lshrrev_b32_e32 v20, 3, v5
	v_cmp_gt_u32_e32 vcc, 8, v5
	v_subrev_u32_e32 v5, 28, v4
	v_sub_u32_e32 v4, 29, v4
	v_mov_b32_e32 v18, v11
	v_mov_b32_e32 v19, v53
	v_cndmask_b32_e32 v20, v20, v4, vcc
	v_cndmask_b32_e32 v4, 0, v5, vcc
	v_lshlrev_b64 v[4:5], v4, v[18:19]
	v_lshlrev_b32_e32 v5, 24, v18
	v_lshlrev_b32_e32 v4, 20, v4
	v_and_b32_e32 v4, 0x700000, v4
	v_and_b32_e32 v5, 0x80000000, v5
	v_lshl_add_u32 v18, v20, 23, v50
	v_or3_b32 v4, v5, v18, v4
.LBB4_696:                              ;   in Loop: Header=BB4_126 Depth=2
	s_or_b64 exec, exec, s[88:89]
.LBB4_697:                              ;   in Loop: Header=BB4_126 Depth=2
	s_or_b64 exec, exec, s[78:79]
.LBB4_698:                              ;   in Loop: Header=BB4_126 Depth=2
	s_or_b64 exec, exec, s[20:21]
	v_add_f32_e32 v4, v1, v4
	v_and_b32_e32 v18, 0x7f800000, v4
	v_mov_b32_e32 v19, v53
	v_cmp_ne_u64_e32 vcc, s[56:57], v[18:19]
                                        ; implicit-def: $vgpr31
	s_and_saveexec_b64 s[20:21], vcc
	s_xor_b64 s[78:79], exec, s[20:21]
	s_cbranch_execz .LBB4_712
; %bb.699:                              ;   in Loop: Header=BB4_126 Depth=2
	v_and_b32_e32 v18, 0x7fffffff, v4
	v_mov_b32_e32 v19, v53
	v_cmp_gt_u64_e32 vcc, s[58:59], v[18:19]
	v_and_b32_sdwa v1, v4, s52 dst_sel:DWORD dst_unused:UNUSED_PAD src0_sel:BYTE_3 src1_sel:DWORD
                                        ; implicit-def: $vgpr31
	s_and_saveexec_b64 s[20:21], vcc
	s_xor_b64 s[88:89], exec, s[20:21]
	s_cbranch_execz .LBB4_709
; %bb.700:                              ;   in Loop: Header=BB4_126 Depth=2
	v_mov_b32_e32 v31, 0
	v_cmp_ne_u32_e32 vcc, 0, v4
	s_and_saveexec_b64 s[90:91], vcc
	s_cbranch_execz .LBB4_708
; %bb.701:                              ;   in Loop: Header=BB4_126 Depth=2
	v_and_b32_e32 v18, 0x7fffff, v4
	v_bfe_u32 v4, v4, 23, 8
	v_cmp_gt_u32_e64 s[20:21], s54, v4
	v_sub_u32_e32 v5, 0x79, v4
	v_cmp_eq_u32_e32 vcc, 0, v4
	v_cndmask_b32_e64 v5, 0, v5, s[20:21]
	v_mov_b32_e32 v20, 0x78
	v_cndmask_b32_e32 v5, v5, v20, vcc
	v_add_u32_e32 v20, 20, v5
	v_or_b32_e32 v19, 0x800000, v18
	v_lshlrev_b64 v[48:49], v20, -1
	v_cndmask_b32_e32 v18, v19, v18, vcc
	v_mov_b32_e32 v19, v53
	v_add_u32_e32 v20, 19, v5
	v_mov_b32_e32 v26, v40
	v_bfi_b32 v48, v48, 0, v18
	v_lshlrev_b64 v[40:41], v20, 1
	v_lshrrev_b64 v[18:19], v5, v[18:19]
	v_bfi_b32 v49, v49, 0, 0
	v_cmp_eq_u64_e64 s[20:21], v[48:49], v[40:41]
	v_mov_b32_e32 v20, v19
	v_mov_b32_e32 v19, v18
	s_and_saveexec_b64 s[92:93], s[20:21]
; %bb.702:                              ;   in Loop: Header=BB4_126 Depth=2
	v_bfe_u32 v19, v18, 20, 1
	v_add_co_u32_e64 v19, s[20:21], v18, v19
	v_add_co_u32_e64 v19, s[20:21], -1, v19
; %bb.703:                              ;   in Loop: Header=BB4_126 Depth=2
	s_or_b64 exec, exec, s[92:93]
	v_add_u32_e32 v4, 0xffffff81, v4
	v_mov_b32_e32 v20, 0xffffff82
	v_cndmask_b32_e32 v4, v4, v20, vcc
	v_lshrrev_b32_e32 v20, 23, v18
	v_add3_u32 v20, v5, v4, v20
	v_add_u32_e32 v5, 6, v20
	v_and_b32_e32 v4, 0xfffff, v19
	v_add_u32_e32 v18, v4, v18
	v_mov_b32_e32 v19, v53
	v_cmp_ne_u32_e32 vcc, 0, v5
                                        ; implicit-def: $vgpr4
	s_and_saveexec_b64 s[20:21], vcc
	s_xor_b64 s[20:21], exec, s[20:21]
; %bb.704:                              ;   in Loop: Header=BB4_126 Depth=2
	v_cmp_lt_u64_e32 vcc, s[60:61], v[18:19]
	v_add_u32_e32 v4, 7, v20
	v_cndmask_b32_e32 v4, v5, v4, vcc
	v_cndmask_b32_e64 v5, 0, 1, vcc
	v_lshrrev_b64 v[18:19], v5, v[18:19]
; %bb.705:                              ;   in Loop: Header=BB4_126 Depth=2
	s_or_saveexec_b64 s[20:21], s[20:21]
	v_mov_b32_e32 v40, v26
	s_xor_b64 exec, exec, s[20:21]
; %bb.706:                              ;   in Loop: Header=BB4_126 Depth=2
	v_bfe_u32 v4, v18, 23, 1
; %bb.707:                              ;   in Loop: Header=BB4_126 Depth=2
	s_or_b64 exec, exec, s[20:21]
	v_lshrrev_b64 v[18:19], 20, v[18:19]
	v_cmp_gt_i32_e32 vcc, 16, v4
	v_cndmask_b32_e32 v19, 0, v19, vcc
	v_cndmask_b32_e32 v18, 7, v18, vcc
	v_cmp_eq_u32_e32 vcc, 0, v4
	v_min_i32_e32 v4, 15, v4
	v_cmp_eq_u64_e64 s[20:21], 0, v[18:19]
	v_lshlrev_b32_e32 v4, 3, v4
	v_and_b32_e32 v4, 0xf8, v4
	v_and_or_b32 v4, v18, 7, v4
	s_and_b64 s[20:21], vcc, s[20:21]
	v_cndmask_b32_e64 v4, v4, 0, s[20:21]
	v_or_b32_e32 v31, v4, v1
.LBB4_708:                              ;   in Loop: Header=BB4_126 Depth=2
	s_or_b64 exec, exec, s[90:91]
                                        ; implicit-def: $vgpr1
.LBB4_709:                              ;   in Loop: Header=BB4_126 Depth=2
	s_andn2_saveexec_b64 s[20:21], s[88:89]
; %bb.710:                              ;   in Loop: Header=BB4_126 Depth=2
	v_or_b32_e32 v31, 0x7e, v1
; %bb.711:                              ;   in Loop: Header=BB4_126 Depth=2
	s_or_b64 exec, exec, s[20:21]
                                        ; implicit-def: $vgpr4
.LBB4_712:                              ;   in Loop: Header=BB4_126 Depth=2
	s_andn2_saveexec_b64 s[20:21], s[78:79]
; %bb.713:                              ;   in Loop: Header=BB4_126 Depth=2
	v_or_b32_sdwa v31, v4, s53 dst_sel:DWORD dst_unused:UNUSED_PAD src0_sel:BYTE_3 src1_sel:DWORD
; %bb.714:                              ;   in Loop: Header=BB4_126 Depth=2
	s_or_b64 exec, exec, s[20:21]
	v_lshrrev_b16_e32 v18, 8, v52
	v_cmp_ne_u16_e32 vcc, 0, v18
	v_mov_b32_e32 v1, 0
	v_mov_b32_e32 v4, 0
	s_and_saveexec_b64 s[20:21], vcc
	s_cbranch_execz .LBB4_720
; %bb.715:                              ;   in Loop: Header=BB4_126 Depth=2
	v_cmp_ne_u16_e32 vcc, s52, v18
	v_bfrev_b32_e32 v4, 1
	s_and_saveexec_b64 s[78:79], vcc
	s_cbranch_execz .LBB4_719
; %bb.716:                              ;   in Loop: Header=BB4_126 Depth=2
	v_and_b32_e32 v5, 0x7f, v18
	v_cmp_ne_u32_e32 vcc, s53, v5
	v_mov_b32_e32 v4, 0x7f800001
	s_and_saveexec_b64 s[88:89], vcc
	s_cbranch_execz .LBB4_718
; %bb.717:                              ;   in Loop: Header=BB4_126 Depth=2
	v_and_b32_e32 v19, 7, v18
	v_ffbh_u32_e32 v4, v19
	v_min_u32_e32 v26, 32, v4
	v_subrev_u32_e32 v4, 28, v26
	v_lshrrev_b32_e32 v20, 3, v5
	v_cmp_gt_u32_e32 vcc, 8, v5
	v_lshlrev_b64 v[4:5], v4, v[18:19]
	v_sub_u32_e32 v5, 29, v26
	v_and_b32_e32 v4, 7, v4
	v_cndmask_b32_e32 v5, v20, v5, vcc
	v_cndmask_b32_e32 v4, v19, v4, vcc
	v_lshlrev_b32_e32 v18, 16, v52
	v_lshlrev_b32_e32 v4, 20, v4
	v_and_b32_e32 v18, 0x80000000, v18
	v_lshl_add_u32 v5, v5, 23, v50
	v_or3_b32 v4, v18, v5, v4
.LBB4_718:                              ;   in Loop: Header=BB4_126 Depth=2
	s_or_b64 exec, exec, s[88:89]
.LBB4_719:                              ;   in Loop: Header=BB4_126 Depth=2
	s_or_b64 exec, exec, s[78:79]
.LBB4_720:                              ;   in Loop: Header=BB4_126 Depth=2
	s_or_b64 exec, exec, s[20:21]
	v_lshrrev_b16_e32 v18, 8, v11
	v_cmp_ne_u16_e32 vcc, 0, v18
	s_and_saveexec_b64 s[20:21], vcc
	s_cbranch_execz .LBB4_726
; %bb.721:                              ;   in Loop: Header=BB4_126 Depth=2
	v_cmp_ne_u16_e32 vcc, s52, v18
	v_bfrev_b32_e32 v1, 1
	s_and_saveexec_b64 s[78:79], vcc
	s_cbranch_execz .LBB4_725
; %bb.722:                              ;   in Loop: Header=BB4_126 Depth=2
	v_and_b32_e32 v5, 0x7f, v18
	v_cmp_ne_u32_e32 vcc, s53, v5
	v_mov_b32_e32 v1, 0x7f800001
	s_and_saveexec_b64 s[88:89], vcc
	s_cbranch_execz .LBB4_724
; %bb.723:                              ;   in Loop: Header=BB4_126 Depth=2
	v_and_b32_e32 v1, 7, v18
	v_lshrrev_b32_e32 v20, 3, v5
	v_cmp_gt_u32_e32 vcc, 8, v5
	v_ffbh_u32_e32 v5, v1
	v_min_u32_e32 v5, 32, v5
	v_subrev_u32_e32 v19, 28, v5
	v_lshlrev_b64 v[18:19], v19, v[18:19]
	v_sub_u32_e32 v5, 29, v5
	v_and_b32_e32 v18, 7, v18
	v_cndmask_b32_e32 v5, v20, v5, vcc
	v_cndmask_b32_e32 v1, v1, v18, vcc
	v_lshlrev_b32_e32 v18, 16, v11
	v_lshlrev_b32_e32 v1, 20, v1
	v_and_b32_e32 v18, 0x80000000, v18
	v_lshl_add_u32 v5, v5, 23, v50
	v_or3_b32 v1, v18, v5, v1
.LBB4_724:                              ;   in Loop: Header=BB4_126 Depth=2
	s_or_b64 exec, exec, s[88:89]
.LBB4_725:                              ;   in Loop: Header=BB4_126 Depth=2
	s_or_b64 exec, exec, s[78:79]
.LBB4_726:                              ;   in Loop: Header=BB4_126 Depth=2
	s_or_b64 exec, exec, s[20:21]
	v_add_f32_e32 v4, v4, v1
	v_and_b32_e32 v52, 0x7f800000, v4
	v_cmp_ne_u64_e32 vcc, s[56:57], v[52:53]
                                        ; implicit-def: $vgpr41
	s_and_saveexec_b64 s[20:21], vcc
	s_xor_b64 s[78:79], exec, s[20:21]
	s_cbranch_execz .LBB4_740
; %bb.727:                              ;   in Loop: Header=BB4_126 Depth=2
	v_and_b32_e32 v52, 0x7fffffff, v4
	v_cmp_gt_u64_e32 vcc, s[58:59], v[52:53]
	v_and_b32_sdwa v1, v4, s52 dst_sel:DWORD dst_unused:UNUSED_PAD src0_sel:BYTE_3 src1_sel:DWORD
                                        ; implicit-def: $vgpr41
	s_and_saveexec_b64 s[20:21], vcc
	s_xor_b64 s[88:89], exec, s[20:21]
	s_cbranch_execz .LBB4_737
; %bb.728:                              ;   in Loop: Header=BB4_126 Depth=2
	v_mov_b32_e32 v41, 0
	v_cmp_ne_u32_e32 vcc, 0, v4
	s_and_saveexec_b64 s[90:91], vcc
	s_cbranch_execz .LBB4_736
; %bb.729:                              ;   in Loop: Header=BB4_126 Depth=2
	v_and_b32_e32 v18, 0x7fffff, v4
	v_bfe_u32 v4, v4, 23, 8
	v_cmp_gt_u32_e64 s[20:21], s54, v4
	v_sub_u32_e32 v5, 0x79, v4
	v_cmp_eq_u32_e32 vcc, 0, v4
	v_cndmask_b32_e64 v5, 0, v5, s[20:21]
	v_mov_b32_e32 v20, 0x78
	v_or_b32_e32 v19, 0x800000, v18
	v_cndmask_b32_e32 v5, v5, v20, vcc
	v_cndmask_b32_e32 v52, v19, v18, vcc
	v_add_u32_e32 v18, 20, v5
	v_lshlrev_b64 v[18:19], v18, -1
	v_add_u32_e32 v20, 19, v5
	v_lshlrev_b64 v[48:49], v20, 1
	v_bfi_b32 v19, v19, 0, 0
	v_bfi_b32 v18, v18, 0, v52
	v_cmp_eq_u64_e64 s[20:21], v[18:19], v[48:49]
	v_lshrrev_b64 v[18:19], v5, v[52:53]
	v_mov_b32_e32 v20, v19
	v_mov_b32_e32 v19, v18
	s_and_saveexec_b64 s[92:93], s[20:21]
; %bb.730:                              ;   in Loop: Header=BB4_126 Depth=2
	v_bfe_u32 v19, v18, 20, 1
	v_add_co_u32_e64 v19, s[20:21], v18, v19
	v_add_co_u32_e64 v19, s[20:21], -1, v19
; %bb.731:                              ;   in Loop: Header=BB4_126 Depth=2
	s_or_b64 exec, exec, s[92:93]
	v_add_u32_e32 v4, 0xffffff81, v4
	v_mov_b32_e32 v20, 0xffffff82
	v_cndmask_b32_e32 v4, v4, v20, vcc
	v_lshrrev_b32_e32 v20, 23, v18
	v_add3_u32 v20, v5, v4, v20
	v_add_u32_e32 v5, 6, v20
	v_and_b32_e32 v4, 0xfffff, v19
	v_add_u32_e32 v52, v4, v18
	v_cmp_ne_u32_e32 vcc, 0, v5
                                        ; implicit-def: $vgpr18_vgpr19
                                        ; implicit-def: $vgpr4
	s_and_saveexec_b64 s[20:21], vcc
	s_xor_b64 s[20:21], exec, s[20:21]
; %bb.732:                              ;   in Loop: Header=BB4_126 Depth=2
	v_cmp_lt_u64_e32 vcc, s[60:61], v[52:53]
	v_add_u32_e32 v4, 7, v20
	v_cndmask_b32_e32 v4, v5, v4, vcc
	v_cndmask_b32_e64 v5, 0, 1, vcc
	v_lshrrev_b64 v[18:19], v5, v[52:53]
; %bb.733:                              ;   in Loop: Header=BB4_126 Depth=2
	s_andn2_saveexec_b64 s[20:21], s[20:21]
; %bb.734:                              ;   in Loop: Header=BB4_126 Depth=2
	v_mov_b32_e32 v18, v52
	v_bfe_u32 v4, v52, 23, 1
	v_mov_b32_e32 v19, v53
; %bb.735:                              ;   in Loop: Header=BB4_126 Depth=2
	s_or_b64 exec, exec, s[20:21]
	v_lshrrev_b64 v[18:19], 20, v[18:19]
	v_cmp_gt_i32_e32 vcc, 16, v4
	v_cndmask_b32_e32 v19, 0, v19, vcc
	v_cndmask_b32_e32 v18, 7, v18, vcc
	v_cmp_eq_u32_e32 vcc, 0, v4
	v_min_i32_e32 v4, 15, v4
	v_cmp_eq_u64_e64 s[20:21], 0, v[18:19]
	v_lshlrev_b32_e32 v4, 3, v4
	v_and_b32_e32 v4, 0xf8, v4
	v_and_or_b32 v4, v18, 7, v4
	s_and_b64 s[20:21], vcc, s[20:21]
	v_cndmask_b32_e64 v4, v4, 0, s[20:21]
	v_or_b32_e32 v41, v4, v1
.LBB4_736:                              ;   in Loop: Header=BB4_126 Depth=2
	s_or_b64 exec, exec, s[90:91]
                                        ; implicit-def: $vgpr1
.LBB4_737:                              ;   in Loop: Header=BB4_126 Depth=2
	s_andn2_saveexec_b64 s[20:21], s[88:89]
; %bb.738:                              ;   in Loop: Header=BB4_126 Depth=2
	v_or_b32_e32 v41, 0x7e, v1
; %bb.739:                              ;   in Loop: Header=BB4_126 Depth=2
	s_or_b64 exec, exec, s[20:21]
                                        ; implicit-def: $vgpr4
.LBB4_740:                              ;   in Loop: Header=BB4_126 Depth=2
	s_andn2_saveexec_b64 s[20:21], s[78:79]
; %bb.741:                              ;   in Loop: Header=BB4_126 Depth=2
	v_or_b32_sdwa v41, v4, s53 dst_sel:DWORD dst_unused:UNUSED_PAD src0_sel:BYTE_3 src1_sel:DWORD
; %bb.742:                              ;   in Loop: Header=BB4_126 Depth=2
	s_or_b64 exec, exec, s[20:21]
	v_lshrrev_b32_e32 v18, 16, v15
	v_cmp_ne_u16_sdwa s[78:79], v18, v53 src0_sel:BYTE_0 src1_sel:DWORD
	v_mov_b32_e32 v1, 0
	v_mov_b32_e32 v4, 0
	s_and_saveexec_b64 s[20:21], s[78:79]
	s_cbranch_execz .LBB4_748
; %bb.743:                              ;   in Loop: Header=BB4_126 Depth=2
	v_cmp_ne_u16_sdwa s[88:89], v18, s52 src0_sel:BYTE_0 src1_sel:DWORD
	v_bfrev_b32_e32 v4, 1
	s_and_saveexec_b64 s[78:79], s[88:89]
	s_cbranch_execz .LBB4_747
; %bb.744:                              ;   in Loop: Header=BB4_126 Depth=2
	v_bfe_u32 v5, v15, 16, 7
	v_cmp_ne_u32_e32 vcc, s53, v5
	v_mov_b32_e32 v4, 0x7f800001
	s_and_saveexec_b64 s[88:89], vcc
	s_cbranch_execz .LBB4_746
; %bb.745:                              ;   in Loop: Header=BB4_126 Depth=2
	v_and_b32_e32 v19, 7, v18
	v_ffbh_u32_e32 v4, v19
	v_min_u32_e32 v26, 32, v4
	v_subrev_u32_e32 v4, 28, v26
	v_lshrrev_b32_e32 v20, 3, v5
	v_cmp_gt_u32_e32 vcc, 8, v5
	v_lshlrev_b64 v[4:5], v4, v[18:19]
	v_sub_u32_e32 v5, 29, v26
	v_and_b32_e32 v4, 7, v4
	v_cndmask_b32_e32 v5, v20, v5, vcc
	v_cndmask_b32_e32 v4, v19, v4, vcc
	v_lshlrev_b32_e32 v18, 24, v18
	v_lshlrev_b32_e32 v4, 20, v4
	v_and_b32_e32 v18, 0x80000000, v18
	v_lshl_add_u32 v5, v5, 23, v50
	v_or3_b32 v4, v18, v5, v4
.LBB4_746:                              ;   in Loop: Header=BB4_126 Depth=2
	s_or_b64 exec, exec, s[88:89]
.LBB4_747:                              ;   in Loop: Header=BB4_126 Depth=2
	s_or_b64 exec, exec, s[78:79]
.LBB4_748:                              ;   in Loop: Header=BB4_126 Depth=2
	s_or_b64 exec, exec, s[20:21]
	v_lshrrev_b32_e32 v18, 16, v11
	v_cmp_ne_u16_sdwa s[78:79], v18, v53 src0_sel:BYTE_0 src1_sel:DWORD
	s_and_saveexec_b64 s[20:21], s[78:79]
	s_cbranch_execz .LBB4_754
; %bb.749:                              ;   in Loop: Header=BB4_126 Depth=2
	v_cmp_ne_u16_sdwa s[88:89], v18, s52 src0_sel:BYTE_0 src1_sel:DWORD
	v_bfrev_b32_e32 v1, 1
	s_and_saveexec_b64 s[78:79], s[88:89]
	s_cbranch_execz .LBB4_753
; %bb.750:                              ;   in Loop: Header=BB4_126 Depth=2
	v_bfe_u32 v5, v11, 16, 7
	v_cmp_ne_u32_e32 vcc, s53, v5
	v_mov_b32_e32 v1, 0x7f800001
	s_and_saveexec_b64 s[88:89], vcc
	s_cbranch_execz .LBB4_752
; %bb.751:                              ;   in Loop: Header=BB4_126 Depth=2
	v_and_b32_e32 v1, 7, v18
	v_lshrrev_b32_e32 v20, 3, v5
	v_cmp_gt_u32_e32 vcc, 8, v5
	v_ffbh_u32_e32 v5, v1
	v_min_u32_e32 v5, 32, v5
	v_subrev_u32_e32 v19, 28, v5
	v_lshlrev_b64 v[18:19], v19, v[18:19]
	v_sub_u32_e32 v5, 29, v5
	v_and_b32_e32 v18, 7, v18
	v_cndmask_b32_e32 v5, v20, v5, vcc
	v_cndmask_b32_e32 v1, v1, v18, vcc
	v_lshlrev_b32_e32 v18, 8, v11
	v_lshlrev_b32_e32 v1, 20, v1
	v_and_b32_e32 v18, 0x80000000, v18
	v_lshl_add_u32 v5, v5, 23, v50
	v_or3_b32 v1, v18, v5, v1
.LBB4_752:                              ;   in Loop: Header=BB4_126 Depth=2
	s_or_b64 exec, exec, s[88:89]
.LBB4_753:                              ;   in Loop: Header=BB4_126 Depth=2
	s_or_b64 exec, exec, s[78:79]
.LBB4_754:                              ;   in Loop: Header=BB4_126 Depth=2
	s_or_b64 exec, exec, s[20:21]
	v_add_f32_e32 v4, v4, v1
	v_and_b32_e32 v52, 0x7f800000, v4
	v_cmp_ne_u64_e32 vcc, s[56:57], v[52:53]
                                        ; implicit-def: $vgpr18
	s_and_saveexec_b64 s[20:21], vcc
	s_xor_b64 s[78:79], exec, s[20:21]
	s_cbranch_execz .LBB4_768
; %bb.755:                              ;   in Loop: Header=BB4_126 Depth=2
	v_and_b32_e32 v52, 0x7fffffff, v4
	v_cmp_gt_u64_e32 vcc, s[58:59], v[52:53]
	v_and_b32_sdwa v1, v4, s52 dst_sel:DWORD dst_unused:UNUSED_PAD src0_sel:BYTE_3 src1_sel:DWORD
                                        ; implicit-def: $vgpr18
	s_and_saveexec_b64 s[20:21], vcc
	s_xor_b64 s[88:89], exec, s[20:21]
	s_cbranch_execz .LBB4_765
; %bb.756:                              ;   in Loop: Header=BB4_126 Depth=2
	v_mov_b32_e32 v18, 0
	v_cmp_ne_u32_e32 vcc, 0, v4
	s_and_saveexec_b64 s[90:91], vcc
	s_cbranch_execz .LBB4_764
; %bb.757:                              ;   in Loop: Header=BB4_126 Depth=2
	v_and_b32_e32 v18, 0x7fffff, v4
	v_bfe_u32 v4, v4, 23, 8
	v_cmp_gt_u32_e64 s[20:21], s54, v4
	v_sub_u32_e32 v5, 0x79, v4
	v_cmp_eq_u32_e32 vcc, 0, v4
	v_cndmask_b32_e64 v5, 0, v5, s[20:21]
	v_mov_b32_e32 v20, 0x78
	v_or_b32_e32 v19, 0x800000, v18
	v_cndmask_b32_e32 v5, v5, v20, vcc
	v_cndmask_b32_e32 v52, v19, v18, vcc
	v_add_u32_e32 v18, 20, v5
	v_lshlrev_b64 v[18:19], v18, -1
	v_add_u32_e32 v20, 19, v5
	v_lshlrev_b64 v[48:49], v20, 1
	v_bfi_b32 v19, v19, 0, 0
	v_bfi_b32 v18, v18, 0, v52
	v_cmp_eq_u64_e64 s[20:21], v[18:19], v[48:49]
	v_lshrrev_b64 v[18:19], v5, v[52:53]
	v_mov_b32_e32 v20, v19
	v_mov_b32_e32 v19, v18
	s_and_saveexec_b64 s[92:93], s[20:21]
; %bb.758:                              ;   in Loop: Header=BB4_126 Depth=2
	v_bfe_u32 v19, v18, 20, 1
	v_add_co_u32_e64 v19, s[20:21], v18, v19
	v_add_co_u32_e64 v19, s[20:21], -1, v19
; %bb.759:                              ;   in Loop: Header=BB4_126 Depth=2
	s_or_b64 exec, exec, s[92:93]
	v_add_u32_e32 v4, 0xffffff81, v4
	v_mov_b32_e32 v20, 0xffffff82
	v_cndmask_b32_e32 v4, v4, v20, vcc
	v_lshrrev_b32_e32 v20, 23, v18
	v_add3_u32 v20, v5, v4, v20
	v_add_u32_e32 v5, 6, v20
	v_and_b32_e32 v4, 0xfffff, v19
	v_add_u32_e32 v52, v4, v18
	v_cmp_ne_u32_e32 vcc, 0, v5
                                        ; implicit-def: $vgpr18_vgpr19
                                        ; implicit-def: $vgpr4
	s_and_saveexec_b64 s[20:21], vcc
	s_xor_b64 s[20:21], exec, s[20:21]
; %bb.760:                              ;   in Loop: Header=BB4_126 Depth=2
	v_cmp_lt_u64_e32 vcc, s[60:61], v[52:53]
	v_add_u32_e32 v4, 7, v20
	v_cndmask_b32_e32 v4, v5, v4, vcc
	v_cndmask_b32_e64 v5, 0, 1, vcc
	v_lshrrev_b64 v[18:19], v5, v[52:53]
; %bb.761:                              ;   in Loop: Header=BB4_126 Depth=2
	s_andn2_saveexec_b64 s[20:21], s[20:21]
; %bb.762:                              ;   in Loop: Header=BB4_126 Depth=2
	v_mov_b32_e32 v18, v52
	v_bfe_u32 v4, v52, 23, 1
	v_mov_b32_e32 v19, v53
; %bb.763:                              ;   in Loop: Header=BB4_126 Depth=2
	s_or_b64 exec, exec, s[20:21]
	v_lshrrev_b64 v[18:19], 20, v[18:19]
	v_cmp_gt_i32_e32 vcc, 16, v4
	v_cndmask_b32_e32 v19, 0, v19, vcc
	v_cndmask_b32_e32 v18, 7, v18, vcc
	v_cmp_eq_u32_e32 vcc, 0, v4
	v_min_i32_e32 v4, 15, v4
	v_cmp_eq_u64_e64 s[20:21], 0, v[18:19]
	v_lshlrev_b32_e32 v4, 3, v4
	v_and_b32_e32 v4, 0xf8, v4
	v_and_or_b32 v4, v18, 7, v4
	s_and_b64 s[20:21], vcc, s[20:21]
	v_cndmask_b32_e64 v4, v4, 0, s[20:21]
	v_or_b32_e32 v18, v4, v1
.LBB4_764:                              ;   in Loop: Header=BB4_126 Depth=2
	s_or_b64 exec, exec, s[90:91]
                                        ; implicit-def: $vgpr1
.LBB4_765:                              ;   in Loop: Header=BB4_126 Depth=2
	s_andn2_saveexec_b64 s[20:21], s[88:89]
; %bb.766:                              ;   in Loop: Header=BB4_126 Depth=2
	v_or_b32_e32 v18, 0x7e, v1
; %bb.767:                              ;   in Loop: Header=BB4_126 Depth=2
	s_or_b64 exec, exec, s[20:21]
                                        ; implicit-def: $vgpr4
.LBB4_768:                              ;   in Loop: Header=BB4_126 Depth=2
	s_andn2_saveexec_b64 s[20:21], s[78:79]
; %bb.769:                              ;   in Loop: Header=BB4_126 Depth=2
	v_or_b32_sdwa v18, v4, s53 dst_sel:DWORD dst_unused:UNUSED_PAD src0_sel:BYTE_3 src1_sel:DWORD
; %bb.770:                              ;   in Loop: Header=BB4_126 Depth=2
	s_or_b64 exec, exec, s[20:21]
	v_cmp_lt_u64_e32 vcc, s[62:63], v[14:15]
	v_mov_b32_e32 v1, 0
	v_mov_b32_e32 v4, 0
	s_and_saveexec_b64 s[20:21], vcc
	s_cbranch_execz .LBB4_776
; %bb.771:                              ;   in Loop: Header=BB4_126 Depth=2
	v_lshrrev_b32_e32 v14, 24, v15
	v_cmp_ne_u32_e32 vcc, s52, v14
	v_bfrev_b32_e32 v4, 1
	s_and_saveexec_b64 s[78:79], vcc
	s_cbranch_execz .LBB4_775
; %bb.772:                              ;   in Loop: Header=BB4_126 Depth=2
	v_bfe_u32 v5, v15, 24, 7
	v_cmp_ne_u32_e32 vcc, s53, v5
	v_mov_b32_e32 v4, 0x7f800001
	s_and_saveexec_b64 s[88:89], vcc
	s_cbranch_execz .LBB4_774
; %bb.773:                              ;   in Loop: Header=BB4_126 Depth=2
	v_and_b32_e32 v15, 7, v14
	v_ffbh_u32_e32 v4, v15
	v_min_u32_e32 v20, 32, v4
	v_subrev_u32_e32 v4, 28, v20
	v_lshrrev_b32_e32 v19, 3, v5
	v_cmp_gt_u32_e32 vcc, 8, v5
	v_lshlrev_b64 v[4:5], v4, v[14:15]
	v_sub_u32_e32 v5, 29, v20
	v_and_b32_e32 v4, 7, v4
	v_cndmask_b32_e32 v5, v19, v5, vcc
	v_cndmask_b32_e32 v4, v15, v4, vcc
	v_lshlrev_b32_e32 v14, 24, v14
	v_lshlrev_b32_e32 v4, 20, v4
	v_and_b32_e32 v14, 0x80000000, v14
	v_lshl_add_u32 v5, v5, 23, v50
	v_or3_b32 v4, v14, v5, v4
.LBB4_774:                              ;   in Loop: Header=BB4_126 Depth=2
	s_or_b64 exec, exec, s[88:89]
.LBB4_775:                              ;   in Loop: Header=BB4_126 Depth=2
	s_or_b64 exec, exec, s[78:79]
.LBB4_776:                              ;   in Loop: Header=BB4_126 Depth=2
	s_or_b64 exec, exec, s[20:21]
	v_cmp_lt_u64_e32 vcc, s[62:63], v[10:11]
	s_and_saveexec_b64 s[20:21], vcc
	s_cbranch_execz .LBB4_782
; %bb.777:                              ;   in Loop: Header=BB4_126 Depth=2
	v_lshrrev_b32_e32 v10, 24, v11
	v_cmp_ne_u32_e32 vcc, s52, v10
	v_bfrev_b32_e32 v1, 1
	s_and_saveexec_b64 s[78:79], vcc
	s_cbranch_execz .LBB4_781
; %bb.778:                              ;   in Loop: Header=BB4_126 Depth=2
	v_bfe_u32 v5, v11, 24, 7
	v_cmp_ne_u32_e32 vcc, s53, v5
	v_mov_b32_e32 v1, 0x7f800001
	s_and_saveexec_b64 s[88:89], vcc
	s_cbranch_execz .LBB4_780
; %bb.779:                              ;   in Loop: Header=BB4_126 Depth=2
	v_and_b32_e32 v1, 7, v10
	v_lshrrev_b32_e32 v11, 3, v5
	v_cmp_gt_u32_e32 vcc, 8, v5
	v_ffbh_u32_e32 v5, v1
	v_min_u32_e32 v5, 32, v5
	v_subrev_u32_e32 v14, 28, v5
	v_lshlrev_b64 v[14:15], v14, v[10:11]
	v_sub_u32_e32 v5, 29, v5
	v_and_b32_e32 v14, 7, v14
	v_cndmask_b32_e32 v5, v11, v5, vcc
	v_cndmask_b32_e32 v1, v1, v14, vcc
	v_lshlrev_b32_e32 v10, 24, v10
	v_lshlrev_b32_e32 v1, 20, v1
	v_and_b32_e32 v10, 0x80000000, v10
	v_lshl_add_u32 v5, v5, 23, v50
	v_or3_b32 v1, v10, v5, v1
.LBB4_780:                              ;   in Loop: Header=BB4_126 Depth=2
	s_or_b64 exec, exec, s[88:89]
.LBB4_781:                              ;   in Loop: Header=BB4_126 Depth=2
	s_or_b64 exec, exec, s[78:79]
.LBB4_782:                              ;   in Loop: Header=BB4_126 Depth=2
	s_or_b64 exec, exec, s[20:21]
	v_add_f32_e32 v4, v4, v1
	v_and_b32_e32 v52, 0x7f800000, v4
	v_cmp_ne_u64_e32 vcc, s[56:57], v[52:53]
                                        ; implicit-def: $vgpr19
	s_and_saveexec_b64 s[20:21], vcc
	s_xor_b64 s[78:79], exec, s[20:21]
	s_cbranch_execz .LBB4_796
; %bb.783:                              ;   in Loop: Header=BB4_126 Depth=2
	v_and_b32_e32 v52, 0x7fffffff, v4
	v_cmp_gt_u64_e32 vcc, s[58:59], v[52:53]
	v_and_b32_sdwa v1, v4, s52 dst_sel:DWORD dst_unused:UNUSED_PAD src0_sel:BYTE_3 src1_sel:DWORD
                                        ; implicit-def: $vgpr19
	s_and_saveexec_b64 s[20:21], vcc
	s_xor_b64 s[88:89], exec, s[20:21]
	s_cbranch_execz .LBB4_793
; %bb.784:                              ;   in Loop: Header=BB4_126 Depth=2
	v_mov_b32_e32 v19, 0
	v_cmp_ne_u32_e32 vcc, 0, v4
	s_and_saveexec_b64 s[90:91], vcc
	s_cbranch_execz .LBB4_792
; %bb.785:                              ;   in Loop: Header=BB4_126 Depth=2
	v_and_b32_e32 v10, 0x7fffff, v4
	v_bfe_u32 v4, v4, 23, 8
	v_cmp_gt_u32_e64 s[20:21], s54, v4
	v_sub_u32_e32 v5, 0x79, v4
	v_cmp_eq_u32_e32 vcc, 0, v4
	v_cndmask_b32_e64 v5, 0, v5, s[20:21]
	v_mov_b32_e32 v14, 0x78
	v_or_b32_e32 v11, 0x800000, v10
	v_cndmask_b32_e32 v5, v5, v14, vcc
	v_cndmask_b32_e32 v52, v11, v10, vcc
	v_add_u32_e32 v10, 20, v5
	v_lshlrev_b64 v[10:11], v10, -1
	v_add_u32_e32 v14, 19, v5
	v_lshlrev_b64 v[14:15], v14, 1
	v_bfi_b32 v11, v11, 0, 0
	v_bfi_b32 v10, v10, 0, v52
	v_cmp_eq_u64_e64 s[20:21], v[10:11], v[14:15]
	v_lshrrev_b64 v[10:11], v5, v[52:53]
	v_mov_b32_e32 v15, v11
	v_mov_b32_e32 v14, v10
	s_and_saveexec_b64 s[92:93], s[20:21]
; %bb.786:                              ;   in Loop: Header=BB4_126 Depth=2
	v_bfe_u32 v11, v10, 20, 1
	v_add_co_u32_e64 v11, s[20:21], v10, v11
	v_add_co_u32_e64 v14, s[20:21], -1, v11
; %bb.787:                              ;   in Loop: Header=BB4_126 Depth=2
	s_or_b64 exec, exec, s[92:93]
	v_add_u32_e32 v4, 0xffffff81, v4
	v_mov_b32_e32 v11, 0xffffff82
	v_cndmask_b32_e32 v4, v4, v11, vcc
	v_lshrrev_b32_e32 v11, 23, v10
	v_add3_u32 v15, v5, v4, v11
	v_add_u32_e32 v5, 6, v15
	v_and_b32_e32 v4, 0xfffff, v14
	v_add_u32_e32 v52, v4, v10
	v_cmp_ne_u32_e32 vcc, 0, v5
                                        ; implicit-def: $vgpr10_vgpr11
                                        ; implicit-def: $vgpr4
	s_and_saveexec_b64 s[20:21], vcc
	s_xor_b64 s[20:21], exec, s[20:21]
; %bb.788:                              ;   in Loop: Header=BB4_126 Depth=2
	v_cmp_lt_u64_e32 vcc, s[60:61], v[52:53]
	v_add_u32_e32 v4, 7, v15
	v_cndmask_b32_e32 v4, v5, v4, vcc
	v_cndmask_b32_e64 v5, 0, 1, vcc
	v_lshrrev_b64 v[10:11], v5, v[52:53]
; %bb.789:                              ;   in Loop: Header=BB4_126 Depth=2
	s_andn2_saveexec_b64 s[20:21], s[20:21]
; %bb.790:                              ;   in Loop: Header=BB4_126 Depth=2
	v_mov_b32_e32 v10, v52
	v_bfe_u32 v4, v52, 23, 1
	v_mov_b32_e32 v11, v53
; %bb.791:                              ;   in Loop: Header=BB4_126 Depth=2
	s_or_b64 exec, exec, s[20:21]
	v_lshrrev_b64 v[10:11], 20, v[10:11]
	v_cmp_gt_i32_e32 vcc, 16, v4
	v_cndmask_b32_e32 v11, 0, v11, vcc
	v_cndmask_b32_e32 v10, 7, v10, vcc
	v_cmp_eq_u32_e32 vcc, 0, v4
	v_min_i32_e32 v4, 15, v4
	v_cmp_eq_u64_e64 s[20:21], 0, v[10:11]
	v_lshlrev_b32_e32 v4, 3, v4
	v_and_b32_e32 v4, 0xf8, v4
	v_and_or_b32 v4, v10, 7, v4
	s_and_b64 s[20:21], vcc, s[20:21]
	v_cndmask_b32_e64 v4, v4, 0, s[20:21]
	v_or_b32_e32 v19, v4, v1
.LBB4_792:                              ;   in Loop: Header=BB4_126 Depth=2
	s_or_b64 exec, exec, s[90:91]
                                        ; implicit-def: $vgpr1
.LBB4_793:                              ;   in Loop: Header=BB4_126 Depth=2
	s_andn2_saveexec_b64 s[20:21], s[88:89]
; %bb.794:                              ;   in Loop: Header=BB4_126 Depth=2
	v_or_b32_e32 v19, 0x7e, v1
; %bb.795:                              ;   in Loop: Header=BB4_126 Depth=2
	s_or_b64 exec, exec, s[20:21]
                                        ; implicit-def: $vgpr4
.LBB4_796:                              ;   in Loop: Header=BB4_126 Depth=2
	s_andn2_saveexec_b64 s[20:21], s[78:79]
; %bb.797:                              ;   in Loop: Header=BB4_126 Depth=2
	v_or_b32_sdwa v19, v4, s53 dst_sel:DWORD dst_unused:UNUSED_PAD src0_sel:BYTE_3 src1_sel:DWORD
; %bb.798:                              ;   in Loop: Header=BB4_126 Depth=2
	s_or_b64 exec, exec, s[20:21]
	v_cmp_ne_u16_sdwa s[78:79], v16, v53 src0_sel:BYTE_0 src1_sel:DWORD
	v_mov_b32_e32 v1, 0
	v_mov_b32_e32 v4, 0
	s_and_saveexec_b64 s[20:21], s[78:79]
	s_cbranch_execz .LBB4_804
; %bb.799:                              ;   in Loop: Header=BB4_126 Depth=2
	v_cmp_ne_u16_sdwa s[88:89], v16, s52 src0_sel:BYTE_0 src1_sel:DWORD
	v_bfrev_b32_e32 v4, 1
	s_and_saveexec_b64 s[78:79], s[88:89]
	s_cbranch_execz .LBB4_803
; %bb.800:                              ;   in Loop: Header=BB4_126 Depth=2
	v_and_b32_e32 v5, 0x7f, v16
	v_cmp_ne_u32_e32 vcc, s53, v5
	v_mov_b32_e32 v4, 0x7f800001
	s_and_saveexec_b64 s[88:89], vcc
	s_cbranch_execz .LBB4_802
; %bb.801:                              ;   in Loop: Header=BB4_126 Depth=2
	v_and_b32_e32 v4, 7, v16
	v_ffbh_u32_e32 v4, v4
	v_min_u32_e32 v4, 32, v4
	v_lshrrev_b32_e32 v10, 3, v5
	v_cmp_gt_u32_e32 vcc, 8, v5
	v_subrev_u32_e32 v5, 28, v4
	v_sub_u32_e32 v4, 29, v4
	v_cndmask_b32_e32 v10, v10, v4, vcc
	v_cndmask_b32_e32 v4, 0, v5, vcc
	v_lshlrev_b64 v[4:5], v4, v[16:17]
	v_lshlrev_b32_e32 v5, 24, v16
	v_lshlrev_b32_e32 v4, 20, v4
	v_and_b32_e32 v4, 0x700000, v4
	v_and_b32_e32 v5, 0x80000000, v5
	v_lshl_add_u32 v10, v10, 23, v50
	v_or3_b32 v4, v5, v10, v4
.LBB4_802:                              ;   in Loop: Header=BB4_126 Depth=2
	s_or_b64 exec, exec, s[88:89]
.LBB4_803:                              ;   in Loop: Header=BB4_126 Depth=2
	s_or_b64 exec, exec, s[78:79]
.LBB4_804:                              ;   in Loop: Header=BB4_126 Depth=2
	s_or_b64 exec, exec, s[20:21]
	v_cmp_ne_u16_sdwa s[78:79], v12, v53 src0_sel:BYTE_0 src1_sel:DWORD
	s_and_saveexec_b64 s[20:21], s[78:79]
	s_cbranch_execz .LBB4_810
; %bb.805:                              ;   in Loop: Header=BB4_126 Depth=2
	v_cmp_ne_u16_sdwa s[88:89], v12, s52 src0_sel:BYTE_0 src1_sel:DWORD
	v_bfrev_b32_e32 v1, 1
	s_and_saveexec_b64 s[78:79], s[88:89]
	s_cbranch_execz .LBB4_809
; %bb.806:                              ;   in Loop: Header=BB4_126 Depth=2
	v_and_b32_e32 v5, 0x7f, v12
	v_cmp_ne_u32_e32 vcc, s53, v5
	v_mov_b32_e32 v1, 0x7f800001
	s_and_saveexec_b64 s[88:89], vcc
	s_cbranch_execz .LBB4_808
; %bb.807:                              ;   in Loop: Header=BB4_126 Depth=2
	v_and_b32_e32 v1, 7, v12
	v_ffbh_u32_e32 v1, v1
	v_min_u32_e32 v1, 32, v1
	v_lshrrev_b32_e32 v10, 3, v5
	v_cmp_gt_u32_e32 vcc, 8, v5
	v_subrev_u32_e32 v5, 28, v1
	v_sub_u32_e32 v1, 29, v1
	v_cndmask_b32_e32 v5, 0, v5, vcc
	v_cndmask_b32_e32 v1, v10, v1, vcc
	v_lshlrev_b64 v[10:11], v5, v[12:13]
	v_lshl_add_u32 v1, v1, 23, v50
	v_lshlrev_b32_e32 v5, 20, v10
	v_lshlrev_b32_e32 v10, 24, v12
	v_and_b32_e32 v5, 0x700000, v5
	v_and_b32_e32 v10, 0x80000000, v10
	v_or3_b32 v1, v10, v1, v5
.LBB4_808:                              ;   in Loop: Header=BB4_126 Depth=2
	s_or_b64 exec, exec, s[88:89]
.LBB4_809:                              ;   in Loop: Header=BB4_126 Depth=2
	s_or_b64 exec, exec, s[78:79]
.LBB4_810:                              ;   in Loop: Header=BB4_126 Depth=2
	s_or_b64 exec, exec, s[20:21]
	v_add_f32_e32 v4, v4, v1
	v_and_b32_e32 v52, 0x7f800000, v4
	v_cmp_ne_u64_e32 vcc, s[56:57], v[52:53]
                                        ; implicit-def: $vgpr20
	s_and_saveexec_b64 s[20:21], vcc
	s_xor_b64 s[78:79], exec, s[20:21]
	s_cbranch_execz .LBB4_824
; %bb.811:                              ;   in Loop: Header=BB4_126 Depth=2
	v_and_b32_e32 v52, 0x7fffffff, v4
	v_cmp_gt_u64_e32 vcc, s[58:59], v[52:53]
	v_and_b32_sdwa v1, v4, s52 dst_sel:DWORD dst_unused:UNUSED_PAD src0_sel:BYTE_3 src1_sel:DWORD
                                        ; implicit-def: $vgpr20
	s_and_saveexec_b64 s[20:21], vcc
	s_xor_b64 s[88:89], exec, s[20:21]
	s_cbranch_execz .LBB4_821
; %bb.812:                              ;   in Loop: Header=BB4_126 Depth=2
	v_mov_b32_e32 v20, 0
	v_cmp_ne_u32_e32 vcc, 0, v4
	s_and_saveexec_b64 s[90:91], vcc
	s_cbranch_execz .LBB4_820
; %bb.813:                              ;   in Loop: Header=BB4_126 Depth=2
	v_and_b32_e32 v10, 0x7fffff, v4
	v_bfe_u32 v4, v4, 23, 8
	v_cmp_gt_u32_e64 s[20:21], s54, v4
	v_sub_u32_e32 v5, 0x79, v4
	v_cmp_eq_u32_e32 vcc, 0, v4
	v_cndmask_b32_e64 v5, 0, v5, s[20:21]
	v_mov_b32_e32 v14, 0x78
	v_or_b32_e32 v11, 0x800000, v10
	v_cndmask_b32_e32 v5, v5, v14, vcc
	v_cndmask_b32_e32 v52, v11, v10, vcc
	v_add_u32_e32 v10, 20, v5
	v_lshlrev_b64 v[10:11], v10, -1
	v_add_u32_e32 v14, 19, v5
	v_lshlrev_b64 v[14:15], v14, 1
	v_bfi_b32 v11, v11, 0, 0
	v_bfi_b32 v10, v10, 0, v52
	v_cmp_eq_u64_e64 s[20:21], v[10:11], v[14:15]
	v_lshrrev_b64 v[10:11], v5, v[52:53]
	v_mov_b32_e32 v15, v11
	v_mov_b32_e32 v14, v10
	s_and_saveexec_b64 s[92:93], s[20:21]
; %bb.814:                              ;   in Loop: Header=BB4_126 Depth=2
	v_bfe_u32 v11, v10, 20, 1
	v_add_co_u32_e64 v11, s[20:21], v10, v11
	v_add_co_u32_e64 v14, s[20:21], -1, v11
; %bb.815:                              ;   in Loop: Header=BB4_126 Depth=2
	s_or_b64 exec, exec, s[92:93]
	v_add_u32_e32 v4, 0xffffff81, v4
	v_mov_b32_e32 v11, 0xffffff82
	v_cndmask_b32_e32 v4, v4, v11, vcc
	v_lshrrev_b32_e32 v11, 23, v10
	v_add3_u32 v15, v5, v4, v11
	v_add_u32_e32 v5, 6, v15
	v_and_b32_e32 v4, 0xfffff, v14
	v_add_u32_e32 v52, v4, v10
	v_cmp_ne_u32_e32 vcc, 0, v5
                                        ; implicit-def: $vgpr10_vgpr11
                                        ; implicit-def: $vgpr4
	s_and_saveexec_b64 s[20:21], vcc
	s_xor_b64 s[20:21], exec, s[20:21]
; %bb.816:                              ;   in Loop: Header=BB4_126 Depth=2
	v_cmp_lt_u64_e32 vcc, s[60:61], v[52:53]
	v_add_u32_e32 v4, 7, v15
	v_cndmask_b32_e32 v4, v5, v4, vcc
	v_cndmask_b32_e64 v5, 0, 1, vcc
	v_lshrrev_b64 v[10:11], v5, v[52:53]
; %bb.817:                              ;   in Loop: Header=BB4_126 Depth=2
	s_andn2_saveexec_b64 s[20:21], s[20:21]
; %bb.818:                              ;   in Loop: Header=BB4_126 Depth=2
	v_mov_b32_e32 v10, v52
	v_bfe_u32 v4, v52, 23, 1
	v_mov_b32_e32 v11, v53
; %bb.819:                              ;   in Loop: Header=BB4_126 Depth=2
	s_or_b64 exec, exec, s[20:21]
	v_lshrrev_b64 v[10:11], 20, v[10:11]
	v_cmp_gt_i32_e32 vcc, 16, v4
	v_cndmask_b32_e32 v11, 0, v11, vcc
	v_cndmask_b32_e32 v10, 7, v10, vcc
	v_cmp_eq_u32_e32 vcc, 0, v4
	v_min_i32_e32 v4, 15, v4
	v_cmp_eq_u64_e64 s[20:21], 0, v[10:11]
	v_lshlrev_b32_e32 v4, 3, v4
	v_and_b32_e32 v4, 0xf8, v4
	v_and_or_b32 v4, v10, 7, v4
	s_and_b64 s[20:21], vcc, s[20:21]
	v_cndmask_b32_e64 v4, v4, 0, s[20:21]
	v_or_b32_e32 v20, v4, v1
.LBB4_820:                              ;   in Loop: Header=BB4_126 Depth=2
	s_or_b64 exec, exec, s[90:91]
                                        ; implicit-def: $vgpr1
.LBB4_821:                              ;   in Loop: Header=BB4_126 Depth=2
	s_andn2_saveexec_b64 s[20:21], s[88:89]
; %bb.822:                              ;   in Loop: Header=BB4_126 Depth=2
	v_or_b32_e32 v20, 0x7e, v1
; %bb.823:                              ;   in Loop: Header=BB4_126 Depth=2
	s_or_b64 exec, exec, s[20:21]
                                        ; implicit-def: $vgpr4
.LBB4_824:                              ;   in Loop: Header=BB4_126 Depth=2
	s_andn2_saveexec_b64 s[20:21], s[78:79]
; %bb.825:                              ;   in Loop: Header=BB4_126 Depth=2
	v_or_b32_sdwa v20, v4, s53 dst_sel:DWORD dst_unused:UNUSED_PAD src0_sel:BYTE_3 src1_sel:DWORD
; %bb.826:                              ;   in Loop: Header=BB4_126 Depth=2
	s_or_b64 exec, exec, s[20:21]
	v_lshrrev_b16_e32 v10, 8, v16
	v_cmp_ne_u16_e32 vcc, 0, v10
	v_mov_b32_e32 v1, 0
	v_mov_b32_e32 v4, 0
	s_and_saveexec_b64 s[20:21], vcc
	s_cbranch_execz .LBB4_832
; %bb.827:                              ;   in Loop: Header=BB4_126 Depth=2
	v_cmp_ne_u16_e32 vcc, s52, v10
	v_bfrev_b32_e32 v4, 1
	s_and_saveexec_b64 s[78:79], vcc
	s_cbranch_execz .LBB4_831
; %bb.828:                              ;   in Loop: Header=BB4_126 Depth=2
	v_and_b32_e32 v5, 0x7f, v10
	v_cmp_ne_u32_e32 vcc, s53, v5
	v_mov_b32_e32 v4, 0x7f800001
	s_and_saveexec_b64 s[88:89], vcc
	s_cbranch_execz .LBB4_830
; %bb.829:                              ;   in Loop: Header=BB4_126 Depth=2
	v_and_b32_e32 v11, 7, v10
	v_ffbh_u32_e32 v4, v11
	v_min_u32_e32 v15, 32, v4
	v_subrev_u32_e32 v4, 28, v15
	v_lshrrev_b32_e32 v14, 3, v5
	v_cmp_gt_u32_e32 vcc, 8, v5
	v_lshlrev_b64 v[4:5], v4, v[10:11]
	v_sub_u32_e32 v5, 29, v15
	v_and_b32_e32 v4, 7, v4
	v_cndmask_b32_e32 v5, v14, v5, vcc
	v_cndmask_b32_e32 v4, v11, v4, vcc
	v_lshlrev_b32_e32 v10, 16, v16
	v_lshlrev_b32_e32 v4, 20, v4
	v_and_b32_e32 v10, 0x80000000, v10
	v_lshl_add_u32 v5, v5, 23, v50
	v_or3_b32 v4, v10, v5, v4
.LBB4_830:                              ;   in Loop: Header=BB4_126 Depth=2
	s_or_b64 exec, exec, s[88:89]
.LBB4_831:                              ;   in Loop: Header=BB4_126 Depth=2
	s_or_b64 exec, exec, s[78:79]
.LBB4_832:                              ;   in Loop: Header=BB4_126 Depth=2
	s_or_b64 exec, exec, s[20:21]
	v_lshrrev_b16_e32 v10, 8, v12
	v_cmp_ne_u16_e32 vcc, 0, v10
	s_and_saveexec_b64 s[20:21], vcc
	s_cbranch_execz .LBB4_838
; %bb.833:                              ;   in Loop: Header=BB4_126 Depth=2
	v_cmp_ne_u16_e32 vcc, s52, v10
	v_bfrev_b32_e32 v1, 1
	s_and_saveexec_b64 s[78:79], vcc
	s_cbranch_execz .LBB4_837
; %bb.834:                              ;   in Loop: Header=BB4_126 Depth=2
	v_and_b32_e32 v5, 0x7f, v10
	v_cmp_ne_u32_e32 vcc, s53, v5
	v_mov_b32_e32 v1, 0x7f800001
	s_and_saveexec_b64 s[88:89], vcc
	s_cbranch_execz .LBB4_836
; %bb.835:                              ;   in Loop: Header=BB4_126 Depth=2
	v_and_b32_e32 v1, 7, v10
	v_lshrrev_b32_e32 v14, 3, v5
	v_cmp_gt_u32_e32 vcc, 8, v5
	v_ffbh_u32_e32 v5, v1
	v_min_u32_e32 v5, 32, v5
	v_subrev_u32_e32 v11, 28, v5
	v_lshlrev_b64 v[10:11], v11, v[10:11]
	v_sub_u32_e32 v5, 29, v5
	v_and_b32_e32 v10, 7, v10
	v_cndmask_b32_e32 v5, v14, v5, vcc
	v_cndmask_b32_e32 v1, v1, v10, vcc
	v_lshlrev_b32_e32 v10, 16, v12
	v_lshlrev_b32_e32 v1, 20, v1
	v_and_b32_e32 v10, 0x80000000, v10
	v_lshl_add_u32 v5, v5, 23, v50
	v_or3_b32 v1, v10, v5, v1
.LBB4_836:                              ;   in Loop: Header=BB4_126 Depth=2
	s_or_b64 exec, exec, s[88:89]
.LBB4_837:                              ;   in Loop: Header=BB4_126 Depth=2
	s_or_b64 exec, exec, s[78:79]
.LBB4_838:                              ;   in Loop: Header=BB4_126 Depth=2
	s_or_b64 exec, exec, s[20:21]
	v_add_f32_e32 v4, v4, v1
	v_and_b32_e32 v52, 0x7f800000, v4
	v_cmp_ne_u64_e32 vcc, s[56:57], v[52:53]
                                        ; implicit-def: $vgpr51
	s_and_saveexec_b64 s[20:21], vcc
	s_xor_b64 s[78:79], exec, s[20:21]
	s_cbranch_execz .LBB4_852
; %bb.839:                              ;   in Loop: Header=BB4_126 Depth=2
	v_and_b32_e32 v52, 0x7fffffff, v4
	v_cmp_gt_u64_e32 vcc, s[58:59], v[52:53]
	v_and_b32_sdwa v1, v4, s52 dst_sel:DWORD dst_unused:UNUSED_PAD src0_sel:BYTE_3 src1_sel:DWORD
                                        ; implicit-def: $vgpr51
	s_and_saveexec_b64 s[20:21], vcc
	s_xor_b64 s[88:89], exec, s[20:21]
	s_cbranch_execz .LBB4_849
; %bb.840:                              ;   in Loop: Header=BB4_126 Depth=2
	v_mov_b32_e32 v51, 0
	v_cmp_ne_u32_e32 vcc, 0, v4
	s_and_saveexec_b64 s[90:91], vcc
	s_cbranch_execz .LBB4_848
; %bb.841:                              ;   in Loop: Header=BB4_126 Depth=2
	v_and_b32_e32 v10, 0x7fffff, v4
	v_bfe_u32 v4, v4, 23, 8
	v_cmp_gt_u32_e64 s[20:21], s54, v4
	v_sub_u32_e32 v5, 0x79, v4
	v_cmp_eq_u32_e32 vcc, 0, v4
	v_cndmask_b32_e64 v5, 0, v5, s[20:21]
	v_mov_b32_e32 v14, 0x78
	v_or_b32_e32 v11, 0x800000, v10
	v_cndmask_b32_e32 v5, v5, v14, vcc
	v_cndmask_b32_e32 v52, v11, v10, vcc
	v_add_u32_e32 v10, 20, v5
	v_lshlrev_b64 v[10:11], v10, -1
	v_add_u32_e32 v14, 19, v5
	v_lshlrev_b64 v[14:15], v14, 1
	v_bfi_b32 v11, v11, 0, 0
	v_bfi_b32 v10, v10, 0, v52
	v_cmp_eq_u64_e64 s[20:21], v[10:11], v[14:15]
	v_lshrrev_b64 v[10:11], v5, v[52:53]
	v_mov_b32_e32 v15, v11
	v_mov_b32_e32 v14, v10
	s_and_saveexec_b64 s[92:93], s[20:21]
; %bb.842:                              ;   in Loop: Header=BB4_126 Depth=2
	v_bfe_u32 v11, v10, 20, 1
	v_add_co_u32_e64 v11, s[20:21], v10, v11
	v_add_co_u32_e64 v14, s[20:21], -1, v11
; %bb.843:                              ;   in Loop: Header=BB4_126 Depth=2
	s_or_b64 exec, exec, s[92:93]
	v_add_u32_e32 v4, 0xffffff81, v4
	v_mov_b32_e32 v11, 0xffffff82
	v_cndmask_b32_e32 v4, v4, v11, vcc
	v_lshrrev_b32_e32 v11, 23, v10
	v_add3_u32 v15, v5, v4, v11
	v_add_u32_e32 v5, 6, v15
	v_and_b32_e32 v4, 0xfffff, v14
	v_add_u32_e32 v52, v4, v10
	v_cmp_ne_u32_e32 vcc, 0, v5
                                        ; implicit-def: $vgpr10_vgpr11
                                        ; implicit-def: $vgpr4
	s_and_saveexec_b64 s[20:21], vcc
	s_xor_b64 s[20:21], exec, s[20:21]
; %bb.844:                              ;   in Loop: Header=BB4_126 Depth=2
	v_cmp_lt_u64_e32 vcc, s[60:61], v[52:53]
	v_add_u32_e32 v4, 7, v15
	v_cndmask_b32_e32 v4, v5, v4, vcc
	v_cndmask_b32_e64 v5, 0, 1, vcc
	v_lshrrev_b64 v[10:11], v5, v[52:53]
; %bb.845:                              ;   in Loop: Header=BB4_126 Depth=2
	s_andn2_saveexec_b64 s[20:21], s[20:21]
; %bb.846:                              ;   in Loop: Header=BB4_126 Depth=2
	v_mov_b32_e32 v10, v52
	v_bfe_u32 v4, v52, 23, 1
	v_mov_b32_e32 v11, v53
; %bb.847:                              ;   in Loop: Header=BB4_126 Depth=2
	s_or_b64 exec, exec, s[20:21]
	v_lshrrev_b64 v[10:11], 20, v[10:11]
	v_cmp_gt_i32_e32 vcc, 16, v4
	v_cndmask_b32_e32 v11, 0, v11, vcc
	v_cndmask_b32_e32 v10, 7, v10, vcc
	v_cmp_eq_u32_e32 vcc, 0, v4
	v_min_i32_e32 v4, 15, v4
	v_cmp_eq_u64_e64 s[20:21], 0, v[10:11]
	v_lshlrev_b32_e32 v4, 3, v4
	v_and_b32_e32 v4, 0xf8, v4
	v_and_or_b32 v4, v10, 7, v4
	s_and_b64 s[20:21], vcc, s[20:21]
	v_cndmask_b32_e64 v4, v4, 0, s[20:21]
	v_or_b32_e32 v51, v4, v1
.LBB4_848:                              ;   in Loop: Header=BB4_126 Depth=2
	s_or_b64 exec, exec, s[90:91]
                                        ; implicit-def: $vgpr1
.LBB4_849:                              ;   in Loop: Header=BB4_126 Depth=2
	s_andn2_saveexec_b64 s[20:21], s[88:89]
; %bb.850:                              ;   in Loop: Header=BB4_126 Depth=2
	v_or_b32_e32 v51, 0x7e, v1
; %bb.851:                              ;   in Loop: Header=BB4_126 Depth=2
	s_or_b64 exec, exec, s[20:21]
                                        ; implicit-def: $vgpr4
.LBB4_852:                              ;   in Loop: Header=BB4_126 Depth=2
	s_andn2_saveexec_b64 s[20:21], s[78:79]
; %bb.853:                              ;   in Loop: Header=BB4_126 Depth=2
	v_or_b32_sdwa v51, v4, s53 dst_sel:DWORD dst_unused:UNUSED_PAD src0_sel:BYTE_3 src1_sel:DWORD
; %bb.854:                              ;   in Loop: Header=BB4_126 Depth=2
	s_or_b64 exec, exec, s[20:21]
	v_lshrrev_b32_e32 v10, 16, v16
	v_cmp_ne_u16_sdwa s[78:79], v10, v53 src0_sel:BYTE_0 src1_sel:DWORD
	v_mov_b32_e32 v1, 0
	v_mov_b32_e32 v4, 0
	s_and_saveexec_b64 s[20:21], s[78:79]
	s_cbranch_execz .LBB4_860
; %bb.855:                              ;   in Loop: Header=BB4_126 Depth=2
	v_cmp_ne_u16_sdwa s[88:89], v10, s52 src0_sel:BYTE_0 src1_sel:DWORD
	v_bfrev_b32_e32 v4, 1
	s_and_saveexec_b64 s[78:79], s[88:89]
	s_cbranch_execz .LBB4_859
; %bb.856:                              ;   in Loop: Header=BB4_126 Depth=2
	v_bfe_u32 v5, v16, 16, 7
	v_cmp_ne_u32_e32 vcc, s53, v5
	v_mov_b32_e32 v4, 0x7f800001
	s_and_saveexec_b64 s[88:89], vcc
	s_cbranch_execz .LBB4_858
; %bb.857:                              ;   in Loop: Header=BB4_126 Depth=2
	v_and_b32_e32 v11, 7, v10
	v_ffbh_u32_e32 v4, v11
	v_min_u32_e32 v15, 32, v4
	v_subrev_u32_e32 v4, 28, v15
	v_lshrrev_b32_e32 v14, 3, v5
	v_cmp_gt_u32_e32 vcc, 8, v5
	v_lshlrev_b64 v[4:5], v4, v[10:11]
	v_sub_u32_e32 v5, 29, v15
	v_and_b32_e32 v4, 7, v4
	v_cndmask_b32_e32 v5, v14, v5, vcc
	v_cndmask_b32_e32 v4, v11, v4, vcc
	v_lshlrev_b32_e32 v10, 24, v10
	v_lshlrev_b32_e32 v4, 20, v4
	v_and_b32_e32 v10, 0x80000000, v10
	v_lshl_add_u32 v5, v5, 23, v50
	v_or3_b32 v4, v10, v5, v4
.LBB4_858:                              ;   in Loop: Header=BB4_126 Depth=2
	s_or_b64 exec, exec, s[88:89]
.LBB4_859:                              ;   in Loop: Header=BB4_126 Depth=2
	s_or_b64 exec, exec, s[78:79]
.LBB4_860:                              ;   in Loop: Header=BB4_126 Depth=2
	s_or_b64 exec, exec, s[20:21]
	v_lshrrev_b32_e32 v10, 16, v12
	v_cmp_ne_u16_sdwa s[78:79], v10, v53 src0_sel:BYTE_0 src1_sel:DWORD
	s_and_saveexec_b64 s[20:21], s[78:79]
	s_cbranch_execz .LBB4_866
; %bb.861:                              ;   in Loop: Header=BB4_126 Depth=2
	v_cmp_ne_u16_sdwa s[88:89], v10, s52 src0_sel:BYTE_0 src1_sel:DWORD
	v_bfrev_b32_e32 v1, 1
	s_and_saveexec_b64 s[78:79], s[88:89]
	s_cbranch_execz .LBB4_865
; %bb.862:                              ;   in Loop: Header=BB4_126 Depth=2
	v_bfe_u32 v5, v12, 16, 7
	v_cmp_ne_u32_e32 vcc, s53, v5
	v_mov_b32_e32 v1, 0x7f800001
	s_and_saveexec_b64 s[88:89], vcc
	s_cbranch_execz .LBB4_864
; %bb.863:                              ;   in Loop: Header=BB4_126 Depth=2
	v_and_b32_e32 v1, 7, v10
	v_lshrrev_b32_e32 v14, 3, v5
	v_cmp_gt_u32_e32 vcc, 8, v5
	v_ffbh_u32_e32 v5, v1
	v_min_u32_e32 v5, 32, v5
	v_subrev_u32_e32 v11, 28, v5
	v_lshlrev_b64 v[10:11], v11, v[10:11]
	v_sub_u32_e32 v5, 29, v5
	v_and_b32_e32 v10, 7, v10
	v_cndmask_b32_e32 v5, v14, v5, vcc
	v_cndmask_b32_e32 v1, v1, v10, vcc
	v_lshlrev_b32_e32 v10, 8, v12
	v_lshlrev_b32_e32 v1, 20, v1
	v_and_b32_e32 v10, 0x80000000, v10
	v_lshl_add_u32 v5, v5, 23, v50
	v_or3_b32 v1, v10, v5, v1
.LBB4_864:                              ;   in Loop: Header=BB4_126 Depth=2
	s_or_b64 exec, exec, s[88:89]
.LBB4_865:                              ;   in Loop: Header=BB4_126 Depth=2
	s_or_b64 exec, exec, s[78:79]
.LBB4_866:                              ;   in Loop: Header=BB4_126 Depth=2
	s_or_b64 exec, exec, s[20:21]
	v_add_f32_e32 v4, v4, v1
	v_and_b32_e32 v52, 0x7f800000, v4
	v_cmp_ne_u64_e32 vcc, s[56:57], v[52:53]
                                        ; implicit-def: $vgpr43
	s_and_saveexec_b64 s[20:21], vcc
	s_xor_b64 s[78:79], exec, s[20:21]
	s_cbranch_execz .LBB4_880
; %bb.867:                              ;   in Loop: Header=BB4_126 Depth=2
	v_and_b32_e32 v52, 0x7fffffff, v4
	v_cmp_gt_u64_e32 vcc, s[58:59], v[52:53]
	v_and_b32_sdwa v1, v4, s52 dst_sel:DWORD dst_unused:UNUSED_PAD src0_sel:BYTE_3 src1_sel:DWORD
                                        ; implicit-def: $vgpr43
	s_and_saveexec_b64 s[20:21], vcc
	s_xor_b64 s[88:89], exec, s[20:21]
	s_cbranch_execz .LBB4_877
; %bb.868:                              ;   in Loop: Header=BB4_126 Depth=2
	v_mov_b32_e32 v43, 0
	v_cmp_ne_u32_e32 vcc, 0, v4
	s_and_saveexec_b64 s[90:91], vcc
	s_cbranch_execz .LBB4_876
; %bb.869:                              ;   in Loop: Header=BB4_126 Depth=2
	v_and_b32_e32 v10, 0x7fffff, v4
	v_bfe_u32 v4, v4, 23, 8
	v_cmp_gt_u32_e64 s[20:21], s54, v4
	v_sub_u32_e32 v5, 0x79, v4
	v_cmp_eq_u32_e32 vcc, 0, v4
	v_cndmask_b32_e64 v5, 0, v5, s[20:21]
	v_mov_b32_e32 v14, 0x78
	v_or_b32_e32 v11, 0x800000, v10
	v_cndmask_b32_e32 v5, v5, v14, vcc
	v_cndmask_b32_e32 v52, v11, v10, vcc
	v_add_u32_e32 v10, 20, v5
	v_lshlrev_b64 v[10:11], v10, -1
	v_add_u32_e32 v14, 19, v5
	v_lshlrev_b64 v[14:15], v14, 1
	v_bfi_b32 v11, v11, 0, 0
	v_bfi_b32 v10, v10, 0, v52
	v_cmp_eq_u64_e64 s[20:21], v[10:11], v[14:15]
	v_lshrrev_b64 v[10:11], v5, v[52:53]
	v_mov_b32_e32 v15, v11
	v_mov_b32_e32 v14, v10
	s_and_saveexec_b64 s[92:93], s[20:21]
; %bb.870:                              ;   in Loop: Header=BB4_126 Depth=2
	v_bfe_u32 v11, v10, 20, 1
	v_add_co_u32_e64 v11, s[20:21], v10, v11
	v_add_co_u32_e64 v14, s[20:21], -1, v11
; %bb.871:                              ;   in Loop: Header=BB4_126 Depth=2
	s_or_b64 exec, exec, s[92:93]
	v_add_u32_e32 v4, 0xffffff81, v4
	v_mov_b32_e32 v11, 0xffffff82
	v_cndmask_b32_e32 v4, v4, v11, vcc
	v_lshrrev_b32_e32 v11, 23, v10
	v_add3_u32 v15, v5, v4, v11
	v_add_u32_e32 v5, 6, v15
	v_and_b32_e32 v4, 0xfffff, v14
	v_add_u32_e32 v52, v4, v10
	v_cmp_ne_u32_e32 vcc, 0, v5
                                        ; implicit-def: $vgpr10_vgpr11
                                        ; implicit-def: $vgpr4
	s_and_saveexec_b64 s[20:21], vcc
	s_xor_b64 s[20:21], exec, s[20:21]
; %bb.872:                              ;   in Loop: Header=BB4_126 Depth=2
	v_cmp_lt_u64_e32 vcc, s[60:61], v[52:53]
	v_add_u32_e32 v4, 7, v15
	v_cndmask_b32_e32 v4, v5, v4, vcc
	v_cndmask_b32_e64 v5, 0, 1, vcc
	v_lshrrev_b64 v[10:11], v5, v[52:53]
; %bb.873:                              ;   in Loop: Header=BB4_126 Depth=2
	s_andn2_saveexec_b64 s[20:21], s[20:21]
; %bb.874:                              ;   in Loop: Header=BB4_126 Depth=2
	v_mov_b32_e32 v10, v52
	v_bfe_u32 v4, v52, 23, 1
	v_mov_b32_e32 v11, v53
; %bb.875:                              ;   in Loop: Header=BB4_126 Depth=2
	s_or_b64 exec, exec, s[20:21]
	v_lshrrev_b64 v[10:11], 20, v[10:11]
	v_cmp_gt_i32_e32 vcc, 16, v4
	v_cndmask_b32_e32 v11, 0, v11, vcc
	v_cndmask_b32_e32 v10, 7, v10, vcc
	v_cmp_eq_u32_e32 vcc, 0, v4
	v_min_i32_e32 v4, 15, v4
	v_cmp_eq_u64_e64 s[20:21], 0, v[10:11]
	v_lshlrev_b32_e32 v4, 3, v4
	v_and_b32_e32 v4, 0xf8, v4
	v_and_or_b32 v4, v10, 7, v4
	s_and_b64 s[20:21], vcc, s[20:21]
	v_cndmask_b32_e64 v4, v4, 0, s[20:21]
	v_or_b32_e32 v43, v4, v1
.LBB4_876:                              ;   in Loop: Header=BB4_126 Depth=2
	s_or_b64 exec, exec, s[90:91]
                                        ; implicit-def: $vgpr1
.LBB4_877:                              ;   in Loop: Header=BB4_126 Depth=2
	s_andn2_saveexec_b64 s[20:21], s[88:89]
; %bb.878:                              ;   in Loop: Header=BB4_126 Depth=2
	v_or_b32_e32 v43, 0x7e, v1
; %bb.879:                              ;   in Loop: Header=BB4_126 Depth=2
	s_or_b64 exec, exec, s[20:21]
                                        ; implicit-def: $vgpr4
.LBB4_880:                              ;   in Loop: Header=BB4_126 Depth=2
	s_andn2_saveexec_b64 s[20:21], s[78:79]
; %bb.881:                              ;   in Loop: Header=BB4_126 Depth=2
	v_or_b32_sdwa v43, v4, s53 dst_sel:DWORD dst_unused:UNUSED_PAD src0_sel:BYTE_3 src1_sel:DWORD
; %bb.882:                              ;   in Loop: Header=BB4_126 Depth=2
	s_or_b64 exec, exec, s[20:21]
	v_cmp_lt_u32_e32 vcc, s63, v16
	v_mov_b32_e32 v1, 0
	v_mov_b32_e32 v4, 0
	s_and_saveexec_b64 s[20:21], vcc
	s_cbranch_execz .LBB4_888
; %bb.883:                              ;   in Loop: Header=BB4_126 Depth=2
	v_lshrrev_b32_e32 v10, 24, v16
	v_cmp_ne_u32_e32 vcc, s52, v10
	v_bfrev_b32_e32 v4, 1
	s_and_saveexec_b64 s[78:79], vcc
	s_cbranch_execz .LBB4_887
; %bb.884:                              ;   in Loop: Header=BB4_126 Depth=2
	v_bfe_u32 v5, v16, 24, 7
	v_cmp_ne_u32_e32 vcc, s53, v5
	v_mov_b32_e32 v4, 0x7f800001
	s_and_saveexec_b64 s[88:89], vcc
	s_cbranch_execz .LBB4_886
; %bb.885:                              ;   in Loop: Header=BB4_126 Depth=2
	v_and_b32_e32 v11, 7, v10
	v_ffbh_u32_e32 v4, v11
	v_min_u32_e32 v15, 32, v4
	v_subrev_u32_e32 v4, 28, v15
	v_lshrrev_b32_e32 v14, 3, v5
	v_cmp_gt_u32_e32 vcc, 8, v5
	v_lshlrev_b64 v[4:5], v4, v[10:11]
	v_sub_u32_e32 v5, 29, v15
	v_and_b32_e32 v4, 7, v4
	v_cndmask_b32_e32 v5, v14, v5, vcc
	v_cndmask_b32_e32 v4, v11, v4, vcc
	v_lshlrev_b32_e32 v10, 24, v10
	v_lshlrev_b32_e32 v4, 20, v4
	v_and_b32_e32 v10, 0x80000000, v10
	v_lshl_add_u32 v5, v5, 23, v50
	v_or3_b32 v4, v10, v5, v4
.LBB4_886:                              ;   in Loop: Header=BB4_126 Depth=2
	s_or_b64 exec, exec, s[88:89]
.LBB4_887:                              ;   in Loop: Header=BB4_126 Depth=2
	s_or_b64 exec, exec, s[78:79]
.LBB4_888:                              ;   in Loop: Header=BB4_126 Depth=2
	s_or_b64 exec, exec, s[20:21]
	v_cmp_lt_u32_e32 vcc, s63, v12
	s_and_saveexec_b64 s[20:21], vcc
	s_cbranch_execz .LBB4_894
; %bb.889:                              ;   in Loop: Header=BB4_126 Depth=2
	v_lshrrev_b32_e32 v10, 24, v12
	v_cmp_ne_u32_e32 vcc, s52, v10
	v_bfrev_b32_e32 v1, 1
	s_and_saveexec_b64 s[78:79], vcc
	s_cbranch_execz .LBB4_893
; %bb.890:                              ;   in Loop: Header=BB4_126 Depth=2
	v_bfe_u32 v5, v12, 24, 7
	v_cmp_ne_u32_e32 vcc, s53, v5
	v_mov_b32_e32 v1, 0x7f800001
	s_and_saveexec_b64 s[88:89], vcc
	s_cbranch_execz .LBB4_892
; %bb.891:                              ;   in Loop: Header=BB4_126 Depth=2
	v_and_b32_e32 v1, 7, v10
	v_lshrrev_b32_e32 v11, 3, v5
	v_cmp_gt_u32_e32 vcc, 8, v5
	v_ffbh_u32_e32 v5, v1
	v_min_u32_e32 v5, 32, v5
	v_subrev_u32_e32 v14, 28, v5
	v_lshlrev_b64 v[14:15], v14, v[10:11]
	v_sub_u32_e32 v5, 29, v5
	v_and_b32_e32 v14, 7, v14
	v_cndmask_b32_e32 v5, v11, v5, vcc
	v_cndmask_b32_e32 v1, v1, v14, vcc
	v_lshlrev_b32_e32 v10, 24, v10
	v_lshlrev_b32_e32 v1, 20, v1
	v_and_b32_e32 v10, 0x80000000, v10
	v_lshl_add_u32 v5, v5, 23, v50
	v_or3_b32 v1, v10, v5, v1
.LBB4_892:                              ;   in Loop: Header=BB4_126 Depth=2
	s_or_b64 exec, exec, s[88:89]
.LBB4_893:                              ;   in Loop: Header=BB4_126 Depth=2
	s_or_b64 exec, exec, s[78:79]
.LBB4_894:                              ;   in Loop: Header=BB4_126 Depth=2
	s_or_b64 exec, exec, s[20:21]
	v_add_f32_e32 v5, v4, v1
	v_and_b32_e32 v52, 0x7f800000, v5
	v_cmp_ne_u64_e32 vcc, s[56:57], v[52:53]
                                        ; implicit-def: $vgpr1
	s_and_saveexec_b64 s[20:21], vcc
	s_xor_b64 s[78:79], exec, s[20:21]
	s_cbranch_execz .LBB4_908
; %bb.895:                              ;   in Loop: Header=BB4_126 Depth=2
	v_and_b32_e32 v52, 0x7fffffff, v5
	v_cmp_gt_u64_e32 vcc, s[58:59], v[52:53]
	v_and_b32_sdwa v4, v5, s52 dst_sel:DWORD dst_unused:UNUSED_PAD src0_sel:BYTE_3 src1_sel:DWORD
                                        ; implicit-def: $vgpr1
	s_and_saveexec_b64 s[20:21], vcc
	s_xor_b64 s[88:89], exec, s[20:21]
	s_cbranch_execz .LBB4_905
; %bb.896:                              ;   in Loop: Header=BB4_126 Depth=2
	v_mov_b32_e32 v1, 0
	v_cmp_ne_u32_e32 vcc, 0, v5
	s_and_saveexec_b64 s[90:91], vcc
	s_cbranch_execz .LBB4_904
; %bb.897:                              ;   in Loop: Header=BB4_126 Depth=2
	v_bfe_u32 v1, v5, 23, 8
	v_and_b32_e32 v10, 0x7fffff, v5
	v_cmp_gt_u32_e64 s[20:21], s54, v1
	v_sub_u32_e32 v5, 0x79, v1
	v_cmp_eq_u32_e32 vcc, 0, v1
	v_cndmask_b32_e64 v5, 0, v5, s[20:21]
	v_mov_b32_e32 v14, 0x78
	v_or_b32_e32 v11, 0x800000, v10
	v_cndmask_b32_e32 v5, v5, v14, vcc
	v_cndmask_b32_e32 v52, v11, v10, vcc
	v_add_u32_e32 v10, 20, v5
	v_lshlrev_b64 v[10:11], v10, -1
	v_add_u32_e32 v14, 19, v5
	v_lshlrev_b64 v[14:15], v14, 1
	v_bfi_b32 v11, v11, 0, 0
	v_bfi_b32 v10, v10, 0, v52
	v_cmp_eq_u64_e64 s[20:21], v[10:11], v[14:15]
	v_lshrrev_b64 v[10:11], v5, v[52:53]
	v_mov_b32_e32 v15, v11
	v_mov_b32_e32 v14, v10
	s_and_saveexec_b64 s[92:93], s[20:21]
; %bb.898:                              ;   in Loop: Header=BB4_126 Depth=2
	v_bfe_u32 v11, v10, 20, 1
	v_add_co_u32_e64 v11, s[20:21], v10, v11
	v_add_co_u32_e64 v14, s[20:21], -1, v11
; %bb.899:                              ;   in Loop: Header=BB4_126 Depth=2
	s_or_b64 exec, exec, s[92:93]
	v_add_u32_e32 v1, 0xffffff81, v1
	v_mov_b32_e32 v11, 0xffffff82
	v_cndmask_b32_e32 v1, v1, v11, vcc
	v_lshrrev_b32_e32 v11, 23, v10
	v_add3_u32 v15, v5, v1, v11
	v_add_u32_e32 v5, 6, v15
	v_and_b32_e32 v1, 0xfffff, v14
	v_add_u32_e32 v52, v1, v10
	v_cmp_ne_u32_e32 vcc, 0, v5
                                        ; implicit-def: $vgpr10_vgpr11
                                        ; implicit-def: $vgpr1
	s_and_saveexec_b64 s[20:21], vcc
	s_xor_b64 s[20:21], exec, s[20:21]
; %bb.900:                              ;   in Loop: Header=BB4_126 Depth=2
	v_cmp_lt_u64_e32 vcc, s[60:61], v[52:53]
	v_add_u32_e32 v1, 7, v15
	v_cndmask_b32_e32 v1, v5, v1, vcc
	v_cndmask_b32_e64 v5, 0, 1, vcc
	v_lshrrev_b64 v[10:11], v5, v[52:53]
; %bb.901:                              ;   in Loop: Header=BB4_126 Depth=2
	s_andn2_saveexec_b64 s[20:21], s[20:21]
; %bb.902:                              ;   in Loop: Header=BB4_126 Depth=2
	v_mov_b32_e32 v10, v52
	v_bfe_u32 v1, v52, 23, 1
	v_mov_b32_e32 v11, v53
; %bb.903:                              ;   in Loop: Header=BB4_126 Depth=2
	s_or_b64 exec, exec, s[20:21]
	v_lshrrev_b64 v[10:11], 20, v[10:11]
	v_cmp_gt_i32_e32 vcc, 16, v1
	v_cndmask_b32_e32 v11, 0, v11, vcc
	v_cndmask_b32_e32 v10, 7, v10, vcc
	v_cmp_eq_u32_e32 vcc, 0, v1
	v_min_i32_e32 v1, 15, v1
	v_cmp_eq_u64_e64 s[20:21], 0, v[10:11]
	v_lshlrev_b32_e32 v1, 3, v1
	v_and_b32_e32 v1, 0xf8, v1
	v_and_or_b32 v1, v10, 7, v1
	s_and_b64 s[20:21], vcc, s[20:21]
	v_cndmask_b32_e64 v1, v1, 0, s[20:21]
	v_or_b32_e32 v1, v1, v4
.LBB4_904:                              ;   in Loop: Header=BB4_126 Depth=2
	s_or_b64 exec, exec, s[90:91]
                                        ; implicit-def: $vgpr4
.LBB4_905:                              ;   in Loop: Header=BB4_126 Depth=2
	s_andn2_saveexec_b64 s[20:21], s[88:89]
; %bb.906:                              ;   in Loop: Header=BB4_126 Depth=2
	v_or_b32_e32 v1, 0x7e, v4
; %bb.907:                              ;   in Loop: Header=BB4_126 Depth=2
	s_or_b64 exec, exec, s[20:21]
                                        ; implicit-def: $vgpr5
.LBB4_908:                              ;   in Loop: Header=BB4_126 Depth=2
	s_andn2_saveexec_b64 s[20:21], s[78:79]
; %bb.909:                              ;   in Loop: Header=BB4_126 Depth=2
	v_or_b32_sdwa v1, v5, s53 dst_sel:DWORD dst_unused:UNUSED_PAD src0_sel:BYTE_3 src1_sel:DWORD
; %bb.910:                              ;   in Loop: Header=BB4_126 Depth=2
	s_or_b64 exec, exec, s[20:21]
	v_mov_b32_e32 v52, v17
	v_cmp_ne_u16_sdwa s[78:79], v17, v53 src0_sel:BYTE_0 src1_sel:DWORD
	v_mov_b32_e32 v5, 0
	v_mov_b32_e32 v4, 0
	s_and_saveexec_b64 s[20:21], s[78:79]
	s_cbranch_execz .LBB4_916
; %bb.911:                              ;   in Loop: Header=BB4_126 Depth=2
	v_cmp_ne_u16_sdwa s[88:89], v17, s52 src0_sel:BYTE_0 src1_sel:DWORD
	v_bfrev_b32_e32 v4, 1
	s_and_saveexec_b64 s[78:79], s[88:89]
	s_cbranch_execz .LBB4_915
; %bb.912:                              ;   in Loop: Header=BB4_126 Depth=2
	v_and_b32_e32 v10, 0x7f, v17
	v_cmp_ne_u32_e32 vcc, s53, v10
	v_mov_b32_e32 v4, 0x7f800001
	s_and_saveexec_b64 s[88:89], vcc
	s_cbranch_execz .LBB4_914
; %bb.913:                              ;   in Loop: Header=BB4_126 Depth=2
	v_and_b32_e32 v4, 7, v17
	v_ffbh_u32_e32 v4, v4
	v_min_u32_e32 v4, 32, v4
	v_lshrrev_b32_e32 v11, 3, v10
	v_cmp_gt_u32_e32 vcc, 8, v10
	v_subrev_u32_e32 v10, 28, v4
	v_sub_u32_e32 v4, 29, v4
	v_cndmask_b32_e32 v10, 0, v10, vcc
	v_cndmask_b32_e32 v4, v11, v4, vcc
	v_lshlrev_b64 v[10:11], v10, v[52:53]
	v_lshlrev_b32_e32 v11, 24, v52
	v_lshlrev_b32_e32 v10, 20, v10
	v_and_b32_e32 v10, 0x700000, v10
	v_and_b32_e32 v11, 0x80000000, v11
	v_lshl_add_u32 v4, v4, 23, v50
	v_or3_b32 v4, v11, v4, v10
.LBB4_914:                              ;   in Loop: Header=BB4_126 Depth=2
	s_or_b64 exec, exec, s[88:89]
.LBB4_915:                              ;   in Loop: Header=BB4_126 Depth=2
	s_or_b64 exec, exec, s[78:79]
.LBB4_916:                              ;   in Loop: Header=BB4_126 Depth=2
	s_or_b64 exec, exec, s[20:21]
	v_cmp_ne_u16_sdwa s[78:79], v13, v53 src0_sel:BYTE_0 src1_sel:DWORD
	s_and_saveexec_b64 s[20:21], s[78:79]
	s_cbranch_execz .LBB4_922
; %bb.917:                              ;   in Loop: Header=BB4_126 Depth=2
	v_cmp_ne_u16_sdwa s[88:89], v13, s52 src0_sel:BYTE_0 src1_sel:DWORD
	v_bfrev_b32_e32 v5, 1
	s_and_saveexec_b64 s[78:79], s[88:89]
	s_cbranch_execz .LBB4_921
; %bb.918:                              ;   in Loop: Header=BB4_126 Depth=2
	v_and_b32_e32 v10, 0x7f, v13
	v_cmp_ne_u32_e32 vcc, s53, v10
	v_mov_b32_e32 v5, 0x7f800001
	s_and_saveexec_b64 s[88:89], vcc
	s_cbranch_execz .LBB4_920
; %bb.919:                              ;   in Loop: Header=BB4_126 Depth=2
	v_and_b32_e32 v5, 7, v13
	v_ffbh_u32_e32 v5, v5
	v_min_u32_e32 v5, 32, v5
	v_lshrrev_b32_e32 v11, 3, v10
	v_cmp_gt_u32_e32 vcc, 8, v10
	v_subrev_u32_e32 v10, 28, v5
	v_mov_b32_e32 v14, v13
	v_mov_b32_e32 v15, v53
	v_sub_u32_e32 v5, 29, v5
	v_cndmask_b32_e32 v10, 0, v10, vcc
	v_cndmask_b32_e32 v5, v11, v5, vcc
	v_lshlrev_b64 v[10:11], v10, v[14:15]
	v_lshlrev_b32_e32 v11, 24, v14
	v_lshlrev_b32_e32 v10, 20, v10
	v_and_b32_e32 v10, 0x700000, v10
	v_and_b32_e32 v11, 0x80000000, v11
	v_lshl_add_u32 v5, v5, 23, v50
	v_or3_b32 v5, v11, v5, v10
.LBB4_920:                              ;   in Loop: Header=BB4_126 Depth=2
	s_or_b64 exec, exec, s[88:89]
.LBB4_921:                              ;   in Loop: Header=BB4_126 Depth=2
	s_or_b64 exec, exec, s[78:79]
.LBB4_922:                              ;   in Loop: Header=BB4_126 Depth=2
	s_or_b64 exec, exec, s[20:21]
	v_add_f32_e32 v5, v4, v5
	v_and_b32_e32 v10, 0x7f800000, v5
	v_mov_b32_e32 v11, v53
	v_cmp_ne_u64_e32 vcc, s[56:57], v[10:11]
                                        ; implicit-def: $vgpr26
	s_and_saveexec_b64 s[20:21], vcc
	s_xor_b64 s[78:79], exec, s[20:21]
	s_cbranch_execz .LBB4_936
; %bb.923:                              ;   in Loop: Header=BB4_126 Depth=2
	v_and_b32_e32 v10, 0x7fffffff, v5
	v_mov_b32_e32 v11, v53
	v_cmp_gt_u64_e32 vcc, s[58:59], v[10:11]
	v_and_b32_sdwa v4, v5, s52 dst_sel:DWORD dst_unused:UNUSED_PAD src0_sel:BYTE_3 src1_sel:DWORD
                                        ; implicit-def: $vgpr26
	s_and_saveexec_b64 s[20:21], vcc
	s_xor_b64 s[88:89], exec, s[20:21]
	s_cbranch_execz .LBB4_933
; %bb.924:                              ;   in Loop: Header=BB4_126 Depth=2
	v_mov_b32_e32 v26, 0
	v_cmp_ne_u32_e32 vcc, 0, v5
	s_and_saveexec_b64 s[90:91], vcc
	s_cbranch_execz .LBB4_932
; %bb.925:                              ;   in Loop: Header=BB4_126 Depth=2
	v_and_b32_e32 v10, 0x7fffff, v5
	v_bfe_u32 v5, v5, 23, 8
	v_cmp_gt_u32_e64 s[20:21], s54, v5
	v_sub_u32_e32 v11, 0x79, v5
	v_cmp_eq_u32_e32 vcc, 0, v5
	v_cndmask_b32_e64 v11, 0, v11, s[20:21]
	v_mov_b32_e32 v15, 0x78
	v_or_b32_e32 v14, 0x800000, v10
	v_cndmask_b32_e32 v26, v11, v15, vcc
	v_cndmask_b32_e32 v10, v14, v10, vcc
	v_add_u32_e32 v14, 20, v26
	v_lshlrev_b64 v[14:15], v14, -1
	v_mov_b32_e32 v11, v53
	v_add_u32_e32 v48, 19, v26
	v_bfi_b32 v14, v14, 0, v10
	v_lshlrev_b64 v[48:49], v48, 1
	v_lshrrev_b64 v[10:11], v26, v[10:11]
	v_bfi_b32 v15, v15, 0, 0
	v_cmp_eq_u64_e64 s[20:21], v[14:15], v[48:49]
	v_mov_b32_e32 v15, v11
	v_mov_b32_e32 v14, v10
	s_and_saveexec_b64 s[92:93], s[20:21]
; %bb.926:                              ;   in Loop: Header=BB4_126 Depth=2
	v_bfe_u32 v11, v10, 20, 1
	v_add_co_u32_e64 v11, s[20:21], v10, v11
	v_add_co_u32_e64 v14, s[20:21], -1, v11
; %bb.927:                              ;   in Loop: Header=BB4_126 Depth=2
	s_or_b64 exec, exec, s[92:93]
	v_add_u32_e32 v5, 0xffffff81, v5
	v_mov_b32_e32 v11, 0xffffff82
	v_cndmask_b32_e32 v5, v5, v11, vcc
	v_lshrrev_b32_e32 v11, 23, v10
	v_add3_u32 v26, v26, v5, v11
	v_add_u32_e32 v15, 6, v26
	v_and_b32_e32 v5, 0xfffff, v14
	v_add_u32_e32 v10, v5, v10
	v_mov_b32_e32 v11, v53
	v_cmp_ne_u32_e32 vcc, 0, v15
                                        ; implicit-def: $vgpr5
	s_and_saveexec_b64 s[20:21], vcc
	s_xor_b64 s[20:21], exec, s[20:21]
; %bb.928:                              ;   in Loop: Header=BB4_126 Depth=2
	v_cmp_lt_u64_e32 vcc, s[60:61], v[10:11]
	v_add_u32_e32 v5, 7, v26
	v_cndmask_b32_e64 v14, 0, 1, vcc
	v_lshrrev_b64 v[10:11], v14, v[10:11]
	v_cndmask_b32_e32 v5, v15, v5, vcc
; %bb.929:                              ;   in Loop: Header=BB4_126 Depth=2
	s_andn2_saveexec_b64 s[20:21], s[20:21]
; %bb.930:                              ;   in Loop: Header=BB4_126 Depth=2
	v_bfe_u32 v5, v10, 23, 1
; %bb.931:                              ;   in Loop: Header=BB4_126 Depth=2
	s_or_b64 exec, exec, s[20:21]
	v_lshrrev_b64 v[10:11], 20, v[10:11]
	v_cmp_gt_i32_e32 vcc, 16, v5
	v_cndmask_b32_e32 v11, 0, v11, vcc
	v_cndmask_b32_e32 v10, 7, v10, vcc
	v_cmp_eq_u32_e32 vcc, 0, v5
	v_min_i32_e32 v5, 15, v5
	v_cmp_eq_u64_e64 s[20:21], 0, v[10:11]
	v_lshlrev_b32_e32 v5, 3, v5
	v_and_b32_e32 v5, 0xf8, v5
	v_and_or_b32 v5, v10, 7, v5
	s_and_b64 s[20:21], vcc, s[20:21]
	v_cndmask_b32_e64 v5, v5, 0, s[20:21]
	v_or_b32_e32 v26, v5, v4
.LBB4_932:                              ;   in Loop: Header=BB4_126 Depth=2
	s_or_b64 exec, exec, s[90:91]
                                        ; implicit-def: $vgpr4
.LBB4_933:                              ;   in Loop: Header=BB4_126 Depth=2
	s_andn2_saveexec_b64 s[20:21], s[88:89]
; %bb.934:                              ;   in Loop: Header=BB4_126 Depth=2
	v_or_b32_e32 v26, 0x7e, v4
; %bb.935:                              ;   in Loop: Header=BB4_126 Depth=2
	s_or_b64 exec, exec, s[20:21]
                                        ; implicit-def: $vgpr5
.LBB4_936:                              ;   in Loop: Header=BB4_126 Depth=2
	s_andn2_saveexec_b64 s[20:21], s[78:79]
; %bb.937:                              ;   in Loop: Header=BB4_126 Depth=2
	v_or_b32_sdwa v26, v5, s53 dst_sel:DWORD dst_unused:UNUSED_PAD src0_sel:BYTE_3 src1_sel:DWORD
; %bb.938:                              ;   in Loop: Header=BB4_126 Depth=2
	s_or_b64 exec, exec, s[20:21]
	v_lshrrev_b16_e32 v10, 8, v52
	v_cmp_ne_u16_e32 vcc, 0, v10
	v_mov_b32_e32 v4, 0
	v_mov_b32_e32 v5, 0
	s_and_saveexec_b64 s[20:21], vcc
	s_cbranch_execz .LBB4_944
; %bb.939:                              ;   in Loop: Header=BB4_126 Depth=2
	v_cmp_ne_u16_e32 vcc, s52, v10
	v_bfrev_b32_e32 v5, 1
	s_and_saveexec_b64 s[78:79], vcc
	s_cbranch_execz .LBB4_943
; %bb.940:                              ;   in Loop: Header=BB4_126 Depth=2
	v_and_b32_e32 v11, 0x7f, v10
	v_cmp_ne_u32_e32 vcc, s53, v11
	v_mov_b32_e32 v5, 0x7f800001
	s_and_saveexec_b64 s[88:89], vcc
	s_cbranch_execz .LBB4_942
; %bb.941:                              ;   in Loop: Header=BB4_126 Depth=2
	v_and_b32_e32 v5, 7, v10
	v_lshrrev_b32_e32 v14, 3, v11
	v_cmp_gt_u32_e32 vcc, 8, v11
	v_ffbh_u32_e32 v11, v5
	v_min_u32_e32 v15, 32, v11
	v_subrev_u32_e32 v11, 28, v15
	v_lshlrev_b64 v[10:11], v11, v[10:11]
	v_sub_u32_e32 v11, 29, v15
	v_and_b32_e32 v10, 7, v10
	v_cndmask_b32_e32 v11, v14, v11, vcc
	v_cndmask_b32_e32 v5, v5, v10, vcc
	v_lshlrev_b32_e32 v10, 16, v52
	v_lshlrev_b32_e32 v5, 20, v5
	v_and_b32_e32 v10, 0x80000000, v10
	v_lshl_add_u32 v11, v11, 23, v50
	v_or3_b32 v5, v10, v11, v5
.LBB4_942:                              ;   in Loop: Header=BB4_126 Depth=2
	s_or_b64 exec, exec, s[88:89]
.LBB4_943:                              ;   in Loop: Header=BB4_126 Depth=2
	s_or_b64 exec, exec, s[78:79]
.LBB4_944:                              ;   in Loop: Header=BB4_126 Depth=2
	s_or_b64 exec, exec, s[20:21]
	v_lshrrev_b16_e32 v10, 8, v13
	v_cmp_ne_u16_e32 vcc, 0, v10
	s_and_saveexec_b64 s[20:21], vcc
	s_cbranch_execz .LBB4_950
; %bb.945:                              ;   in Loop: Header=BB4_126 Depth=2
	v_cmp_ne_u16_e32 vcc, s52, v10
	v_bfrev_b32_e32 v4, 1
	s_and_saveexec_b64 s[78:79], vcc
	s_cbranch_execz .LBB4_949
; %bb.946:                              ;   in Loop: Header=BB4_126 Depth=2
	v_and_b32_e32 v11, 0x7f, v10
	v_cmp_ne_u32_e32 vcc, s53, v11
	v_mov_b32_e32 v4, 0x7f800001
	s_and_saveexec_b64 s[88:89], vcc
	s_cbranch_execz .LBB4_948
; %bb.947:                              ;   in Loop: Header=BB4_126 Depth=2
	v_and_b32_e32 v4, 7, v10
	v_lshrrev_b32_e32 v14, 3, v11
	v_cmp_gt_u32_e32 vcc, 8, v11
	v_ffbh_u32_e32 v11, v4
	v_min_u32_e32 v15, 32, v11
	v_subrev_u32_e32 v11, 28, v15
	v_lshlrev_b64 v[10:11], v11, v[10:11]
	v_sub_u32_e32 v11, 29, v15
	v_and_b32_e32 v10, 7, v10
	v_cndmask_b32_e32 v11, v14, v11, vcc
	v_cndmask_b32_e32 v4, v4, v10, vcc
	v_lshlrev_b32_e32 v10, 16, v13
	v_lshlrev_b32_e32 v4, 20, v4
	v_and_b32_e32 v10, 0x80000000, v10
	v_lshl_add_u32 v11, v11, 23, v50
	v_or3_b32 v4, v10, v11, v4
.LBB4_948:                              ;   in Loop: Header=BB4_126 Depth=2
	s_or_b64 exec, exec, s[88:89]
.LBB4_949:                              ;   in Loop: Header=BB4_126 Depth=2
	s_or_b64 exec, exec, s[78:79]
.LBB4_950:                              ;   in Loop: Header=BB4_126 Depth=2
	s_or_b64 exec, exec, s[20:21]
	v_add_f32_e32 v10, v5, v4
	v_and_b32_e32 v52, 0x7f800000, v10
	v_cmp_ne_u64_e32 vcc, s[56:57], v[52:53]
                                        ; implicit-def: $vgpr4
	s_and_saveexec_b64 s[20:21], vcc
	s_xor_b64 s[78:79], exec, s[20:21]
	s_cbranch_execz .LBB4_964
; %bb.951:                              ;   in Loop: Header=BB4_126 Depth=2
	v_and_b32_e32 v52, 0x7fffffff, v10
	v_cmp_gt_u64_e32 vcc, s[58:59], v[52:53]
	v_and_b32_sdwa v5, v10, s52 dst_sel:DWORD dst_unused:UNUSED_PAD src0_sel:BYTE_3 src1_sel:DWORD
                                        ; implicit-def: $vgpr4
	s_and_saveexec_b64 s[20:21], vcc
	s_xor_b64 s[88:89], exec, s[20:21]
	s_cbranch_execz .LBB4_961
; %bb.952:                              ;   in Loop: Header=BB4_126 Depth=2
	v_mov_b32_e32 v4, 0
	v_cmp_ne_u32_e32 vcc, 0, v10
	s_and_saveexec_b64 s[90:91], vcc
	s_cbranch_execz .LBB4_960
; %bb.953:                              ;   in Loop: Header=BB4_126 Depth=2
	v_bfe_u32 v4, v10, 23, 8
	v_and_b32_e32 v11, 0x7fffff, v10
	v_cmp_gt_u32_e64 s[20:21], s54, v4
	v_sub_u32_e32 v10, 0x79, v4
	v_cmp_eq_u32_e32 vcc, 0, v4
	v_cndmask_b32_e64 v10, 0, v10, s[20:21]
	v_mov_b32_e32 v15, 0x78
	v_cndmask_b32_e32 v48, v10, v15, vcc
	v_or_b32_e32 v14, 0x800000, v11
	v_add_u32_e32 v10, 20, v48
	v_cndmask_b32_e32 v52, v14, v11, vcc
	v_lshlrev_b64 v[10:11], v10, -1
	v_add_u32_e32 v14, 19, v48
	v_lshlrev_b64 v[14:15], v14, 1
	v_bfi_b32 v11, v11, 0, 0
	v_bfi_b32 v10, v10, 0, v52
	v_cmp_eq_u64_e64 s[20:21], v[10:11], v[14:15]
	v_lshrrev_b64 v[10:11], v48, v[52:53]
	v_mov_b32_e32 v15, v11
	v_mov_b32_e32 v14, v10
	s_and_saveexec_b64 s[92:93], s[20:21]
; %bb.954:                              ;   in Loop: Header=BB4_126 Depth=2
	v_bfe_u32 v11, v10, 20, 1
	v_add_co_u32_e64 v11, s[20:21], v10, v11
	v_add_co_u32_e64 v14, s[20:21], -1, v11
; %bb.955:                              ;   in Loop: Header=BB4_126 Depth=2
	s_or_b64 exec, exec, s[92:93]
	v_add_u32_e32 v4, 0xffffff81, v4
	v_mov_b32_e32 v11, 0xffffff82
	v_cndmask_b32_e32 v4, v4, v11, vcc
	v_lshrrev_b32_e32 v11, 23, v10
	v_add3_u32 v48, v48, v4, v11
	v_add_u32_e32 v15, 6, v48
	v_and_b32_e32 v4, 0xfffff, v14
	v_add_u32_e32 v52, v4, v10
	v_cmp_ne_u32_e32 vcc, 0, v15
                                        ; implicit-def: $vgpr10_vgpr11
                                        ; implicit-def: $vgpr4
	s_and_saveexec_b64 s[20:21], vcc
	s_xor_b64 s[20:21], exec, s[20:21]
; %bb.956:                              ;   in Loop: Header=BB4_126 Depth=2
	v_cmp_lt_u64_e32 vcc, s[60:61], v[52:53]
	v_add_u32_e32 v4, 7, v48
	v_cndmask_b32_e64 v10, 0, 1, vcc
	v_lshrrev_b64 v[10:11], v10, v[52:53]
	v_cndmask_b32_e32 v4, v15, v4, vcc
; %bb.957:                              ;   in Loop: Header=BB4_126 Depth=2
	s_andn2_saveexec_b64 s[20:21], s[20:21]
; %bb.958:                              ;   in Loop: Header=BB4_126 Depth=2
	v_mov_b32_e32 v10, v52
	v_bfe_u32 v4, v52, 23, 1
	v_mov_b32_e32 v11, v53
; %bb.959:                              ;   in Loop: Header=BB4_126 Depth=2
	s_or_b64 exec, exec, s[20:21]
	v_lshrrev_b64 v[10:11], 20, v[10:11]
	v_cmp_gt_i32_e32 vcc, 16, v4
	v_cndmask_b32_e32 v11, 0, v11, vcc
	v_cndmask_b32_e32 v10, 7, v10, vcc
	v_cmp_eq_u32_e32 vcc, 0, v4
	v_min_i32_e32 v4, 15, v4
	v_cmp_eq_u64_e64 s[20:21], 0, v[10:11]
	v_lshlrev_b32_e32 v4, 3, v4
	v_and_b32_e32 v4, 0xf8, v4
	v_and_or_b32 v4, v10, 7, v4
	s_and_b64 s[20:21], vcc, s[20:21]
	v_cndmask_b32_e64 v4, v4, 0, s[20:21]
	v_or_b32_e32 v4, v4, v5
.LBB4_960:                              ;   in Loop: Header=BB4_126 Depth=2
	s_or_b64 exec, exec, s[90:91]
                                        ; implicit-def: $vgpr5
.LBB4_961:                              ;   in Loop: Header=BB4_126 Depth=2
	s_andn2_saveexec_b64 s[20:21], s[88:89]
; %bb.962:                              ;   in Loop: Header=BB4_126 Depth=2
	v_or_b32_e32 v4, 0x7e, v5
; %bb.963:                              ;   in Loop: Header=BB4_126 Depth=2
	s_or_b64 exec, exec, s[20:21]
                                        ; implicit-def: $vgpr10
.LBB4_964:                              ;   in Loop: Header=BB4_126 Depth=2
	s_andn2_saveexec_b64 s[20:21], s[78:79]
; %bb.965:                              ;   in Loop: Header=BB4_126 Depth=2
	v_or_b32_sdwa v4, v10, s53 dst_sel:DWORD dst_unused:UNUSED_PAD src0_sel:BYTE_3 src1_sel:DWORD
; %bb.966:                              ;   in Loop: Header=BB4_126 Depth=2
	s_or_b64 exec, exec, s[20:21]
	v_lshrrev_b32_e32 v10, 16, v17
	v_cmp_ne_u16_sdwa s[78:79], v10, v53 src0_sel:BYTE_0 src1_sel:DWORD
	v_mov_b32_e32 v5, 0
	v_mov_b32_e32 v11, 0
	s_and_saveexec_b64 s[20:21], s[78:79]
	s_cbranch_execz .LBB4_972
; %bb.967:                              ;   in Loop: Header=BB4_126 Depth=2
	v_cmp_ne_u16_sdwa s[88:89], v10, s52 src0_sel:BYTE_0 src1_sel:DWORD
	v_bfrev_b32_e32 v11, 1
	s_and_saveexec_b64 s[78:79], s[88:89]
	s_cbranch_execz .LBB4_971
; %bb.968:                              ;   in Loop: Header=BB4_126 Depth=2
	v_bfe_u32 v14, v17, 16, 7
	v_cmp_ne_u32_e32 vcc, s53, v14
	v_mov_b32_e32 v11, 0x7f800001
	s_and_saveexec_b64 s[88:89], vcc
	s_cbranch_execz .LBB4_970
; %bb.969:                              ;   in Loop: Header=BB4_126 Depth=2
	v_and_b32_e32 v11, 7, v10
	v_lshrrev_b32_e32 v48, 3, v14
	v_cmp_gt_u32_e32 vcc, 8, v14
	v_ffbh_u32_e32 v14, v11
	v_min_u32_e32 v49, 32, v14
	v_subrev_u32_e32 v14, 28, v49
	v_lshlrev_b64 v[14:15], v14, v[10:11]
	v_sub_u32_e32 v15, 29, v49
	v_and_b32_e32 v14, 7, v14
	v_cndmask_b32_e32 v15, v48, v15, vcc
	v_cndmask_b32_e32 v11, v11, v14, vcc
	v_lshlrev_b32_e32 v10, 24, v10
	v_lshlrev_b32_e32 v11, 20, v11
	v_and_b32_e32 v10, 0x80000000, v10
	v_lshl_add_u32 v14, v15, 23, v50
	v_or3_b32 v11, v10, v14, v11
.LBB4_970:                              ;   in Loop: Header=BB4_126 Depth=2
	s_or_b64 exec, exec, s[88:89]
.LBB4_971:                              ;   in Loop: Header=BB4_126 Depth=2
	s_or_b64 exec, exec, s[78:79]
.LBB4_972:                              ;   in Loop: Header=BB4_126 Depth=2
	s_or_b64 exec, exec, s[20:21]
	v_lshrrev_b32_e32 v10, 16, v13
	v_cmp_ne_u16_sdwa s[78:79], v10, v53 src0_sel:BYTE_0 src1_sel:DWORD
	s_and_saveexec_b64 s[20:21], s[78:79]
	s_cbranch_execz .LBB4_978
; %bb.973:                              ;   in Loop: Header=BB4_126 Depth=2
	v_cmp_ne_u16_sdwa s[88:89], v10, s52 src0_sel:BYTE_0 src1_sel:DWORD
	v_bfrev_b32_e32 v5, 1
	s_and_saveexec_b64 s[78:79], s[88:89]
	s_cbranch_execz .LBB4_977
; %bb.974:                              ;   in Loop: Header=BB4_126 Depth=2
	v_bfe_u32 v14, v13, 16, 7
	v_cmp_ne_u32_e32 vcc, s53, v14
	v_mov_b32_e32 v5, 0x7f800001
	s_and_saveexec_b64 s[88:89], vcc
	s_cbranch_execz .LBB4_976
; %bb.975:                              ;   in Loop: Header=BB4_126 Depth=2
	v_and_b32_e32 v5, 7, v10
	v_lshrrev_b32_e32 v48, 3, v14
	v_cmp_gt_u32_e32 vcc, 8, v14
	v_ffbh_u32_e32 v14, v5
	v_min_u32_e32 v49, 32, v14
	v_subrev_u32_e32 v14, 28, v49
	v_lshlrev_b64 v[14:15], v14, v[10:11]
	v_sub_u32_e32 v10, 29, v49
	v_and_b32_e32 v14, 7, v14
	v_cndmask_b32_e32 v10, v48, v10, vcc
	v_cndmask_b32_e32 v5, v5, v14, vcc
	v_lshlrev_b32_e32 v14, 8, v13
	v_lshlrev_b32_e32 v5, 20, v5
	v_and_b32_e32 v14, 0x80000000, v14
	v_lshl_add_u32 v10, v10, 23, v50
	v_or3_b32 v5, v14, v10, v5
.LBB4_976:                              ;   in Loop: Header=BB4_126 Depth=2
	s_or_b64 exec, exec, s[88:89]
.LBB4_977:                              ;   in Loop: Header=BB4_126 Depth=2
	s_or_b64 exec, exec, s[78:79]
.LBB4_978:                              ;   in Loop: Header=BB4_126 Depth=2
	s_or_b64 exec, exec, s[20:21]
	v_add_f32_e32 v10, v11, v5
	v_and_b32_e32 v52, 0x7f800000, v10
	v_cmp_ne_u64_e32 vcc, s[56:57], v[52:53]
                                        ; implicit-def: $vgpr5
	s_and_saveexec_b64 s[20:21], vcc
	s_xor_b64 s[78:79], exec, s[20:21]
	s_cbranch_execz .LBB4_992
; %bb.979:                              ;   in Loop: Header=BB4_126 Depth=2
	v_and_b32_e32 v52, 0x7fffffff, v10
	v_cmp_gt_u64_e32 vcc, s[58:59], v[52:53]
	v_and_b32_sdwa v48, v10, s52 dst_sel:DWORD dst_unused:UNUSED_PAD src0_sel:BYTE_3 src1_sel:DWORD
                                        ; implicit-def: $vgpr5
	s_and_saveexec_b64 s[20:21], vcc
	s_xor_b64 s[88:89], exec, s[20:21]
	s_cbranch_execz .LBB4_989
; %bb.980:                              ;   in Loop: Header=BB4_126 Depth=2
	v_mov_b32_e32 v5, 0
	v_cmp_ne_u32_e32 vcc, 0, v10
	s_and_saveexec_b64 s[90:91], vcc
	s_cbranch_execz .LBB4_988
; %bb.981:                              ;   in Loop: Header=BB4_126 Depth=2
	v_bfe_u32 v5, v10, 23, 8
	v_and_b32_e32 v11, 0x7fffff, v10
	v_cmp_gt_u32_e64 s[20:21], s54, v5
	v_sub_u32_e32 v10, 0x79, v5
	v_cmp_eq_u32_e32 vcc, 0, v5
	v_cndmask_b32_e64 v10, 0, v10, s[20:21]
	v_mov_b32_e32 v15, 0x78
	v_cndmask_b32_e32 v49, v10, v15, vcc
	v_or_b32_e32 v14, 0x800000, v11
	v_add_u32_e32 v10, 20, v49
	v_cndmask_b32_e32 v52, v14, v11, vcc
	v_lshlrev_b64 v[10:11], v10, -1
	v_add_u32_e32 v14, 19, v49
	v_lshlrev_b64 v[14:15], v14, 1
	v_bfi_b32 v11, v11, 0, 0
	v_bfi_b32 v10, v10, 0, v52
	v_cmp_eq_u64_e64 s[20:21], v[10:11], v[14:15]
	v_lshrrev_b64 v[10:11], v49, v[52:53]
	v_mov_b32_e32 v15, v11
	v_mov_b32_e32 v14, v10
	s_and_saveexec_b64 s[92:93], s[20:21]
; %bb.982:                              ;   in Loop: Header=BB4_126 Depth=2
	v_bfe_u32 v11, v10, 20, 1
	v_add_co_u32_e64 v11, s[20:21], v10, v11
	v_add_co_u32_e64 v14, s[20:21], -1, v11
; %bb.983:                              ;   in Loop: Header=BB4_126 Depth=2
	s_or_b64 exec, exec, s[92:93]
	v_add_u32_e32 v5, 0xffffff81, v5
	v_mov_b32_e32 v11, 0xffffff82
	v_cndmask_b32_e32 v5, v5, v11, vcc
	v_lshrrev_b32_e32 v11, 23, v10
	v_add3_u32 v49, v49, v5, v11
	v_add_u32_e32 v15, 6, v49
	v_and_b32_e32 v5, 0xfffff, v14
	v_add_u32_e32 v52, v5, v10
	v_cmp_ne_u32_e32 vcc, 0, v15
                                        ; implicit-def: $vgpr10_vgpr11
                                        ; implicit-def: $vgpr5
	s_and_saveexec_b64 s[20:21], vcc
	s_xor_b64 s[20:21], exec, s[20:21]
; %bb.984:                              ;   in Loop: Header=BB4_126 Depth=2
	v_cmp_lt_u64_e32 vcc, s[60:61], v[52:53]
	v_add_u32_e32 v5, 7, v49
	v_cndmask_b32_e64 v10, 0, 1, vcc
	v_lshrrev_b64 v[10:11], v10, v[52:53]
	v_cndmask_b32_e32 v5, v15, v5, vcc
; %bb.985:                              ;   in Loop: Header=BB4_126 Depth=2
	s_andn2_saveexec_b64 s[20:21], s[20:21]
; %bb.986:                              ;   in Loop: Header=BB4_126 Depth=2
	v_mov_b32_e32 v10, v52
	v_bfe_u32 v5, v52, 23, 1
	v_mov_b32_e32 v11, v53
; %bb.987:                              ;   in Loop: Header=BB4_126 Depth=2
	s_or_b64 exec, exec, s[20:21]
	v_lshrrev_b64 v[10:11], 20, v[10:11]
	v_cmp_gt_i32_e32 vcc, 16, v5
	v_cndmask_b32_e32 v11, 0, v11, vcc
	v_cndmask_b32_e32 v10, 7, v10, vcc
	v_cmp_eq_u32_e32 vcc, 0, v5
	v_min_i32_e32 v5, 15, v5
	v_cmp_eq_u64_e64 s[20:21], 0, v[10:11]
	v_lshlrev_b32_e32 v5, 3, v5
	v_and_b32_e32 v5, 0xf8, v5
	v_and_or_b32 v5, v10, 7, v5
	s_and_b64 s[20:21], vcc, s[20:21]
	v_cndmask_b32_e64 v5, v5, 0, s[20:21]
	v_or_b32_e32 v5, v5, v48
.LBB4_988:                              ;   in Loop: Header=BB4_126 Depth=2
	s_or_b64 exec, exec, s[90:91]
                                        ; implicit-def: $vgpr48
.LBB4_989:                              ;   in Loop: Header=BB4_126 Depth=2
	s_andn2_saveexec_b64 s[20:21], s[88:89]
; %bb.990:                              ;   in Loop: Header=BB4_126 Depth=2
	v_or_b32_e32 v5, 0x7e, v48
; %bb.991:                              ;   in Loop: Header=BB4_126 Depth=2
	s_or_b64 exec, exec, s[20:21]
                                        ; implicit-def: $vgpr10
.LBB4_992:                              ;   in Loop: Header=BB4_126 Depth=2
	s_andn2_saveexec_b64 s[20:21], s[78:79]
; %bb.993:                              ;   in Loop: Header=BB4_126 Depth=2
	v_or_b32_sdwa v5, v10, s53 dst_sel:DWORD dst_unused:UNUSED_PAD src0_sel:BYTE_3 src1_sel:DWORD
; %bb.994:                              ;   in Loop: Header=BB4_126 Depth=2
	s_or_b64 exec, exec, s[20:21]
	v_cmp_lt_u64_e32 vcc, s[62:63], v[16:17]
	v_mov_b32_e32 v11, 0
	v_mov_b32_e32 v14, 0
	s_and_saveexec_b64 s[20:21], vcc
	s_cbranch_execz .LBB4_1000
; %bb.995:                              ;   in Loop: Header=BB4_126 Depth=2
	v_lshrrev_b32_e32 v10, 24, v17
	v_cmp_ne_u32_e32 vcc, s52, v10
	v_bfrev_b32_e32 v14, 1
	s_and_saveexec_b64 s[78:79], vcc
	s_cbranch_execz .LBB4_999
; %bb.996:                              ;   in Loop: Header=BB4_126 Depth=2
	v_bfe_u32 v15, v17, 24, 7
	v_cmp_ne_u32_e32 vcc, s53, v15
	v_mov_b32_e32 v14, 0x7f800001
	s_and_saveexec_b64 s[88:89], vcc
	s_cbranch_execz .LBB4_998
; %bb.997:                              ;   in Loop: Header=BB4_126 Depth=2
	v_and_b32_e32 v16, 7, v10
	v_ffbh_u32_e32 v14, v16
	v_min_u32_e32 v48, 32, v14
	v_subrev_u32_e32 v14, 28, v48
	v_lshrrev_b32_e32 v17, 3, v15
	v_cmp_gt_u32_e32 vcc, 8, v15
	v_lshlrev_b64 v[14:15], v14, v[10:11]
	v_sub_u32_e32 v15, 29, v48
	v_and_b32_e32 v14, 7, v14
	v_cndmask_b32_e32 v15, v17, v15, vcc
	v_cndmask_b32_e32 v14, v16, v14, vcc
	v_lshlrev_b32_e32 v10, 24, v10
	v_lshlrev_b32_e32 v14, 20, v14
	v_and_b32_e32 v10, 0x80000000, v10
	v_lshl_add_u32 v15, v15, 23, v50
	v_or3_b32 v14, v10, v15, v14
.LBB4_998:                              ;   in Loop: Header=BB4_126 Depth=2
	s_or_b64 exec, exec, s[88:89]
.LBB4_999:                              ;   in Loop: Header=BB4_126 Depth=2
	s_or_b64 exec, exec, s[78:79]
.LBB4_1000:                             ;   in Loop: Header=BB4_126 Depth=2
	s_or_b64 exec, exec, s[20:21]
	v_cmp_lt_u64_e32 vcc, s[62:63], v[12:13]
	s_and_saveexec_b64 s[20:21], vcc
	s_cbranch_execz .LBB4_1006
; %bb.1001:                             ;   in Loop: Header=BB4_126 Depth=2
	v_lshrrev_b32_e32 v10, 24, v13
	v_cmp_ne_u32_e32 vcc, s52, v10
	v_bfrev_b32_e32 v11, 1
	s_and_saveexec_b64 s[78:79], vcc
	s_cbranch_execz .LBB4_1005
; %bb.1002:                             ;   in Loop: Header=BB4_126 Depth=2
	v_bfe_u32 v12, v13, 24, 7
	v_cmp_ne_u32_e32 vcc, s53, v12
	v_mov_b32_e32 v11, 0x7f800001
	s_and_saveexec_b64 s[88:89], vcc
	s_cbranch_execz .LBB4_1004
; %bb.1003:                             ;   in Loop: Header=BB4_126 Depth=2
	v_and_b32_e32 v13, 7, v10
	v_ffbh_u32_e32 v11, v13
	v_min_u32_e32 v16, 32, v11
	v_subrev_u32_e32 v11, 28, v16
	v_lshrrev_b32_e32 v15, 3, v12
	v_cmp_gt_u32_e32 vcc, 8, v12
	v_lshlrev_b64 v[11:12], v11, v[10:11]
	v_sub_u32_e32 v12, 29, v16
	v_and_b32_e32 v11, 7, v11
	v_cndmask_b32_e32 v12, v15, v12, vcc
	v_cndmask_b32_e32 v11, v13, v11, vcc
	v_lshlrev_b32_e32 v10, 24, v10
	v_lshlrev_b32_e32 v11, 20, v11
	v_and_b32_e32 v10, 0x80000000, v10
	v_lshl_add_u32 v12, v12, 23, v50
	v_or3_b32 v11, v10, v12, v11
.LBB4_1004:                             ;   in Loop: Header=BB4_126 Depth=2
	s_or_b64 exec, exec, s[88:89]
.LBB4_1005:                             ;   in Loop: Header=BB4_126 Depth=2
	s_or_b64 exec, exec, s[78:79]
.LBB4_1006:                             ;   in Loop: Header=BB4_126 Depth=2
	s_or_b64 exec, exec, s[20:21]
	v_add_f32_e32 v11, v14, v11
	v_and_b32_e32 v52, 0x7f800000, v11
	v_cmp_ne_u64_e32 vcc, s[56:57], v[52:53]
                                        ; implicit-def: $vgpr10
	s_and_saveexec_b64 s[20:21], vcc
	s_xor_b64 s[78:79], exec, s[20:21]
	s_cbranch_execz .LBB4_1020
; %bb.1007:                             ;   in Loop: Header=BB4_126 Depth=2
	v_and_b32_e32 v52, 0x7fffffff, v11
	v_cmp_gt_u64_e32 vcc, s[58:59], v[52:53]
	v_and_b32_sdwa v13, v11, s52 dst_sel:DWORD dst_unused:UNUSED_PAD src0_sel:BYTE_3 src1_sel:DWORD
                                        ; implicit-def: $vgpr10
	s_and_saveexec_b64 s[20:21], vcc
	s_xor_b64 s[88:89], exec, s[20:21]
	s_cbranch_execz .LBB4_1017
; %bb.1008:                             ;   in Loop: Header=BB4_126 Depth=2
	v_mov_b32_e32 v10, 0
	v_cmp_ne_u32_e32 vcc, 0, v11
	s_and_saveexec_b64 s[90:91], vcc
	s_cbranch_execz .LBB4_1016
; %bb.1009:                             ;   in Loop: Header=BB4_126 Depth=2
	v_bfe_u32 v14, v11, 23, 8
	v_and_b32_e32 v10, 0x7fffff, v11
	v_cmp_gt_u32_e64 s[20:21], s54, v14
	v_sub_u32_e32 v11, 0x79, v14
	v_cmp_eq_u32_e32 vcc, 0, v14
	v_cndmask_b32_e64 v11, 0, v11, s[20:21]
	v_mov_b32_e32 v15, 0x78
	v_or_b32_e32 v12, 0x800000, v10
	v_cndmask_b32_e32 v15, v11, v15, vcc
	v_cndmask_b32_e32 v52, v12, v10, vcc
	v_add_u32_e32 v10, 20, v15
	v_lshlrev_b64 v[10:11], v10, -1
	v_add_u32_e32 v12, 19, v15
	v_lshlrev_b64 v[16:17], v12, 1
	v_bfi_b32 v11, v11, 0, 0
	v_bfi_b32 v10, v10, 0, v52
	v_cmp_eq_u64_e64 s[20:21], v[10:11], v[16:17]
	v_lshrrev_b64 v[10:11], v15, v[52:53]
	v_mov_b32_e32 v12, v11
	v_mov_b32_e32 v11, v10
	s_and_saveexec_b64 s[92:93], s[20:21]
; %bb.1010:                             ;   in Loop: Header=BB4_126 Depth=2
	v_bfe_u32 v11, v10, 20, 1
	v_add_co_u32_e64 v11, s[20:21], v10, v11
	v_add_co_u32_e64 v11, s[20:21], -1, v11
; %bb.1011:                             ;   in Loop: Header=BB4_126 Depth=2
	s_or_b64 exec, exec, s[92:93]
	v_add_u32_e32 v12, 0xffffff81, v14
	v_mov_b32_e32 v14, 0xffffff82
	v_cndmask_b32_e32 v12, v12, v14, vcc
	v_lshrrev_b32_e32 v14, 23, v10
	v_add3_u32 v15, v15, v12, v14
	v_add_u32_e32 v14, 6, v15
	v_and_b32_e32 v11, 0xfffff, v11
	v_add_u32_e32 v52, v11, v10
	v_cmp_ne_u32_e32 vcc, 0, v14
                                        ; implicit-def: $vgpr10_vgpr11
                                        ; implicit-def: $vgpr12
	s_and_saveexec_b64 s[20:21], vcc
	s_xor_b64 s[20:21], exec, s[20:21]
; %bb.1012:                             ;   in Loop: Header=BB4_126 Depth=2
	v_cmp_lt_u64_e32 vcc, s[60:61], v[52:53]
	v_add_u32_e32 v10, 7, v15
	v_cndmask_b32_e32 v12, v14, v10, vcc
	v_cndmask_b32_e64 v10, 0, 1, vcc
	v_lshrrev_b64 v[10:11], v10, v[52:53]
; %bb.1013:                             ;   in Loop: Header=BB4_126 Depth=2
	s_andn2_saveexec_b64 s[20:21], s[20:21]
; %bb.1014:                             ;   in Loop: Header=BB4_126 Depth=2
	v_mov_b32_e32 v10, v52
	v_bfe_u32 v12, v52, 23, 1
	v_mov_b32_e32 v11, v53
; %bb.1015:                             ;   in Loop: Header=BB4_126 Depth=2
	s_or_b64 exec, exec, s[20:21]
	v_lshrrev_b64 v[10:11], 20, v[10:11]
	v_cmp_gt_i32_e32 vcc, 16, v12
	v_cndmask_b32_e32 v11, 0, v11, vcc
	v_cndmask_b32_e32 v10, 7, v10, vcc
	v_cmp_eq_u64_e64 s[20:21], 0, v[10:11]
	v_min_i32_e32 v11, 15, v12
	v_lshlrev_b32_e32 v11, 3, v11
	v_cmp_eq_u32_e32 vcc, 0, v12
	v_and_b32_e32 v11, 0xf8, v11
	v_and_or_b32 v10, v10, 7, v11
	s_and_b64 s[20:21], vcc, s[20:21]
	v_cndmask_b32_e64 v10, v10, 0, s[20:21]
	v_or_b32_e32 v10, v10, v13
.LBB4_1016:                             ;   in Loop: Header=BB4_126 Depth=2
	s_or_b64 exec, exec, s[90:91]
                                        ; implicit-def: $vgpr13
.LBB4_1017:                             ;   in Loop: Header=BB4_126 Depth=2
	s_andn2_saveexec_b64 s[20:21], s[88:89]
; %bb.1018:                             ;   in Loop: Header=BB4_126 Depth=2
	v_or_b32_e32 v10, 0x7e, v13
; %bb.1019:                             ;   in Loop: Header=BB4_126 Depth=2
	s_or_b64 exec, exec, s[20:21]
                                        ; implicit-def: $vgpr11
.LBB4_1020:                             ;   in Loop: Header=BB4_126 Depth=2
	s_andn2_saveexec_b64 s[20:21], s[78:79]
	s_cbranch_execz .LBB4_125
; %bb.1021:                             ;   in Loop: Header=BB4_126 Depth=2
	v_or_b32_sdwa v10, v11, s53 dst_sel:DWORD dst_unused:UNUSED_PAD src0_sel:BYTE_3 src1_sel:DWORD
	s_branch .LBB4_125
.LBB4_1022:                             ;   in Loop: Header=BB4_49 Depth=1
	s_or_b64 exec, exec, s[76:77]
	buffer_load_dword v57, off, s[0:3], s33 offset:164 ; 4-byte Folded Reload
	buffer_load_dword v59, off, s[0:3], s33 offset:212 ; 4-byte Folded Reload
	;; [unrolled: 1-line block ×3, first 2 shown]
	v_mov_b32_e32 v45, 0x7f800001
	v_bfrev_b32_e32 v56, 1
.LBB4_1023:                             ;   in Loop: Header=BB4_49 Depth=1
	s_or_b64 exec, exec, s[22:23]
	s_waitcnt vmcnt(2)
	v_and_b32_e32 v4, 0x3ffff800, v57
	v_cmp_ne_u32_e32 vcc, v57, v4
	s_mov_b64 s[20:21], 0
	v_mov_b32_e32 v14, 0
                                        ; implicit-def: $vgpr2
                                        ; implicit-def: $vgpr40
                                        ; implicit-def: $vgpr0
	s_and_saveexec_b64 s[76:77], vcc
	s_cbranch_execz .LBB4_1479
; %bb.1024:                             ;   in Loop: Header=BB4_49 Depth=1
	buffer_load_dword v2, off, s[0:3], s33 offset:220 ; 4-byte Folded Reload
	v_lshlrev_b32_e32 v0, 6, v42
	v_and_b32_e32 v1, 0x7ff, v57
	v_bfe_u32 v10, v57, 10, 1
	s_waitcnt vmcnt(0)
	v_sub_u32_e32 v0, v2, v0
	v_ashrrev_i32_e32 v2, 31, v0
	v_lshrrev_b32_e32 v2, 26, v2
	v_add_u32_e32 v2, v0, v2
	v_ashrrev_i32_e32 v5, 6, v2
	v_and_b32_e32 v2, 0xffffffc0, v2
	v_sub_u32_e32 v26, v0, v2
	v_lshlrev_b32_e32 v0, 4, v26
	v_lshl_add_u32 v0, v5, 10, v0
	v_sub_u32_e32 v2, v1, v0
	v_and_b32_e32 v1, 0x3ff, v57
	v_cmp_lt_u32_e32 vcc, 15, v1
	v_addc_co_u32_e64 v10, s[20:21], 0, v10, vcc
	v_sub_u32_e32 v27, v10, v5
	v_cmp_lt_i32_e64 s[20:21], 15, v2
	s_and_saveexec_b64 s[78:79], s[20:21]
	s_cbranch_execz .LBB4_1476
; %bb.1025:                             ;   in Loop: Header=BB4_49 Depth=1
	v_add_u32_e32 v0, v0, v4
	s_trap 2
	ds_read_b64 v[4:5], v0
	buffer_load_dword v11, off, s[0:3], s33 offset:172 ; 4-byte Folded Reload
	buffer_load_dword v12, off, s[0:3], s33 offset:176 ; 4-byte Folded Reload
	v_ashrrev_i32_e32 v10, 31, v0
	s_mov_b64 s[88:89], 0
	s_waitcnt vmcnt(1)
	v_add_co_u32_e64 v18, s[20:21], v0, v11
	s_waitcnt vmcnt(0)
	v_addc_co_u32_e64 v19, s[20:21], v10, v12, s[20:21]
	s_waitcnt lgkmcnt(0)
	v_add_co_u32_e64 v20, s[20:21], v4, v0
	v_addc_co_u32_e64 v21, s[20:21], v5, v10, s[20:21]
	v_add_co_u32_e64 v22, s[20:21], v0, v59
	v_addc_co_u32_e64 v23, s[20:21], v10, v60, s[20:21]
	s_branch .LBB4_1027
.LBB4_1026:                             ;   in Loop: Header=BB4_1027 Depth=2
	s_or_b64 exec, exec, s[20:21]
	v_lshl_or_b32 v0, v31, 8, v0
	v_lshlrev_b32_e32 v11, 16, v35
	v_lshlrev_b32_e32 v12, 24, v41
	v_or3_b32 v12, v0, v11, v12
	v_lshl_or_b32 v0, v29, 8, v28
	v_lshlrev_b32_e32 v11, 16, v30
	v_lshlrev_b32_e32 v13, 24, v34
	v_or3_b32 v11, v0, v11, v13
	;; [unrolled: 4-line block ×3, first 2 shown]
	v_lshlrev_b32_e32 v0, 24, v10
	v_lshlrev_b32_e32 v5, 16, v5
	v_lshl_or_b32 v4, v4, 8, v24
	v_or3_b32 v14, v4, v5, v0
	buffer_load_dword v0, off, s[0:3], s33 offset:76 ; 4-byte Folded Reload
	s_waitcnt vmcnt(0)
	v_add_co_u32_e64 v18, s[20:21], v18, v0
	v_addc_co_u32_e64 v19, s[20:21], 0, v19, s[20:21]
	v_add_co_u32_e64 v20, s[20:21], v20, v0
	v_addc_co_u32_e64 v21, s[20:21], 0, v21, s[20:21]
	global_store_dwordx4 v[22:23], v[11:14], off glc slc
	v_add_co_u32_e64 v22, s[20:21], v22, v0
	v_sub_u32_e32 v2, v2, v0
	buffer_load_dword v0, off, s[0:3], s33 offset:68 ; 4-byte Folded Reload
	v_addc_co_u32_e64 v23, s[20:21], 0, v23, s[20:21]
	v_cmp_gt_i32_e64 s[20:21], 16, v2
	s_or_b64 s[88:89], s[20:21], s[88:89]
	s_waitcnt vmcnt(0)
	v_sub_u32_e32 v27, v27, v0
	s_andn2_b64 exec, exec, s[88:89]
	s_cbranch_execz .LBB4_1475
.LBB4_1027:                             ;   Parent Loop BB4_49 Depth=1
                                        ; =>  This Inner Loop Header: Depth=2
	global_load_dwordx4 v[14:17], v[18:19], off glc slc
	global_load_dwordx4 v[10:13], v[20:21], off glc slc
	v_mov_b32_e32 v0, 0
	s_waitcnt vmcnt(1)
	v_cmp_ne_u16_sdwa s[20:21], v14, v53 src0_sel:BYTE_0 src1_sel:DWORD
	s_and_saveexec_b64 s[22:23], s[20:21]
	s_cbranch_execz .LBB4_1033
; %bb.1028:                             ;   in Loop: Header=BB4_1027 Depth=2
	v_cmp_ne_u16_sdwa s[20:21], v14, s52 src0_sel:BYTE_0 src1_sel:DWORD
	v_bfrev_b32_e32 v0, 1
	s_and_saveexec_b64 s[90:91], s[20:21]
	s_cbranch_execz .LBB4_1032
; %bb.1029:                             ;   in Loop: Header=BB4_1027 Depth=2
	v_and_b32_e32 v4, 0x7f, v14
	v_cmp_ne_u32_e64 s[20:21], s53, v4
	v_mov_b32_e32 v0, 0x7f800001
	s_and_saveexec_b64 s[92:93], s[20:21]
	s_cbranch_execz .LBB4_1031
; %bb.1030:                             ;   in Loop: Header=BB4_1027 Depth=2
	v_and_b32_e32 v0, 7, v14
	v_ffbh_u32_e32 v0, v0
	v_min_u32_e32 v0, 32, v0
	v_lshrrev_b32_e32 v5, 3, v4
	v_cmp_gt_u32_e64 s[20:21], 8, v4
	v_subrev_u32_e32 v4, 28, v0
	v_sub_u32_e32 v0, 29, v0
	v_cndmask_b32_e64 v4, 0, v4, s[20:21]
	v_cndmask_b32_e64 v0, v5, v0, s[20:21]
	v_lshlrev_b64 v[4:5], v4, v[14:15]
	v_lshlrev_b32_e32 v5, 24, v14
	v_lshlrev_b32_e32 v4, 20, v4
	v_and_b32_e32 v4, 0x700000, v4
	v_and_b32_e32 v5, 0x80000000, v5
	v_lshl_add_u32 v0, v0, 23, v50
	v_or3_b32 v0, v5, v0, v4
.LBB4_1031:                             ;   in Loop: Header=BB4_1027 Depth=2
	s_or_b64 exec, exec, s[92:93]
.LBB4_1032:                             ;   in Loop: Header=BB4_1027 Depth=2
	s_or_b64 exec, exec, s[90:91]
.LBB4_1033:                             ;   in Loop: Header=BB4_1027 Depth=2
	s_or_b64 exec, exec, s[22:23]
	s_waitcnt vmcnt(0)
	v_cmp_gt_i16_sdwa s[22:23], v10, s53 src0_sel:BYTE_0 src1_sel:DWORD
	s_mov_b64 s[20:21], 0
	s_and_saveexec_b64 s[90:91], s[22:23]
	s_xor_b64 s[22:23], exec, s[90:91]
	s_cbranch_execz .LBB4_1455
; %bb.1034:                             ;   in Loop: Header=BB4_1027 Depth=2
	v_cmp_eq_u16_sdwa s[92:93], v10, s52 src0_sel:BYTE_0 src1_sel:DWORD
	s_mov_b64 s[20:21], -1
	s_and_saveexec_b64 s[90:91], s[92:93]
; %bb.1035:                             ;   in Loop: Header=BB4_1027 Depth=2
	s_xor_b64 s[20:21], exec, -1
; %bb.1036:                             ;   in Loop: Header=BB4_1027 Depth=2
	s_or_b64 exec, exec, s[90:91]
	s_and_b64 s[20:21], s[20:21], exec
	s_or_saveexec_b64 s[22:23], s[22:23]
	v_bfrev_b32_e32 v4, 1
	s_xor_b64 exec, exec, s[22:23]
	s_cbranch_execnz .LBB4_1456
.LBB4_1037:                             ;   in Loop: Header=BB4_1027 Depth=2
	s_or_b64 exec, exec, s[22:23]
	s_and_saveexec_b64 s[22:23], s[20:21]
	s_cbranch_execz .LBB4_1039
.LBB4_1038:                             ;   in Loop: Header=BB4_1027 Depth=2
	v_and_b32_e32 v4, 7, v10
	v_ffbh_u32_e32 v4, v4
	v_and_b32_e32 v24, 0x7f, v10
	v_min_u32_e32 v4, 32, v4
	v_bfe_u32 v5, v10, 3, 4
	v_subrev_u32_e32 v25, 28, v4
	v_sub_u32_e32 v4, 29, v4
	v_cmp_gt_u32_e64 s[20:21], 8, v24
	v_cndmask_b32_e64 v28, v5, v4, s[20:21]
	v_cndmask_b32_e64 v4, 0, v25, s[20:21]
	v_lshlrev_b64 v[4:5], v4, v[10:11]
	v_lshlrev_b32_e32 v5, 24, v10
	v_lshlrev_b32_e32 v4, 20, v4
	v_and_b32_e32 v4, 0x700000, v4
	v_and_b32_e32 v5, 0x80000000, v5
	v_lshl_add_u32 v25, v28, 23, v50
	v_or3_b32 v4, v5, v25, v4
	v_cmp_ne_u32_e64 s[20:21], s53, v24
	v_cndmask_b32_e64 v4, v45, v4, s[20:21]
.LBB4_1039:                             ;   in Loop: Header=BB4_1027 Depth=2
	s_or_b64 exec, exec, s[22:23]
	v_add_f32_e32 v4, v0, v4
	v_and_b32_e32 v52, 0x7f800000, v4
	v_cmp_ne_u64_e64 s[20:21], s[56:57], v[52:53]
                                        ; implicit-def: $vgpr28
	s_and_saveexec_b64 s[22:23], s[20:21]
	s_xor_b64 s[90:91], exec, s[22:23]
	s_cbranch_execz .LBB4_1053
; %bb.1040:                             ;   in Loop: Header=BB4_1027 Depth=2
	v_and_b32_e32 v52, 0x7fffffff, v4
	v_cmp_gt_u64_e64 s[20:21], s[58:59], v[52:53]
	v_and_b32_sdwa v0, v4, s52 dst_sel:DWORD dst_unused:UNUSED_PAD src0_sel:BYTE_3 src1_sel:DWORD
                                        ; implicit-def: $vgpr28
	s_and_saveexec_b64 s[22:23], s[20:21]
	s_xor_b64 s[92:93], exec, s[22:23]
	s_cbranch_execz .LBB4_1050
; %bb.1041:                             ;   in Loop: Header=BB4_1027 Depth=2
	v_mov_b32_e32 v28, 0
	v_cmp_ne_u32_e64 s[20:21], 0, v4
	s_and_saveexec_b64 s[94:95], s[20:21]
	s_cbranch_execz .LBB4_1049
; %bb.1042:                             ;   in Loop: Header=BB4_1027 Depth=2
	v_and_b32_e32 v24, 0x7fffff, v4
	v_bfe_u32 v4, v4, 23, 8
	v_cmp_gt_u32_e64 s[22:23], s54, v4
	v_sub_u32_e32 v5, 0x79, v4
	v_cmp_eq_u32_e64 s[20:21], 0, v4
	v_cndmask_b32_e64 v5, 0, v5, s[22:23]
	v_mov_b32_e32 v28, 0x78
	v_or_b32_e32 v25, 0x800000, v24
	v_cndmask_b32_e64 v5, v5, v28, s[20:21]
	v_cndmask_b32_e64 v52, v25, v24, s[20:21]
	v_add_u32_e32 v24, 20, v5
	v_lshlrev_b64 v[24:25], v24, -1
	v_add_u32_e32 v28, 19, v5
	v_lshlrev_b64 v[28:29], v28, 1
	v_bfi_b32 v25, v25, 0, 0
	v_bfi_b32 v24, v24, 0, v52
	v_cmp_eq_u64_e64 s[22:23], v[24:25], v[28:29]
	v_lshrrev_b64 v[24:25], v5, v[52:53]
	v_mov_b32_e32 v47, v25
	v_mov_b32_e32 v46, v24
	s_and_saveexec_b64 s[30:31], s[22:23]
; %bb.1043:                             ;   in Loop: Header=BB4_1027 Depth=2
	v_bfe_u32 v25, v24, 20, 1
	v_add_co_u32_e64 v25, s[22:23], v24, v25
	v_add_co_u32_e64 v46, s[22:23], -1, v25
; %bb.1044:                             ;   in Loop: Header=BB4_1027 Depth=2
	s_or_b64 exec, exec, s[30:31]
	v_add_u32_e32 v4, 0xffffff81, v4
	v_mov_b32_e32 v25, 0xffffff82
	v_cndmask_b32_e64 v4, v4, v25, s[20:21]
	v_lshrrev_b32_e32 v25, 23, v24
	v_add3_u32 v28, v5, v4, v25
	v_add_u32_e32 v5, 6, v28
	v_and_b32_e32 v4, 0xfffff, v46
	v_add_u32_e32 v52, v4, v24
	v_cmp_ne_u32_e64 s[20:21], 0, v5
                                        ; implicit-def: $vgpr24_vgpr25
                                        ; implicit-def: $vgpr4
	s_and_saveexec_b64 s[22:23], s[20:21]
	s_xor_b64 s[22:23], exec, s[22:23]
; %bb.1045:                             ;   in Loop: Header=BB4_1027 Depth=2
	v_cmp_lt_u64_e64 s[20:21], s[60:61], v[52:53]
	v_add_u32_e32 v4, 7, v28
	v_cndmask_b32_e64 v4, v5, v4, s[20:21]
	v_cndmask_b32_e64 v5, 0, 1, s[20:21]
	v_lshrrev_b64 v[24:25], v5, v[52:53]
; %bb.1046:                             ;   in Loop: Header=BB4_1027 Depth=2
	s_andn2_saveexec_b64 s[20:21], s[22:23]
; %bb.1047:                             ;   in Loop: Header=BB4_1027 Depth=2
	v_mov_b32_e32 v24, v52
	v_bfe_u32 v4, v52, 23, 1
	v_mov_b32_e32 v25, v53
; %bb.1048:                             ;   in Loop: Header=BB4_1027 Depth=2
	s_or_b64 exec, exec, s[20:21]
	v_lshrrev_b64 v[24:25], 20, v[24:25]
	v_cmp_gt_i32_e64 s[20:21], 16, v4
	v_cndmask_b32_e64 v25, 0, v25, s[20:21]
	v_cndmask_b32_e64 v24, 7, v24, s[20:21]
	v_cmp_eq_u32_e64 s[20:21], 0, v4
	v_min_i32_e32 v4, 15, v4
	v_cmp_eq_u64_e64 s[22:23], 0, v[24:25]
	v_lshlrev_b32_e32 v4, 3, v4
	v_and_b32_e32 v4, 0xf8, v4
	v_and_or_b32 v4, v24, 7, v4
	s_and_b64 s[20:21], s[20:21], s[22:23]
	v_cndmask_b32_e64 v4, v4, 0, s[20:21]
	v_or_b32_e32 v28, v4, v0
.LBB4_1049:                             ;   in Loop: Header=BB4_1027 Depth=2
	s_or_b64 exec, exec, s[94:95]
                                        ; implicit-def: $vgpr0
.LBB4_1050:                             ;   in Loop: Header=BB4_1027 Depth=2
	s_andn2_saveexec_b64 s[20:21], s[92:93]
; %bb.1051:                             ;   in Loop: Header=BB4_1027 Depth=2
	v_or_b32_e32 v28, 0x7e, v0
; %bb.1052:                             ;   in Loop: Header=BB4_1027 Depth=2
	s_or_b64 exec, exec, s[20:21]
                                        ; implicit-def: $vgpr4
.LBB4_1053:                             ;   in Loop: Header=BB4_1027 Depth=2
	s_andn2_saveexec_b64 s[20:21], s[90:91]
; %bb.1054:                             ;   in Loop: Header=BB4_1027 Depth=2
	v_or_b32_sdwa v28, v4, s53 dst_sel:DWORD dst_unused:UNUSED_PAD src0_sel:BYTE_3 src1_sel:DWORD
; %bb.1055:                             ;   in Loop: Header=BB4_1027 Depth=2
	s_or_b64 exec, exec, s[20:21]
	v_lshrrev_b16_e32 v24, 8, v14
	v_cmp_ne_u16_e64 s[20:21], 0, v24
	v_mov_b32_e32 v0, 0
	s_and_saveexec_b64 s[22:23], s[20:21]
	s_cbranch_execz .LBB4_1061
; %bb.1056:                             ;   in Loop: Header=BB4_1027 Depth=2
	v_cmp_ne_u16_e64 s[20:21], s52, v24
	v_bfrev_b32_e32 v0, 1
	s_and_saveexec_b64 s[90:91], s[20:21]
	s_cbranch_execz .LBB4_1060
; %bb.1057:                             ;   in Loop: Header=BB4_1027 Depth=2
	v_and_b32_e32 v4, 0x7f, v24
	v_cmp_ne_u32_e64 s[20:21], s53, v4
	v_mov_b32_e32 v0, 0x7f800001
	s_and_saveexec_b64 s[92:93], s[20:21]
	s_cbranch_execz .LBB4_1059
; %bb.1058:                             ;   in Loop: Header=BB4_1027 Depth=2
	v_and_b32_e32 v0, 7, v24
	v_lshrrev_b32_e32 v25, 3, v4
	v_cmp_gt_u32_e64 s[20:21], 8, v4
	v_ffbh_u32_e32 v4, v0
	v_min_u32_e32 v29, 32, v4
	v_subrev_u32_e32 v4, 28, v29
	v_lshlrev_b64 v[4:5], v4, v[24:25]
	v_sub_u32_e32 v5, 29, v29
	v_and_b32_e32 v4, 7, v4
	v_cndmask_b32_e64 v5, v25, v5, s[20:21]
	v_cndmask_b32_e64 v0, v0, v4, s[20:21]
	v_lshlrev_b32_e32 v4, 16, v14
	v_lshlrev_b32_e32 v0, 20, v0
	v_and_b32_e32 v4, 0x80000000, v4
	v_lshl_add_u32 v5, v5, 23, v50
	v_or3_b32 v0, v4, v5, v0
.LBB4_1059:                             ;   in Loop: Header=BB4_1027 Depth=2
	s_or_b64 exec, exec, s[92:93]
.LBB4_1060:                             ;   in Loop: Header=BB4_1027 Depth=2
	s_or_b64 exec, exec, s[90:91]
.LBB4_1061:                             ;   in Loop: Header=BB4_1027 Depth=2
	s_or_b64 exec, exec, s[22:23]
	v_lshrrev_b16_e32 v52, 8, v10
	v_cmp_lt_i16_e64 s[20:21], s53, v52
	s_mov_b64 s[22:23], 0
	s_and_saveexec_b64 s[90:91], s[20:21]
	s_xor_b64 s[90:91], exec, s[90:91]
	s_cbranch_execz .LBB4_1457
; %bb.1062:                             ;   in Loop: Header=BB4_1027 Depth=2
	v_cmp_eq_u16_e64 s[20:21], s52, v52
	s_mov_b64 s[22:23], -1
	s_and_saveexec_b64 s[92:93], s[20:21]
; %bb.1063:                             ;   in Loop: Header=BB4_1027 Depth=2
	s_xor_b64 s[22:23], exec, -1
; %bb.1064:                             ;   in Loop: Header=BB4_1027 Depth=2
	s_or_b64 exec, exec, s[92:93]
	s_and_b64 s[22:23], s[22:23], exec
	s_or_saveexec_b64 s[90:91], s[90:91]
	v_bfrev_b32_e32 v4, 1
	s_xor_b64 exec, exec, s[90:91]
	s_cbranch_execnz .LBB4_1458
.LBB4_1065:                             ;   in Loop: Header=BB4_1027 Depth=2
	s_or_b64 exec, exec, s[90:91]
	s_and_saveexec_b64 s[90:91], s[22:23]
	s_cbranch_execz .LBB4_1067
.LBB4_1066:                             ;   in Loop: Header=BB4_1027 Depth=2
	v_and_b32_e32 v24, 7, v52
	v_ffbh_u32_e32 v4, v24
	v_min_u32_e32 v30, 32, v4
	v_subrev_u32_e32 v4, 28, v30
	v_lshlrev_b64 v[4:5], v4, v[52:53]
	v_and_b32_e32 v25, 0x7f, v52
	v_bfe_u32 v29, v52, 3, 4
	v_sub_u32_e32 v5, 29, v30
	v_and_b32_e32 v4, 7, v4
	v_cmp_gt_u32_e64 s[20:21], 8, v25
	v_cndmask_b32_e64 v5, v29, v5, s[20:21]
	v_cndmask_b32_e64 v4, v24, v4, s[20:21]
	v_lshlrev_b32_e32 v24, 24, v52
	v_lshlrev_b32_e32 v4, 20, v4
	v_and_b32_e32 v24, 0x80000000, v24
	v_lshl_add_u32 v5, v5, 23, v50
	v_or3_b32 v4, v24, v5, v4
	v_cmp_ne_u32_e64 s[20:21], s53, v25
	v_cndmask_b32_e64 v4, v45, v4, s[20:21]
.LBB4_1067:                             ;   in Loop: Header=BB4_1027 Depth=2
	s_or_b64 exec, exec, s[90:91]
	v_add_f32_e32 v4, v0, v4
	v_and_b32_e32 v52, 0x7f800000, v4
	v_cmp_ne_u64_e64 s[20:21], s[56:57], v[52:53]
                                        ; implicit-def: $vgpr29
	s_and_saveexec_b64 s[22:23], s[20:21]
	s_xor_b64 s[90:91], exec, s[22:23]
	s_cbranch_execz .LBB4_1081
; %bb.1068:                             ;   in Loop: Header=BB4_1027 Depth=2
	v_and_b32_e32 v52, 0x7fffffff, v4
	v_cmp_gt_u64_e64 s[20:21], s[58:59], v[52:53]
	v_and_b32_sdwa v0, v4, s52 dst_sel:DWORD dst_unused:UNUSED_PAD src0_sel:BYTE_3 src1_sel:DWORD
                                        ; implicit-def: $vgpr29
	s_and_saveexec_b64 s[22:23], s[20:21]
	s_xor_b64 s[92:93], exec, s[22:23]
	s_cbranch_execz .LBB4_1078
; %bb.1069:                             ;   in Loop: Header=BB4_1027 Depth=2
	v_mov_b32_e32 v29, 0
	v_cmp_ne_u32_e64 s[20:21], 0, v4
	s_and_saveexec_b64 s[94:95], s[20:21]
	s_cbranch_execz .LBB4_1077
; %bb.1070:                             ;   in Loop: Header=BB4_1027 Depth=2
	v_and_b32_e32 v24, 0x7fffff, v4
	v_bfe_u32 v4, v4, 23, 8
	v_cmp_gt_u32_e64 s[22:23], s54, v4
	v_sub_u32_e32 v5, 0x79, v4
	v_cmp_eq_u32_e64 s[20:21], 0, v4
	v_cndmask_b32_e64 v5, 0, v5, s[22:23]
	v_mov_b32_e32 v29, 0x78
	v_or_b32_e32 v25, 0x800000, v24
	v_cndmask_b32_e64 v5, v5, v29, s[20:21]
	v_cndmask_b32_e64 v52, v25, v24, s[20:21]
	v_add_u32_e32 v24, 20, v5
	v_lshlrev_b64 v[24:25], v24, -1
	v_add_u32_e32 v29, 19, v5
	v_lshlrev_b64 v[29:30], v29, 1
	v_bfi_b32 v25, v25, 0, 0
	v_bfi_b32 v24, v24, 0, v52
	v_cmp_eq_u64_e64 s[22:23], v[24:25], v[29:30]
	v_lshrrev_b64 v[24:25], v5, v[52:53]
	v_mov_b32_e32 v47, v25
	v_mov_b32_e32 v46, v24
	s_and_saveexec_b64 s[30:31], s[22:23]
; %bb.1071:                             ;   in Loop: Header=BB4_1027 Depth=2
	v_bfe_u32 v25, v24, 20, 1
	v_add_co_u32_e64 v25, s[22:23], v24, v25
	v_add_co_u32_e64 v46, s[22:23], -1, v25
; %bb.1072:                             ;   in Loop: Header=BB4_1027 Depth=2
	s_or_b64 exec, exec, s[30:31]
	v_add_u32_e32 v4, 0xffffff81, v4
	v_mov_b32_e32 v25, 0xffffff82
	v_cndmask_b32_e64 v4, v4, v25, s[20:21]
	v_lshrrev_b32_e32 v25, 23, v24
	v_add3_u32 v29, v5, v4, v25
	v_add_u32_e32 v5, 6, v29
	v_and_b32_e32 v4, 0xfffff, v46
	v_add_u32_e32 v52, v4, v24
	v_cmp_ne_u32_e64 s[20:21], 0, v5
                                        ; implicit-def: $vgpr24_vgpr25
                                        ; implicit-def: $vgpr4
	s_and_saveexec_b64 s[22:23], s[20:21]
	s_xor_b64 s[22:23], exec, s[22:23]
; %bb.1073:                             ;   in Loop: Header=BB4_1027 Depth=2
	v_cmp_lt_u64_e64 s[20:21], s[60:61], v[52:53]
	v_add_u32_e32 v4, 7, v29
	v_cndmask_b32_e64 v4, v5, v4, s[20:21]
	v_cndmask_b32_e64 v5, 0, 1, s[20:21]
	v_lshrrev_b64 v[24:25], v5, v[52:53]
; %bb.1074:                             ;   in Loop: Header=BB4_1027 Depth=2
	s_andn2_saveexec_b64 s[20:21], s[22:23]
; %bb.1075:                             ;   in Loop: Header=BB4_1027 Depth=2
	v_mov_b32_e32 v24, v52
	v_bfe_u32 v4, v52, 23, 1
	v_mov_b32_e32 v25, v53
; %bb.1076:                             ;   in Loop: Header=BB4_1027 Depth=2
	s_or_b64 exec, exec, s[20:21]
	v_lshrrev_b64 v[24:25], 20, v[24:25]
	v_cmp_gt_i32_e64 s[20:21], 16, v4
	v_cndmask_b32_e64 v25, 0, v25, s[20:21]
	v_cndmask_b32_e64 v24, 7, v24, s[20:21]
	v_cmp_eq_u32_e64 s[20:21], 0, v4
	v_min_i32_e32 v4, 15, v4
	v_cmp_eq_u64_e64 s[22:23], 0, v[24:25]
	v_lshlrev_b32_e32 v4, 3, v4
	v_and_b32_e32 v4, 0xf8, v4
	v_and_or_b32 v4, v24, 7, v4
	s_and_b64 s[20:21], s[20:21], s[22:23]
	v_cndmask_b32_e64 v4, v4, 0, s[20:21]
	v_or_b32_e32 v29, v4, v0
.LBB4_1077:                             ;   in Loop: Header=BB4_1027 Depth=2
	s_or_b64 exec, exec, s[94:95]
                                        ; implicit-def: $vgpr0
.LBB4_1078:                             ;   in Loop: Header=BB4_1027 Depth=2
	s_andn2_saveexec_b64 s[20:21], s[92:93]
; %bb.1079:                             ;   in Loop: Header=BB4_1027 Depth=2
	v_or_b32_e32 v29, 0x7e, v0
; %bb.1080:                             ;   in Loop: Header=BB4_1027 Depth=2
	s_or_b64 exec, exec, s[20:21]
                                        ; implicit-def: $vgpr4
.LBB4_1081:                             ;   in Loop: Header=BB4_1027 Depth=2
	s_andn2_saveexec_b64 s[20:21], s[90:91]
; %bb.1082:                             ;   in Loop: Header=BB4_1027 Depth=2
	v_or_b32_sdwa v29, v4, s53 dst_sel:DWORD dst_unused:UNUSED_PAD src0_sel:BYTE_3 src1_sel:DWORD
; %bb.1083:                             ;   in Loop: Header=BB4_1027 Depth=2
	s_or_b64 exec, exec, s[20:21]
	v_lshrrev_b32_e32 v24, 16, v14
	v_cmp_ne_u16_sdwa s[20:21], v24, v53 src0_sel:BYTE_0 src1_sel:DWORD
	v_mov_b32_e32 v0, 0
	s_and_saveexec_b64 s[22:23], s[20:21]
	s_cbranch_execz .LBB4_1089
; %bb.1084:                             ;   in Loop: Header=BB4_1027 Depth=2
	v_cmp_ne_u16_sdwa s[20:21], v24, s52 src0_sel:BYTE_0 src1_sel:DWORD
	v_bfrev_b32_e32 v0, 1
	s_and_saveexec_b64 s[90:91], s[20:21]
	s_cbranch_execz .LBB4_1088
; %bb.1085:                             ;   in Loop: Header=BB4_1027 Depth=2
	v_bfe_u32 v4, v14, 16, 7
	v_cmp_ne_u32_e64 s[20:21], s53, v4
	v_mov_b32_e32 v0, 0x7f800001
	s_and_saveexec_b64 s[92:93], s[20:21]
	s_cbranch_execz .LBB4_1087
; %bb.1086:                             ;   in Loop: Header=BB4_1027 Depth=2
	v_and_b32_e32 v0, 7, v24
	v_lshrrev_b32_e32 v25, 3, v4
	v_cmp_gt_u32_e64 s[20:21], 8, v4
	v_ffbh_u32_e32 v4, v0
	v_min_u32_e32 v30, 32, v4
	v_subrev_u32_e32 v4, 28, v30
	v_lshlrev_b64 v[4:5], v4, v[24:25]
	v_sub_u32_e32 v5, 29, v30
	v_and_b32_e32 v4, 7, v4
	v_cndmask_b32_e64 v5, v25, v5, s[20:21]
	v_cndmask_b32_e64 v0, v0, v4, s[20:21]
	v_lshlrev_b32_e32 v4, 24, v24
	v_lshlrev_b32_e32 v0, 20, v0
	v_and_b32_e32 v4, 0x80000000, v4
	v_lshl_add_u32 v5, v5, 23, v50
	v_or3_b32 v0, v4, v5, v0
.LBB4_1087:                             ;   in Loop: Header=BB4_1027 Depth=2
	s_or_b64 exec, exec, s[92:93]
.LBB4_1088:                             ;   in Loop: Header=BB4_1027 Depth=2
	s_or_b64 exec, exec, s[90:91]
.LBB4_1089:                             ;   in Loop: Header=BB4_1027 Depth=2
	s_or_b64 exec, exec, s[22:23]
	v_lshrrev_b32_e32 v24, 16, v10
	v_cmp_gt_i16_sdwa s[22:23], v24, s53 src0_sel:BYTE_0 src1_sel:DWORD
	s_mov_b64 s[20:21], 0
	s_and_saveexec_b64 s[90:91], s[22:23]
	s_xor_b64 s[22:23], exec, s[90:91]
	s_cbranch_execz .LBB4_1459
; %bb.1090:                             ;   in Loop: Header=BB4_1027 Depth=2
	v_cmp_eq_u16_sdwa s[92:93], v24, s52 src0_sel:BYTE_0 src1_sel:DWORD
	s_mov_b64 s[20:21], -1
	s_and_saveexec_b64 s[90:91], s[92:93]
; %bb.1091:                             ;   in Loop: Header=BB4_1027 Depth=2
	s_xor_b64 s[20:21], exec, -1
; %bb.1092:                             ;   in Loop: Header=BB4_1027 Depth=2
	s_or_b64 exec, exec, s[90:91]
	s_and_b64 s[20:21], s[20:21], exec
	s_or_saveexec_b64 s[22:23], s[22:23]
	v_bfrev_b32_e32 v4, 1
	s_xor_b64 exec, exec, s[22:23]
	s_cbranch_execnz .LBB4_1460
.LBB4_1093:                             ;   in Loop: Header=BB4_1027 Depth=2
	s_or_b64 exec, exec, s[22:23]
	s_and_saveexec_b64 s[22:23], s[20:21]
	s_cbranch_execz .LBB4_1095
.LBB4_1094:                             ;   in Loop: Header=BB4_1027 Depth=2
	v_and_b32_e32 v25, 7, v24
	v_ffbh_u32_e32 v4, v25
	v_min_u32_e32 v34, 32, v4
	v_subrev_u32_e32 v4, 28, v34
	v_lshlrev_b64 v[4:5], v4, v[24:25]
	v_and_b32_e32 v30, 0x7f, v24
	v_bfe_u32 v31, v24, 3, 4
	v_sub_u32_e32 v5, 29, v34
	v_and_b32_e32 v4, 7, v4
	v_cmp_gt_u32_e64 s[20:21], 8, v30
	v_cndmask_b32_e64 v5, v31, v5, s[20:21]
	v_cndmask_b32_e64 v4, v25, v4, s[20:21]
	v_lshlrev_b32_e32 v24, 24, v24
	v_lshlrev_b32_e32 v4, 20, v4
	v_and_b32_e32 v24, 0x80000000, v24
	v_lshl_add_u32 v5, v5, 23, v50
	v_or3_b32 v4, v24, v5, v4
	v_cmp_ne_u32_e64 s[20:21], s53, v30
	v_cndmask_b32_e64 v4, v45, v4, s[20:21]
.LBB4_1095:                             ;   in Loop: Header=BB4_1027 Depth=2
	s_or_b64 exec, exec, s[22:23]
	v_add_f32_e32 v4, v0, v4
	v_and_b32_e32 v52, 0x7f800000, v4
	v_cmp_ne_u64_e64 s[20:21], s[56:57], v[52:53]
                                        ; implicit-def: $vgpr30
	s_and_saveexec_b64 s[22:23], s[20:21]
	s_xor_b64 s[90:91], exec, s[22:23]
	s_cbranch_execz .LBB4_1109
; %bb.1096:                             ;   in Loop: Header=BB4_1027 Depth=2
	v_and_b32_e32 v52, 0x7fffffff, v4
	v_cmp_gt_u64_e64 s[20:21], s[58:59], v[52:53]
	v_and_b32_sdwa v0, v4, s52 dst_sel:DWORD dst_unused:UNUSED_PAD src0_sel:BYTE_3 src1_sel:DWORD
                                        ; implicit-def: $vgpr30
	s_and_saveexec_b64 s[22:23], s[20:21]
	s_xor_b64 s[92:93], exec, s[22:23]
	s_cbranch_execz .LBB4_1106
; %bb.1097:                             ;   in Loop: Header=BB4_1027 Depth=2
	v_mov_b32_e32 v30, 0
	v_cmp_ne_u32_e64 s[20:21], 0, v4
	s_and_saveexec_b64 s[94:95], s[20:21]
	s_cbranch_execz .LBB4_1105
; %bb.1098:                             ;   in Loop: Header=BB4_1027 Depth=2
	v_and_b32_e32 v24, 0x7fffff, v4
	v_bfe_u32 v4, v4, 23, 8
	v_cmp_gt_u32_e64 s[22:23], s54, v4
	v_sub_u32_e32 v5, 0x79, v4
	v_cmp_eq_u32_e64 s[20:21], 0, v4
	v_cndmask_b32_e64 v5, 0, v5, s[22:23]
	v_mov_b32_e32 v30, 0x78
	v_or_b32_e32 v25, 0x800000, v24
	v_cndmask_b32_e64 v5, v5, v30, s[20:21]
	v_cndmask_b32_e64 v52, v25, v24, s[20:21]
	v_add_u32_e32 v24, 20, v5
	v_lshlrev_b64 v[24:25], v24, -1
	v_add_u32_e32 v30, 19, v5
	v_lshlrev_b64 v[30:31], v30, 1
	v_bfi_b32 v25, v25, 0, 0
	v_bfi_b32 v24, v24, 0, v52
	v_cmp_eq_u64_e64 s[22:23], v[24:25], v[30:31]
	v_lshrrev_b64 v[24:25], v5, v[52:53]
	v_mov_b32_e32 v47, v25
	v_mov_b32_e32 v46, v24
	s_and_saveexec_b64 s[30:31], s[22:23]
; %bb.1099:                             ;   in Loop: Header=BB4_1027 Depth=2
	v_bfe_u32 v25, v24, 20, 1
	v_add_co_u32_e64 v25, s[22:23], v24, v25
	v_add_co_u32_e64 v46, s[22:23], -1, v25
; %bb.1100:                             ;   in Loop: Header=BB4_1027 Depth=2
	s_or_b64 exec, exec, s[30:31]
	v_add_u32_e32 v4, 0xffffff81, v4
	v_mov_b32_e32 v25, 0xffffff82
	v_cndmask_b32_e64 v4, v4, v25, s[20:21]
	v_lshrrev_b32_e32 v25, 23, v24
	v_add3_u32 v30, v5, v4, v25
	v_add_u32_e32 v5, 6, v30
	v_and_b32_e32 v4, 0xfffff, v46
	v_add_u32_e32 v52, v4, v24
	v_cmp_ne_u32_e64 s[20:21], 0, v5
                                        ; implicit-def: $vgpr24_vgpr25
                                        ; implicit-def: $vgpr4
	s_and_saveexec_b64 s[22:23], s[20:21]
	s_xor_b64 s[22:23], exec, s[22:23]
; %bb.1101:                             ;   in Loop: Header=BB4_1027 Depth=2
	v_cmp_lt_u64_e64 s[20:21], s[60:61], v[52:53]
	v_add_u32_e32 v4, 7, v30
	v_cndmask_b32_e64 v4, v5, v4, s[20:21]
	v_cndmask_b32_e64 v5, 0, 1, s[20:21]
	v_lshrrev_b64 v[24:25], v5, v[52:53]
; %bb.1102:                             ;   in Loop: Header=BB4_1027 Depth=2
	s_andn2_saveexec_b64 s[20:21], s[22:23]
; %bb.1103:                             ;   in Loop: Header=BB4_1027 Depth=2
	v_mov_b32_e32 v24, v52
	v_bfe_u32 v4, v52, 23, 1
	v_mov_b32_e32 v25, v53
; %bb.1104:                             ;   in Loop: Header=BB4_1027 Depth=2
	s_or_b64 exec, exec, s[20:21]
	v_lshrrev_b64 v[24:25], 20, v[24:25]
	v_cmp_gt_i32_e64 s[20:21], 16, v4
	v_cndmask_b32_e64 v25, 0, v25, s[20:21]
	v_cndmask_b32_e64 v24, 7, v24, s[20:21]
	v_cmp_eq_u32_e64 s[20:21], 0, v4
	v_min_i32_e32 v4, 15, v4
	v_cmp_eq_u64_e64 s[22:23], 0, v[24:25]
	v_lshlrev_b32_e32 v4, 3, v4
	v_and_b32_e32 v4, 0xf8, v4
	v_and_or_b32 v4, v24, 7, v4
	s_and_b64 s[20:21], s[20:21], s[22:23]
	v_cndmask_b32_e64 v4, v4, 0, s[20:21]
	v_or_b32_e32 v30, v4, v0
.LBB4_1105:                             ;   in Loop: Header=BB4_1027 Depth=2
	s_or_b64 exec, exec, s[94:95]
                                        ; implicit-def: $vgpr0
.LBB4_1106:                             ;   in Loop: Header=BB4_1027 Depth=2
	s_andn2_saveexec_b64 s[20:21], s[92:93]
; %bb.1107:                             ;   in Loop: Header=BB4_1027 Depth=2
	v_or_b32_e32 v30, 0x7e, v0
; %bb.1108:                             ;   in Loop: Header=BB4_1027 Depth=2
	s_or_b64 exec, exec, s[20:21]
                                        ; implicit-def: $vgpr4
.LBB4_1109:                             ;   in Loop: Header=BB4_1027 Depth=2
	s_andn2_saveexec_b64 s[20:21], s[90:91]
; %bb.1110:                             ;   in Loop: Header=BB4_1027 Depth=2
	v_or_b32_sdwa v30, v4, s53 dst_sel:DWORD dst_unused:UNUSED_PAD src0_sel:BYTE_3 src1_sel:DWORD
; %bb.1111:                             ;   in Loop: Header=BB4_1027 Depth=2
	s_or_b64 exec, exec, s[20:21]
	v_cmp_lt_u32_e64 s[20:21], s63, v14
	v_mov_b32_e32 v0, 0
	s_and_saveexec_b64 s[22:23], s[20:21]
	s_cbranch_execz .LBB4_1117
; %bb.1112:                             ;   in Loop: Header=BB4_1027 Depth=2
	v_lshrrev_b32_e32 v24, 24, v14
	v_cmp_ne_u32_e64 s[20:21], s52, v24
	v_bfrev_b32_e32 v0, 1
	s_and_saveexec_b64 s[90:91], s[20:21]
	s_cbranch_execz .LBB4_1116
; %bb.1113:                             ;   in Loop: Header=BB4_1027 Depth=2
	v_bfe_u32 v4, v14, 24, 7
	v_cmp_ne_u32_e64 s[20:21], s53, v4
	v_mov_b32_e32 v0, 0x7f800001
	s_and_saveexec_b64 s[92:93], s[20:21]
	s_cbranch_execz .LBB4_1115
; %bb.1114:                             ;   in Loop: Header=BB4_1027 Depth=2
	v_and_b32_e32 v0, 7, v24
	v_lshrrev_b32_e32 v25, 3, v4
	v_cmp_gt_u32_e64 s[20:21], 8, v4
	v_ffbh_u32_e32 v4, v0
	v_min_u32_e32 v31, 32, v4
	v_subrev_u32_e32 v4, 28, v31
	v_lshlrev_b64 v[4:5], v4, v[24:25]
	v_sub_u32_e32 v5, 29, v31
	v_and_b32_e32 v4, 7, v4
	v_cndmask_b32_e64 v5, v25, v5, s[20:21]
	v_cndmask_b32_e64 v0, v0, v4, s[20:21]
	v_lshlrev_b32_e32 v4, 24, v24
	v_lshlrev_b32_e32 v0, 20, v0
	v_and_b32_e32 v4, 0x80000000, v4
	v_lshl_add_u32 v5, v5, 23, v50
	v_or3_b32 v0, v4, v5, v0
.LBB4_1115:                             ;   in Loop: Header=BB4_1027 Depth=2
	s_or_b64 exec, exec, s[92:93]
.LBB4_1116:                             ;   in Loop: Header=BB4_1027 Depth=2
	s_or_b64 exec, exec, s[90:91]
.LBB4_1117:                             ;   in Loop: Header=BB4_1027 Depth=2
	s_or_b64 exec, exec, s[22:23]
	v_bfe_u32 v5, v10, 24, 3
	v_ffbh_u32_e32 v24, v5
	v_min_u32_e32 v35, 32, v24
	v_lshrrev_b32_e32 v4, 24, v10
	v_subrev_u32_e32 v24, 28, v35
	v_lshlrev_b64 v[24:25], v24, v[4:5]
	v_bfe_u32 v31, v10, 24, 7
	v_bfe_u32 v34, v4, 3, 4
	v_sub_u32_e32 v25, 29, v35
	v_and_b32_e32 v24, 7, v24
	v_cmp_gt_u32_e64 s[20:21], 8, v31
	v_cndmask_b32_e64 v25, v34, v25, s[20:21]
	v_cndmask_b32_e64 v5, v5, v24, s[20:21]
	v_lshlrev_b32_e32 v5, 20, v5
	v_and_b32_e32 v24, 0x80000000, v10
	v_lshl_add_u32 v25, v25, 23, v50
	v_or3_b32 v5, v24, v25, v5
	v_cmp_ne_u32_e64 s[20:21], s53, v31
	v_cndmask_b32_e64 v5, v45, v5, s[20:21]
	v_cmp_ne_u32_e64 s[20:21], s52, v4
	v_cndmask_b32_e64 v4, v56, v5, s[20:21]
	v_cmp_lt_u32_e64 s[20:21], s63, v10
	v_cndmask_b32_e64 v4, 0, v4, s[20:21]
	v_add_f32_e32 v4, v4, v0
	v_and_b32_e32 v52, 0x7f800000, v4
	v_cmp_ne_u64_e64 s[20:21], s[56:57], v[52:53]
                                        ; implicit-def: $vgpr34
	s_and_saveexec_b64 s[22:23], s[20:21]
	s_xor_b64 s[90:91], exec, s[22:23]
	s_cbranch_execz .LBB4_1131
; %bb.1118:                             ;   in Loop: Header=BB4_1027 Depth=2
	v_and_b32_e32 v52, 0x7fffffff, v4
	v_cmp_gt_u64_e64 s[20:21], s[58:59], v[52:53]
	v_and_b32_sdwa v0, v4, s52 dst_sel:DWORD dst_unused:UNUSED_PAD src0_sel:BYTE_3 src1_sel:DWORD
                                        ; implicit-def: $vgpr34
	s_and_saveexec_b64 s[22:23], s[20:21]
	s_xor_b64 s[92:93], exec, s[22:23]
	s_cbranch_execz .LBB4_1128
; %bb.1119:                             ;   in Loop: Header=BB4_1027 Depth=2
	v_mov_b32_e32 v34, 0
	v_cmp_ne_u32_e64 s[20:21], 0, v4
	s_and_saveexec_b64 s[94:95], s[20:21]
	s_cbranch_execz .LBB4_1127
; %bb.1120:                             ;   in Loop: Header=BB4_1027 Depth=2
	v_and_b32_e32 v24, 0x7fffff, v4
	v_bfe_u32 v4, v4, 23, 8
	v_cmp_gt_u32_e64 s[22:23], s54, v4
	v_sub_u32_e32 v5, 0x79, v4
	v_cmp_eq_u32_e64 s[20:21], 0, v4
	v_cndmask_b32_e64 v5, 0, v5, s[22:23]
	v_mov_b32_e32 v31, 0x78
	v_or_b32_e32 v25, 0x800000, v24
	v_cndmask_b32_e64 v5, v5, v31, s[20:21]
	v_cndmask_b32_e64 v52, v25, v24, s[20:21]
	v_add_u32_e32 v24, 20, v5
	v_lshlrev_b64 v[24:25], v24, -1
	v_add_u32_e32 v31, 19, v5
	v_lshlrev_b64 v[34:35], v31, 1
	v_bfi_b32 v25, v25, 0, 0
	v_bfi_b32 v24, v24, 0, v52
	v_cmp_eq_u64_e64 s[22:23], v[24:25], v[34:35]
	v_lshrrev_b64 v[24:25], v5, v[52:53]
	v_mov_b32_e32 v47, v25
	v_mov_b32_e32 v46, v24
	s_and_saveexec_b64 s[30:31], s[22:23]
; %bb.1121:                             ;   in Loop: Header=BB4_1027 Depth=2
	v_bfe_u32 v25, v24, 20, 1
	v_add_co_u32_e64 v25, s[22:23], v24, v25
	v_add_co_u32_e64 v46, s[22:23], -1, v25
; %bb.1122:                             ;   in Loop: Header=BB4_1027 Depth=2
	s_or_b64 exec, exec, s[30:31]
	v_add_u32_e32 v4, 0xffffff81, v4
	v_mov_b32_e32 v25, 0xffffff82
	v_cndmask_b32_e64 v4, v4, v25, s[20:21]
	v_lshrrev_b32_e32 v25, 23, v24
	v_add3_u32 v31, v5, v4, v25
	v_add_u32_e32 v5, 6, v31
	v_and_b32_e32 v4, 0xfffff, v46
	v_add_u32_e32 v52, v4, v24
	v_cmp_ne_u32_e64 s[20:21], 0, v5
                                        ; implicit-def: $vgpr24_vgpr25
                                        ; implicit-def: $vgpr4
	s_and_saveexec_b64 s[22:23], s[20:21]
	s_xor_b64 s[22:23], exec, s[22:23]
; %bb.1123:                             ;   in Loop: Header=BB4_1027 Depth=2
	v_cmp_lt_u64_e64 s[20:21], s[60:61], v[52:53]
	v_add_u32_e32 v4, 7, v31
	v_cndmask_b32_e64 v4, v5, v4, s[20:21]
	v_cndmask_b32_e64 v5, 0, 1, s[20:21]
	v_lshrrev_b64 v[24:25], v5, v[52:53]
; %bb.1124:                             ;   in Loop: Header=BB4_1027 Depth=2
	s_andn2_saveexec_b64 s[20:21], s[22:23]
; %bb.1125:                             ;   in Loop: Header=BB4_1027 Depth=2
	v_mov_b32_e32 v24, v52
	v_bfe_u32 v4, v52, 23, 1
	v_mov_b32_e32 v25, v53
; %bb.1126:                             ;   in Loop: Header=BB4_1027 Depth=2
	s_or_b64 exec, exec, s[20:21]
	v_lshrrev_b64 v[24:25], 20, v[24:25]
	v_cmp_gt_i32_e64 s[20:21], 16, v4
	v_cndmask_b32_e64 v25, 0, v25, s[20:21]
	v_cndmask_b32_e64 v24, 7, v24, s[20:21]
	v_cmp_eq_u32_e64 s[20:21], 0, v4
	v_min_i32_e32 v4, 15, v4
	v_cmp_eq_u64_e64 s[22:23], 0, v[24:25]
	v_lshlrev_b32_e32 v4, 3, v4
	v_and_b32_e32 v4, 0xf8, v4
	v_and_or_b32 v4, v24, 7, v4
	s_and_b64 s[20:21], s[20:21], s[22:23]
	v_cndmask_b32_e64 v4, v4, 0, s[20:21]
	v_or_b32_e32 v34, v4, v0
.LBB4_1127:                             ;   in Loop: Header=BB4_1027 Depth=2
	s_or_b64 exec, exec, s[94:95]
                                        ; implicit-def: $vgpr0
.LBB4_1128:                             ;   in Loop: Header=BB4_1027 Depth=2
	s_andn2_saveexec_b64 s[20:21], s[92:93]
; %bb.1129:                             ;   in Loop: Header=BB4_1027 Depth=2
	v_or_b32_e32 v34, 0x7e, v0
; %bb.1130:                             ;   in Loop: Header=BB4_1027 Depth=2
	s_or_b64 exec, exec, s[20:21]
                                        ; implicit-def: $vgpr4
.LBB4_1131:                             ;   in Loop: Header=BB4_1027 Depth=2
	s_andn2_saveexec_b64 s[20:21], s[90:91]
; %bb.1132:                             ;   in Loop: Header=BB4_1027 Depth=2
	v_or_b32_sdwa v34, v4, s53 dst_sel:DWORD dst_unused:UNUSED_PAD src0_sel:BYTE_3 src1_sel:DWORD
; %bb.1133:                             ;   in Loop: Header=BB4_1027 Depth=2
	s_or_b64 exec, exec, s[20:21]
	v_mov_b32_e32 v52, v15
	v_cmp_ne_u16_sdwa s[20:21], v15, v53 src0_sel:BYTE_0 src1_sel:DWORD
	v_mov_b32_e32 v0, 0
	s_and_saveexec_b64 s[22:23], s[20:21]
	s_cbranch_execz .LBB4_1139
; %bb.1134:                             ;   in Loop: Header=BB4_1027 Depth=2
	v_cmp_ne_u16_sdwa s[20:21], v15, s52 src0_sel:BYTE_0 src1_sel:DWORD
	v_bfrev_b32_e32 v0, 1
	s_and_saveexec_b64 s[90:91], s[20:21]
	s_cbranch_execz .LBB4_1138
; %bb.1135:                             ;   in Loop: Header=BB4_1027 Depth=2
	v_and_b32_e32 v4, 0x7f, v15
	v_cmp_ne_u32_e64 s[20:21], s53, v4
	v_mov_b32_e32 v0, 0x7f800001
	s_and_saveexec_b64 s[92:93], s[20:21]
	s_cbranch_execz .LBB4_1137
; %bb.1136:                             ;   in Loop: Header=BB4_1027 Depth=2
	v_and_b32_e32 v0, 7, v15
	v_ffbh_u32_e32 v0, v0
	v_min_u32_e32 v0, 32, v0
	v_lshrrev_b32_e32 v5, 3, v4
	v_cmp_gt_u32_e64 s[20:21], 8, v4
	v_subrev_u32_e32 v4, 28, v0
	v_sub_u32_e32 v0, 29, v0
	v_cndmask_b32_e64 v4, 0, v4, s[20:21]
	v_cndmask_b32_e64 v0, v5, v0, s[20:21]
	v_lshlrev_b64 v[4:5], v4, v[52:53]
	v_lshlrev_b32_e32 v5, 24, v52
	v_lshlrev_b32_e32 v4, 20, v4
	v_and_b32_e32 v4, 0x700000, v4
	v_and_b32_e32 v5, 0x80000000, v5
	v_lshl_add_u32 v0, v0, 23, v50
	v_or3_b32 v0, v5, v0, v4
.LBB4_1137:                             ;   in Loop: Header=BB4_1027 Depth=2
	s_or_b64 exec, exec, s[92:93]
.LBB4_1138:                             ;   in Loop: Header=BB4_1027 Depth=2
	s_or_b64 exec, exec, s[90:91]
.LBB4_1139:                             ;   in Loop: Header=BB4_1027 Depth=2
	s_or_b64 exec, exec, s[22:23]
	v_cmp_gt_i16_sdwa s[22:23], v11, s53 src0_sel:BYTE_0 src1_sel:DWORD
	s_mov_b64 s[20:21], 0
	s_and_saveexec_b64 s[90:91], s[22:23]
	s_xor_b64 s[22:23], exec, s[90:91]
	s_cbranch_execz .LBB4_1143
; %bb.1140:                             ;   in Loop: Header=BB4_1027 Depth=2
	v_cmp_eq_u16_sdwa s[92:93], v11, s52 src0_sel:BYTE_0 src1_sel:DWORD
	s_mov_b64 s[20:21], -1
	s_and_saveexec_b64 s[90:91], s[92:93]
; %bb.1141:                             ;   in Loop: Header=BB4_1027 Depth=2
	s_xor_b64 s[20:21], exec, -1
; %bb.1142:                             ;   in Loop: Header=BB4_1027 Depth=2
	s_or_b64 exec, exec, s[90:91]
	s_and_b64 s[20:21], s[20:21], exec
.LBB4_1143:                             ;   in Loop: Header=BB4_1027 Depth=2
	s_or_saveexec_b64 s[22:23], s[22:23]
	v_bfrev_b32_e32 v4, 1
	s_xor_b64 exec, exec, s[22:23]
; %bb.1144:                             ;   in Loop: Header=BB4_1027 Depth=2
	v_cmp_ne_u16_sdwa s[90:91], v11, v53 src0_sel:BYTE_0 src1_sel:DWORD
	s_andn2_b64 s[20:21], s[20:21], exec
	s_and_b64 s[90:91], s[90:91], exec
	v_mov_b32_e32 v4, 0
	s_or_b64 s[20:21], s[20:21], s[90:91]
; %bb.1145:                             ;   in Loop: Header=BB4_1027 Depth=2
	s_or_b64 exec, exec, s[22:23]
	v_mov_b32_e32 v24, v11
	v_mov_b32_e32 v25, v53
	s_and_saveexec_b64 s[22:23], s[20:21]
	s_cbranch_execz .LBB4_1147
; %bb.1146:                             ;   in Loop: Header=BB4_1027 Depth=2
	v_and_b32_e32 v4, 7, v11
	v_ffbh_u32_e32 v4, v4
	v_and_b32_e32 v31, 0x7f, v11
	v_min_u32_e32 v4, 32, v4
	v_bfe_u32 v5, v11, 3, 4
	v_subrev_u32_e32 v35, 28, v4
	v_sub_u32_e32 v4, 29, v4
	v_cmp_gt_u32_e64 s[20:21], 8, v31
	v_cndmask_b32_e64 v48, v5, v4, s[20:21]
	v_cndmask_b32_e64 v4, 0, v35, s[20:21]
	v_lshlrev_b64 v[4:5], v4, v[24:25]
	v_lshlrev_b32_e32 v5, 24, v24
	v_lshlrev_b32_e32 v4, 20, v4
	v_and_b32_e32 v4, 0x700000, v4
	v_and_b32_e32 v5, 0x80000000, v5
	v_lshl_add_u32 v25, v48, 23, v50
	v_or3_b32 v4, v5, v25, v4
	v_cmp_ne_u32_e64 s[20:21], s53, v31
	v_cndmask_b32_e64 v4, v45, v4, s[20:21]
.LBB4_1147:                             ;   in Loop: Header=BB4_1027 Depth=2
	s_or_b64 exec, exec, s[22:23]
	v_add_f32_e32 v5, v0, v4
	v_and_b32_e32 v48, 0x7f800000, v5
	v_mov_b32_e32 v49, v53
	v_cmp_ne_u64_e64 s[20:21], s[56:57], v[48:49]
                                        ; implicit-def: $vgpr0
	s_and_saveexec_b64 s[22:23], s[20:21]
	s_xor_b64 s[90:91], exec, s[22:23]
	s_cbranch_execz .LBB4_1161
; %bb.1148:                             ;   in Loop: Header=BB4_1027 Depth=2
	v_and_b32_e32 v48, 0x7fffffff, v5
	v_mov_b32_e32 v49, v53
	v_cmp_gt_u64_e64 s[20:21], s[58:59], v[48:49]
	v_and_b32_sdwa v4, v5, s52 dst_sel:DWORD dst_unused:UNUSED_PAD src0_sel:BYTE_3 src1_sel:DWORD
                                        ; implicit-def: $vgpr0
	s_and_saveexec_b64 s[22:23], s[20:21]
	s_xor_b64 s[92:93], exec, s[22:23]
	s_cbranch_execz .LBB4_1158
; %bb.1149:                             ;   in Loop: Header=BB4_1027 Depth=2
	v_mov_b32_e32 v0, 0
	v_cmp_ne_u32_e64 s[20:21], 0, v5
	s_and_saveexec_b64 s[94:95], s[20:21]
	s_cbranch_execz .LBB4_1157
; %bb.1150:                             ;   in Loop: Header=BB4_1027 Depth=2
	v_bfe_u32 v0, v5, 23, 8
	v_and_b32_e32 v25, 0x7fffff, v5
	v_cmp_gt_u32_e64 s[22:23], s54, v0
	v_sub_u32_e32 v5, 0x79, v0
	v_cmp_eq_u32_e64 s[20:21], 0, v0
	v_cndmask_b32_e64 v5, 0, v5, s[22:23]
	v_mov_b32_e32 v35, 0x78
	v_or_b32_e32 v31, 0x800000, v25
	v_cndmask_b32_e64 v5, v5, v35, s[20:21]
	v_cndmask_b32_e64 v48, v31, v25, s[20:21]
	v_add_u32_e32 v25, 20, v5
	v_mov_b32_e32 v49, v53
	v_lshlrev_b64 v[40:41], v25, -1
	v_add_u32_e32 v25, 19, v5
	v_lshlrev_b64 v[42:43], v25, 1
	v_lshrrev_b64 v[46:47], v5, v[48:49]
	v_bfi_b32 v41, v41, 0, 0
	v_bfi_b32 v40, v40, 0, v48
	v_mov_b32_e32 v51, v57
	v_cmp_eq_u64_e64 s[22:23], v[40:41], v[42:43]
	v_mov_b32_e32 v57, v47
	v_mov_b32_e32 v56, v46
	s_and_saveexec_b64 s[30:31], s[22:23]
; %bb.1151:                             ;   in Loop: Header=BB4_1027 Depth=2
	v_bfe_u32 v25, v46, 20, 1
	v_add_co_u32_e64 v25, s[22:23], v46, v25
	v_add_co_u32_e64 v56, s[22:23], -1, v25
; %bb.1152:                             ;   in Loop: Header=BB4_1027 Depth=2
	s_or_b64 exec, exec, s[30:31]
	v_add_u32_e32 v0, 0xffffff81, v0
	v_mov_b32_e32 v25, 0xffffff82
	v_cndmask_b32_e64 v0, v0, v25, s[20:21]
	v_lshrrev_b32_e32 v25, 23, v46
	v_add3_u32 v25, v5, v0, v25
	v_add_u32_e32 v5, 6, v25
	v_and_b32_e32 v0, 0xfffff, v56
	v_add_u32_e32 v46, v0, v46
	v_mov_b32_e32 v47, v53
	v_cmp_ne_u32_e64 s[20:21], 0, v5
                                        ; implicit-def: $vgpr0
	s_and_saveexec_b64 s[22:23], s[20:21]
	s_xor_b64 s[22:23], exec, s[22:23]
; %bb.1153:                             ;   in Loop: Header=BB4_1027 Depth=2
	v_cmp_lt_u64_e64 s[20:21], s[60:61], v[46:47]
	v_add_u32_e32 v0, 7, v25
	v_cndmask_b32_e64 v0, v5, v0, s[20:21]
	v_cndmask_b32_e64 v5, 0, 1, s[20:21]
	v_lshrrev_b64 v[46:47], v5, v[46:47]
; %bb.1154:                             ;   in Loop: Header=BB4_1027 Depth=2
	s_or_saveexec_b64 s[20:21], s[22:23]
	v_mov_b32_e32 v45, 0x7f800001
	v_bfrev_b32_e32 v56, 1
	v_mov_b32_e32 v57, v51
	s_xor_b64 exec, exec, s[20:21]
; %bb.1155:                             ;   in Loop: Header=BB4_1027 Depth=2
	v_bfe_u32 v0, v46, 23, 1
; %bb.1156:                             ;   in Loop: Header=BB4_1027 Depth=2
	s_or_b64 exec, exec, s[20:21]
	v_lshrrev_b64 v[48:49], 20, v[46:47]
	v_cmp_gt_i32_e64 s[20:21], 16, v0
	v_cndmask_b32_e64 v49, 0, v49, s[20:21]
	v_cndmask_b32_e64 v48, 7, v48, s[20:21]
	v_cmp_eq_u32_e64 s[20:21], 0, v0
	v_min_i32_e32 v0, 15, v0
	v_cmp_eq_u64_e64 s[22:23], 0, v[48:49]
	v_lshlrev_b32_e32 v0, 3, v0
	v_and_b32_e32 v0, 0xf8, v0
	v_and_or_b32 v0, v48, 7, v0
	s_and_b64 s[20:21], s[20:21], s[22:23]
	v_cndmask_b32_e64 v0, v0, 0, s[20:21]
	v_or_b32_e32 v0, v0, v4
.LBB4_1157:                             ;   in Loop: Header=BB4_1027 Depth=2
	s_or_b64 exec, exec, s[94:95]
                                        ; implicit-def: $vgpr4
.LBB4_1158:                             ;   in Loop: Header=BB4_1027 Depth=2
	s_andn2_saveexec_b64 s[20:21], s[92:93]
; %bb.1159:                             ;   in Loop: Header=BB4_1027 Depth=2
	v_or_b32_e32 v0, 0x7e, v4
; %bb.1160:                             ;   in Loop: Header=BB4_1027 Depth=2
	s_or_b64 exec, exec, s[20:21]
                                        ; implicit-def: $vgpr5
.LBB4_1161:                             ;   in Loop: Header=BB4_1027 Depth=2
	s_andn2_saveexec_b64 s[20:21], s[90:91]
; %bb.1162:                             ;   in Loop: Header=BB4_1027 Depth=2
	v_or_b32_sdwa v0, v5, s53 dst_sel:DWORD dst_unused:UNUSED_PAD src0_sel:BYTE_3 src1_sel:DWORD
; %bb.1163:                             ;   in Loop: Header=BB4_1027 Depth=2
	s_or_b64 exec, exec, s[20:21]
	v_lshrrev_b16_e32 v25, 8, v52
	v_cmp_ne_u16_e64 s[20:21], 0, v25
	v_mov_b32_e32 v4, 0
	s_and_saveexec_b64 s[22:23], s[20:21]
	s_cbranch_execz .LBB4_1169
; %bb.1164:                             ;   in Loop: Header=BB4_1027 Depth=2
	v_cmp_ne_u16_e64 s[20:21], s52, v25
	v_bfrev_b32_e32 v4, 1
	s_and_saveexec_b64 s[90:91], s[20:21]
	s_cbranch_execz .LBB4_1168
; %bb.1165:                             ;   in Loop: Header=BB4_1027 Depth=2
	v_and_b32_e32 v5, 0x7f, v25
	v_cmp_ne_u32_e64 s[20:21], s53, v5
	v_mov_b32_e32 v4, 0x7f800001
	s_and_saveexec_b64 s[92:93], s[20:21]
	s_cbranch_execz .LBB4_1167
; %bb.1166:                             ;   in Loop: Header=BB4_1027 Depth=2
	v_and_b32_e32 v31, 7, v25
	v_ffbh_u32_e32 v4, v31
	v_min_u32_e32 v48, 32, v4
	v_subrev_u32_e32 v4, 28, v48
	v_lshrrev_b32_e32 v35, 3, v5
	v_cmp_gt_u32_e64 s[20:21], 8, v5
	v_lshlrev_b64 v[4:5], v4, v[25:26]
	v_sub_u32_e32 v5, 29, v48
	v_and_b32_e32 v4, 7, v4
	v_cndmask_b32_e64 v5, v35, v5, s[20:21]
	v_cndmask_b32_e64 v4, v31, v4, s[20:21]
	v_lshlrev_b32_e32 v25, 16, v52
	v_lshlrev_b32_e32 v4, 20, v4
	v_and_b32_e32 v25, 0x80000000, v25
	v_lshl_add_u32 v5, v5, 23, v50
	v_or3_b32 v4, v25, v5, v4
.LBB4_1167:                             ;   in Loop: Header=BB4_1027 Depth=2
	s_or_b64 exec, exec, s[92:93]
.LBB4_1168:                             ;   in Loop: Header=BB4_1027 Depth=2
	s_or_b64 exec, exec, s[90:91]
.LBB4_1169:                             ;   in Loop: Header=BB4_1027 Depth=2
	s_or_b64 exec, exec, s[22:23]
	v_lshrrev_b16_e32 v52, 8, v24
	v_cmp_lt_i16_e64 s[20:21], s53, v52
	s_mov_b64 s[22:23], 0
	s_and_saveexec_b64 s[90:91], s[20:21]
	s_xor_b64 s[90:91], exec, s[90:91]
	s_cbranch_execz .LBB4_1461
; %bb.1170:                             ;   in Loop: Header=BB4_1027 Depth=2
	v_cmp_eq_u16_e64 s[20:21], s52, v52
	s_mov_b64 s[22:23], -1
	s_and_saveexec_b64 s[92:93], s[20:21]
; %bb.1171:                             ;   in Loop: Header=BB4_1027 Depth=2
	s_xor_b64 s[22:23], exec, -1
; %bb.1172:                             ;   in Loop: Header=BB4_1027 Depth=2
	s_or_b64 exec, exec, s[92:93]
	s_and_b64 s[22:23], s[22:23], exec
	s_or_saveexec_b64 s[90:91], s[90:91]
	v_bfrev_b32_e32 v5, 1
	s_xor_b64 exec, exec, s[90:91]
	s_cbranch_execnz .LBB4_1462
.LBB4_1173:                             ;   in Loop: Header=BB4_1027 Depth=2
	s_or_b64 exec, exec, s[90:91]
	s_and_saveexec_b64 s[90:91], s[22:23]
	s_cbranch_execz .LBB4_1175
.LBB4_1174:                             ;   in Loop: Header=BB4_1027 Depth=2
	v_and_b32_e32 v5, 7, v52
	v_ffbh_u32_e32 v24, v5
	v_min_u32_e32 v48, 32, v24
	v_subrev_u32_e32 v24, 28, v48
	v_lshlrev_b64 v[24:25], v24, v[52:53]
	v_and_b32_e32 v31, 0x7f, v52
	v_bfe_u32 v35, v52, 3, 4
	v_sub_u32_e32 v25, 29, v48
	v_and_b32_e32 v24, 7, v24
	v_cmp_gt_u32_e64 s[20:21], 8, v31
	v_cndmask_b32_e64 v25, v35, v25, s[20:21]
	v_cndmask_b32_e64 v5, v5, v24, s[20:21]
	v_lshlrev_b32_e32 v24, 24, v52
	v_lshlrev_b32_e32 v5, 20, v5
	v_and_b32_e32 v24, 0x80000000, v24
	v_lshl_add_u32 v25, v25, 23, v50
	v_or3_b32 v5, v24, v25, v5
	v_cmp_ne_u32_e64 s[20:21], s53, v31
	v_cndmask_b32_e64 v5, v45, v5, s[20:21]
.LBB4_1175:                             ;   in Loop: Header=BB4_1027 Depth=2
	s_or_b64 exec, exec, s[90:91]
	v_add_f32_e32 v5, v4, v5
	v_and_b32_e32 v52, 0x7f800000, v5
	v_cmp_ne_u64_e64 s[20:21], s[56:57], v[52:53]
                                        ; implicit-def: $vgpr31
	s_and_saveexec_b64 s[22:23], s[20:21]
	s_xor_b64 s[90:91], exec, s[22:23]
	s_cbranch_execz .LBB4_1189
; %bb.1176:                             ;   in Loop: Header=BB4_1027 Depth=2
	v_and_b32_e32 v52, 0x7fffffff, v5
	v_cmp_gt_u64_e64 s[20:21], s[58:59], v[52:53]
	v_and_b32_sdwa v4, v5, s52 dst_sel:DWORD dst_unused:UNUSED_PAD src0_sel:BYTE_3 src1_sel:DWORD
                                        ; implicit-def: $vgpr31
	s_and_saveexec_b64 s[22:23], s[20:21]
	s_xor_b64 s[92:93], exec, s[22:23]
	s_cbranch_execz .LBB4_1186
; %bb.1177:                             ;   in Loop: Header=BB4_1027 Depth=2
	v_mov_b32_e32 v31, 0
	v_cmp_ne_u32_e64 s[20:21], 0, v5
	s_and_saveexec_b64 s[94:95], s[20:21]
	s_cbranch_execz .LBB4_1185
; %bb.1178:                             ;   in Loop: Header=BB4_1027 Depth=2
	v_and_b32_e32 v24, 0x7fffff, v5
	v_bfe_u32 v5, v5, 23, 8
	v_cmp_gt_u32_e64 s[22:23], s54, v5
	v_sub_u32_e32 v25, 0x79, v5
	v_cmp_eq_u32_e64 s[20:21], 0, v5
	v_cndmask_b32_e64 v25, 0, v25, s[22:23]
	v_mov_b32_e32 v31, 0x78
	v_or_b32_e32 v35, 0x800000, v24
	v_cndmask_b32_e64 v31, v25, v31, s[20:21]
	v_cndmask_b32_e64 v52, v35, v24, s[20:21]
	v_add_u32_e32 v24, 20, v31
	v_lshlrev_b64 v[24:25], v24, -1
	v_add_u32_e32 v35, 19, v31
	v_lshlrev_b64 v[48:49], v35, 1
	v_bfi_b32 v25, v25, 0, 0
	v_bfi_b32 v24, v24, 0, v52
	v_cmp_eq_u64_e64 s[22:23], v[24:25], v[48:49]
	v_lshrrev_b64 v[24:25], v31, v[52:53]
	v_mov_b32_e32 v47, v25
	v_mov_b32_e32 v46, v24
	s_and_saveexec_b64 s[30:31], s[22:23]
; %bb.1179:                             ;   in Loop: Header=BB4_1027 Depth=2
	v_bfe_u32 v25, v24, 20, 1
	v_add_co_u32_e64 v25, s[22:23], v24, v25
	v_add_co_u32_e64 v46, s[22:23], -1, v25
; %bb.1180:                             ;   in Loop: Header=BB4_1027 Depth=2
	s_or_b64 exec, exec, s[30:31]
	v_add_u32_e32 v5, 0xffffff81, v5
	v_mov_b32_e32 v25, 0xffffff82
	v_cndmask_b32_e64 v5, v5, v25, s[20:21]
	v_lshrrev_b32_e32 v25, 23, v24
	v_add3_u32 v35, v31, v5, v25
	v_add_u32_e32 v31, 6, v35
	v_and_b32_e32 v5, 0xfffff, v46
	v_add_u32_e32 v52, v5, v24
	v_cmp_ne_u32_e64 s[20:21], 0, v31
                                        ; implicit-def: $vgpr24_vgpr25
                                        ; implicit-def: $vgpr5
	s_and_saveexec_b64 s[22:23], s[20:21]
	s_xor_b64 s[22:23], exec, s[22:23]
; %bb.1181:                             ;   in Loop: Header=BB4_1027 Depth=2
	v_cmp_lt_u64_e64 s[20:21], s[60:61], v[52:53]
	v_add_u32_e32 v5, 7, v35
	v_cndmask_b32_e64 v24, 0, 1, s[20:21]
	v_cndmask_b32_e64 v5, v31, v5, s[20:21]
	v_lshrrev_b64 v[24:25], v24, v[52:53]
; %bb.1182:                             ;   in Loop: Header=BB4_1027 Depth=2
	s_andn2_saveexec_b64 s[20:21], s[22:23]
; %bb.1183:                             ;   in Loop: Header=BB4_1027 Depth=2
	v_mov_b32_e32 v24, v52
	v_bfe_u32 v5, v52, 23, 1
	v_mov_b32_e32 v25, v53
; %bb.1184:                             ;   in Loop: Header=BB4_1027 Depth=2
	s_or_b64 exec, exec, s[20:21]
	v_lshrrev_b64 v[24:25], 20, v[24:25]
	v_cmp_gt_i32_e64 s[20:21], 16, v5
	v_cndmask_b32_e64 v25, 0, v25, s[20:21]
	v_cndmask_b32_e64 v24, 7, v24, s[20:21]
	v_cmp_eq_u32_e64 s[20:21], 0, v5
	v_min_i32_e32 v5, 15, v5
	v_cmp_eq_u64_e64 s[22:23], 0, v[24:25]
	v_lshlrev_b32_e32 v5, 3, v5
	v_and_b32_e32 v5, 0xf8, v5
	v_and_or_b32 v5, v24, 7, v5
	s_and_b64 s[20:21], s[20:21], s[22:23]
	v_cndmask_b32_e64 v5, v5, 0, s[20:21]
	v_or_b32_e32 v31, v5, v4
.LBB4_1185:                             ;   in Loop: Header=BB4_1027 Depth=2
	s_or_b64 exec, exec, s[94:95]
                                        ; implicit-def: $vgpr4
.LBB4_1186:                             ;   in Loop: Header=BB4_1027 Depth=2
	s_andn2_saveexec_b64 s[20:21], s[92:93]
; %bb.1187:                             ;   in Loop: Header=BB4_1027 Depth=2
	v_or_b32_e32 v31, 0x7e, v4
; %bb.1188:                             ;   in Loop: Header=BB4_1027 Depth=2
	s_or_b64 exec, exec, s[20:21]
                                        ; implicit-def: $vgpr5
.LBB4_1189:                             ;   in Loop: Header=BB4_1027 Depth=2
	s_andn2_saveexec_b64 s[20:21], s[90:91]
; %bb.1190:                             ;   in Loop: Header=BB4_1027 Depth=2
	v_or_b32_sdwa v31, v5, s53 dst_sel:DWORD dst_unused:UNUSED_PAD src0_sel:BYTE_3 src1_sel:DWORD
; %bb.1191:                             ;   in Loop: Header=BB4_1027 Depth=2
	s_or_b64 exec, exec, s[20:21]
	v_lshrrev_b32_e32 v24, 16, v15
	v_cmp_ne_u16_sdwa s[20:21], v24, v53 src0_sel:BYTE_0 src1_sel:DWORD
	v_mov_b32_e32 v4, 0
	s_and_saveexec_b64 s[22:23], s[20:21]
	s_cbranch_execz .LBB4_1197
; %bb.1192:                             ;   in Loop: Header=BB4_1027 Depth=2
	v_cmp_ne_u16_sdwa s[20:21], v24, s52 src0_sel:BYTE_0 src1_sel:DWORD
	v_bfrev_b32_e32 v4, 1
	s_and_saveexec_b64 s[90:91], s[20:21]
	s_cbranch_execz .LBB4_1196
; %bb.1193:                             ;   in Loop: Header=BB4_1027 Depth=2
	v_bfe_u32 v5, v15, 16, 7
	v_cmp_ne_u32_e64 s[20:21], s53, v5
	v_mov_b32_e32 v4, 0x7f800001
	s_and_saveexec_b64 s[92:93], s[20:21]
	s_cbranch_execz .LBB4_1195
; %bb.1194:                             ;   in Loop: Header=BB4_1027 Depth=2
	v_and_b32_e32 v25, 7, v24
	v_ffbh_u32_e32 v4, v25
	v_min_u32_e32 v48, 32, v4
	v_subrev_u32_e32 v4, 28, v48
	v_lshrrev_b32_e32 v35, 3, v5
	v_cmp_gt_u32_e64 s[20:21], 8, v5
	v_lshlrev_b64 v[4:5], v4, v[24:25]
	v_sub_u32_e32 v5, 29, v48
	v_and_b32_e32 v4, 7, v4
	v_cndmask_b32_e64 v5, v35, v5, s[20:21]
	v_cndmask_b32_e64 v4, v25, v4, s[20:21]
	v_lshlrev_b32_e32 v24, 24, v24
	v_lshlrev_b32_e32 v4, 20, v4
	v_and_b32_e32 v24, 0x80000000, v24
	v_lshl_add_u32 v5, v5, 23, v50
	v_or3_b32 v4, v24, v5, v4
.LBB4_1195:                             ;   in Loop: Header=BB4_1027 Depth=2
	s_or_b64 exec, exec, s[92:93]
.LBB4_1196:                             ;   in Loop: Header=BB4_1027 Depth=2
	s_or_b64 exec, exec, s[90:91]
.LBB4_1197:                             ;   in Loop: Header=BB4_1027 Depth=2
	s_or_b64 exec, exec, s[22:23]
	v_lshrrev_b32_e32 v24, 16, v11
	v_cmp_gt_i16_sdwa s[22:23], v24, s53 src0_sel:BYTE_0 src1_sel:DWORD
	s_mov_b64 s[20:21], 0
	s_and_saveexec_b64 s[90:91], s[22:23]
	s_xor_b64 s[22:23], exec, s[90:91]
	s_cbranch_execz .LBB4_1463
; %bb.1198:                             ;   in Loop: Header=BB4_1027 Depth=2
	v_cmp_eq_u16_sdwa s[92:93], v24, s52 src0_sel:BYTE_0 src1_sel:DWORD
	s_mov_b64 s[20:21], -1
	s_and_saveexec_b64 s[90:91], s[92:93]
; %bb.1199:                             ;   in Loop: Header=BB4_1027 Depth=2
	s_xor_b64 s[20:21], exec, -1
; %bb.1200:                             ;   in Loop: Header=BB4_1027 Depth=2
	s_or_b64 exec, exec, s[90:91]
	s_and_b64 s[20:21], s[20:21], exec
	s_or_saveexec_b64 s[22:23], s[22:23]
	v_bfrev_b32_e32 v5, 1
	s_xor_b64 exec, exec, s[22:23]
	s_cbranch_execnz .LBB4_1464
.LBB4_1201:                             ;   in Loop: Header=BB4_1027 Depth=2
	s_or_b64 exec, exec, s[22:23]
	s_and_saveexec_b64 s[22:23], s[20:21]
	s_cbranch_execz .LBB4_1203
.LBB4_1202:                             ;   in Loop: Header=BB4_1027 Depth=2
	v_and_b32_e32 v5, 7, v24
	v_ffbh_u32_e32 v48, v5
	v_min_u32_e32 v51, 32, v48
	v_and_b32_e32 v25, 0x7f, v24
	v_subrev_u32_e32 v48, 28, v51
	v_lshlrev_b64 v[48:49], v48, v[24:25]
	v_bfe_u32 v35, v24, 3, 4
	v_sub_u32_e32 v49, 29, v51
	v_and_b32_e32 v48, 7, v48
	v_cmp_gt_u32_e64 s[20:21], 8, v25
	v_cndmask_b32_e64 v35, v35, v49, s[20:21]
	v_cndmask_b32_e64 v5, v5, v48, s[20:21]
	v_lshlrev_b32_e32 v24, 24, v24
	v_lshlrev_b32_e32 v5, 20, v5
	v_and_b32_e32 v24, 0x80000000, v24
	v_lshl_add_u32 v35, v35, 23, v50
	v_or3_b32 v5, v24, v35, v5
	v_cmp_ne_u32_e64 s[20:21], s53, v25
	v_cndmask_b32_e64 v5, v45, v5, s[20:21]
.LBB4_1203:                             ;   in Loop: Header=BB4_1027 Depth=2
	s_or_b64 exec, exec, s[22:23]
	v_add_f32_e32 v5, v4, v5
	v_and_b32_e32 v52, 0x7f800000, v5
	v_cmp_ne_u64_e64 s[20:21], s[56:57], v[52:53]
                                        ; implicit-def: $vgpr35
	s_and_saveexec_b64 s[22:23], s[20:21]
	s_xor_b64 s[90:91], exec, s[22:23]
	s_cbranch_execz .LBB4_1217
; %bb.1204:                             ;   in Loop: Header=BB4_1027 Depth=2
	v_and_b32_e32 v52, 0x7fffffff, v5
	v_cmp_gt_u64_e64 s[20:21], s[58:59], v[52:53]
	v_and_b32_sdwa v4, v5, s52 dst_sel:DWORD dst_unused:UNUSED_PAD src0_sel:BYTE_3 src1_sel:DWORD
                                        ; implicit-def: $vgpr35
	s_and_saveexec_b64 s[22:23], s[20:21]
	s_xor_b64 s[92:93], exec, s[22:23]
	s_cbranch_execz .LBB4_1214
; %bb.1205:                             ;   in Loop: Header=BB4_1027 Depth=2
	v_mov_b32_e32 v35, 0
	v_cmp_ne_u32_e64 s[20:21], 0, v5
	s_and_saveexec_b64 s[94:95], s[20:21]
	s_cbranch_execz .LBB4_1213
; %bb.1206:                             ;   in Loop: Header=BB4_1027 Depth=2
	v_and_b32_e32 v24, 0x7fffff, v5
	v_bfe_u32 v5, v5, 23, 8
	v_cmp_gt_u32_e64 s[22:23], s54, v5
	v_sub_u32_e32 v25, 0x79, v5
	v_cmp_eq_u32_e64 s[20:21], 0, v5
	v_cndmask_b32_e64 v25, 0, v25, s[22:23]
	v_mov_b32_e32 v35, 0x78
	v_or_b32_e32 v48, 0x800000, v24
	v_cndmask_b32_e64 v35, v25, v35, s[20:21]
	v_cndmask_b32_e64 v52, v48, v24, s[20:21]
	v_add_u32_e32 v24, 20, v35
	v_lshlrev_b64 v[24:25], v24, -1
	v_add_u32_e32 v48, 19, v35
	v_lshlrev_b64 v[48:49], v48, 1
	v_bfi_b32 v25, v25, 0, 0
	v_bfi_b32 v24, v24, 0, v52
	v_cmp_eq_u64_e64 s[22:23], v[24:25], v[48:49]
	v_lshrrev_b64 v[24:25], v35, v[52:53]
	v_mov_b32_e32 v47, v25
	v_mov_b32_e32 v46, v24
	s_and_saveexec_b64 s[30:31], s[22:23]
; %bb.1207:                             ;   in Loop: Header=BB4_1027 Depth=2
	v_bfe_u32 v25, v24, 20, 1
	v_add_co_u32_e64 v25, s[22:23], v24, v25
	v_add_co_u32_e64 v46, s[22:23], -1, v25
; %bb.1208:                             ;   in Loop: Header=BB4_1027 Depth=2
	s_or_b64 exec, exec, s[30:31]
	v_add_u32_e32 v5, 0xffffff81, v5
	v_mov_b32_e32 v25, 0xffffff82
	v_cndmask_b32_e64 v5, v5, v25, s[20:21]
	v_lshrrev_b32_e32 v25, 23, v24
	v_add3_u32 v48, v35, v5, v25
	v_add_u32_e32 v35, 6, v48
	v_and_b32_e32 v5, 0xfffff, v46
	v_add_u32_e32 v52, v5, v24
	v_cmp_ne_u32_e64 s[20:21], 0, v35
                                        ; implicit-def: $vgpr24_vgpr25
                                        ; implicit-def: $vgpr5
	s_and_saveexec_b64 s[22:23], s[20:21]
	s_xor_b64 s[22:23], exec, s[22:23]
; %bb.1209:                             ;   in Loop: Header=BB4_1027 Depth=2
	v_cmp_lt_u64_e64 s[20:21], s[60:61], v[52:53]
	v_add_u32_e32 v5, 7, v48
	v_cndmask_b32_e64 v24, 0, 1, s[20:21]
	v_cndmask_b32_e64 v5, v35, v5, s[20:21]
	v_lshrrev_b64 v[24:25], v24, v[52:53]
; %bb.1210:                             ;   in Loop: Header=BB4_1027 Depth=2
	s_andn2_saveexec_b64 s[20:21], s[22:23]
; %bb.1211:                             ;   in Loop: Header=BB4_1027 Depth=2
	v_mov_b32_e32 v24, v52
	v_bfe_u32 v5, v52, 23, 1
	v_mov_b32_e32 v25, v53
; %bb.1212:                             ;   in Loop: Header=BB4_1027 Depth=2
	s_or_b64 exec, exec, s[20:21]
	v_lshrrev_b64 v[24:25], 20, v[24:25]
	v_cmp_gt_i32_e64 s[20:21], 16, v5
	v_cndmask_b32_e64 v25, 0, v25, s[20:21]
	v_cndmask_b32_e64 v24, 7, v24, s[20:21]
	v_cmp_eq_u32_e64 s[20:21], 0, v5
	v_min_i32_e32 v5, 15, v5
	v_cmp_eq_u64_e64 s[22:23], 0, v[24:25]
	v_lshlrev_b32_e32 v5, 3, v5
	v_and_b32_e32 v5, 0xf8, v5
	v_and_or_b32 v5, v24, 7, v5
	s_and_b64 s[20:21], s[20:21], s[22:23]
	v_cndmask_b32_e64 v5, v5, 0, s[20:21]
	v_or_b32_e32 v35, v5, v4
.LBB4_1213:                             ;   in Loop: Header=BB4_1027 Depth=2
	s_or_b64 exec, exec, s[94:95]
                                        ; implicit-def: $vgpr4
.LBB4_1214:                             ;   in Loop: Header=BB4_1027 Depth=2
	s_andn2_saveexec_b64 s[20:21], s[92:93]
; %bb.1215:                             ;   in Loop: Header=BB4_1027 Depth=2
	v_or_b32_e32 v35, 0x7e, v4
; %bb.1216:                             ;   in Loop: Header=BB4_1027 Depth=2
	s_or_b64 exec, exec, s[20:21]
                                        ; implicit-def: $vgpr5
.LBB4_1217:                             ;   in Loop: Header=BB4_1027 Depth=2
	s_andn2_saveexec_b64 s[20:21], s[90:91]
; %bb.1218:                             ;   in Loop: Header=BB4_1027 Depth=2
	v_or_b32_sdwa v35, v5, s53 dst_sel:DWORD dst_unused:UNUSED_PAD src0_sel:BYTE_3 src1_sel:DWORD
; %bb.1219:                             ;   in Loop: Header=BB4_1027 Depth=2
	s_or_b64 exec, exec, s[20:21]
	v_cmp_lt_u64_e64 s[20:21], s[62:63], v[14:15]
	v_mov_b32_e32 v4, 0
	s_and_saveexec_b64 s[22:23], s[20:21]
	s_cbranch_execz .LBB4_1225
; %bb.1220:                             ;   in Loop: Header=BB4_1027 Depth=2
	v_lshrrev_b32_e32 v14, 24, v15
	v_cmp_ne_u32_e64 s[20:21], s52, v14
	v_bfrev_b32_e32 v4, 1
	s_and_saveexec_b64 s[90:91], s[20:21]
	s_cbranch_execz .LBB4_1224
; %bb.1221:                             ;   in Loop: Header=BB4_1027 Depth=2
	v_bfe_u32 v5, v15, 24, 7
	v_cmp_ne_u32_e64 s[20:21], s53, v5
	v_mov_b32_e32 v4, 0x7f800001
	s_and_saveexec_b64 s[92:93], s[20:21]
	s_cbranch_execz .LBB4_1223
; %bb.1222:                             ;   in Loop: Header=BB4_1027 Depth=2
	v_and_b32_e32 v15, 7, v14
	v_ffbh_u32_e32 v4, v15
	v_min_u32_e32 v25, 32, v4
	v_subrev_u32_e32 v4, 28, v25
	v_lshrrev_b32_e32 v24, 3, v5
	v_cmp_gt_u32_e64 s[20:21], 8, v5
	v_lshlrev_b64 v[4:5], v4, v[14:15]
	v_sub_u32_e32 v5, 29, v25
	v_and_b32_e32 v4, 7, v4
	v_cndmask_b32_e64 v5, v24, v5, s[20:21]
	v_cndmask_b32_e64 v4, v15, v4, s[20:21]
	v_lshlrev_b32_e32 v14, 24, v14
	v_lshlrev_b32_e32 v4, 20, v4
	v_and_b32_e32 v14, 0x80000000, v14
	v_lshl_add_u32 v5, v5, 23, v50
	v_or3_b32 v4, v14, v5, v4
.LBB4_1223:                             ;   in Loop: Header=BB4_1027 Depth=2
	s_or_b64 exec, exec, s[92:93]
.LBB4_1224:                             ;   in Loop: Header=BB4_1027 Depth=2
	s_or_b64 exec, exec, s[90:91]
.LBB4_1225:                             ;   in Loop: Header=BB4_1027 Depth=2
	s_or_b64 exec, exec, s[22:23]
	v_bfe_u32 v24, v11, 24, 3
	v_ffbh_u32_e32 v14, v24
	v_min_u32_e32 v49, 32, v14
	v_lshrrev_b32_e32 v5, 24, v11
	v_subrev_u32_e32 v14, 28, v49
	v_lshlrev_b64 v[14:15], v14, v[5:6]
	v_bfe_u32 v25, v11, 24, 7
	v_bfe_u32 v48, v5, 3, 4
	v_sub_u32_e32 v15, 29, v49
	v_and_b32_e32 v14, 7, v14
	v_cmp_gt_u32_e64 s[20:21], 8, v25
	v_cndmask_b32_e64 v15, v48, v15, s[20:21]
	v_cndmask_b32_e64 v14, v24, v14, s[20:21]
	v_lshlrev_b32_e32 v14, 20, v14
	v_and_b32_e32 v24, 0x80000000, v11
	v_lshl_add_u32 v15, v15, 23, v50
	v_or3_b32 v14, v24, v15, v14
	v_cmp_ne_u32_e64 s[20:21], s53, v25
	v_cndmask_b32_e64 v14, v45, v14, s[20:21]
	v_cmp_ne_u32_e64 s[20:21], s52, v5
	v_cndmask_b32_e64 v5, v56, v14, s[20:21]
	v_cmp_lt_u64_e64 s[20:21], s[62:63], v[10:11]
                                        ; implicit-def: $vgpr41
	v_cndmask_b32_e64 v5, 0, v5, s[20:21]
	v_add_f32_e32 v5, v5, v4
	v_and_b32_e32 v52, 0x7f800000, v5
	v_cmp_ne_u64_e64 s[20:21], s[56:57], v[52:53]
	s_and_saveexec_b64 s[22:23], s[20:21]
	s_xor_b64 s[90:91], exec, s[22:23]
	s_cbranch_execz .LBB4_1239
; %bb.1226:                             ;   in Loop: Header=BB4_1027 Depth=2
	v_and_b32_e32 v52, 0x7fffffff, v5
	v_cmp_gt_u64_e64 s[20:21], s[58:59], v[52:53]
	v_and_b32_sdwa v4, v5, s52 dst_sel:DWORD dst_unused:UNUSED_PAD src0_sel:BYTE_3 src1_sel:DWORD
                                        ; implicit-def: $vgpr41
	s_and_saveexec_b64 s[22:23], s[20:21]
	s_xor_b64 s[92:93], exec, s[22:23]
	s_cbranch_execz .LBB4_1236
; %bb.1227:                             ;   in Loop: Header=BB4_1027 Depth=2
	v_mov_b32_e32 v41, 0
	v_cmp_ne_u32_e64 s[20:21], 0, v5
	s_and_saveexec_b64 s[94:95], s[20:21]
	s_cbranch_execz .LBB4_1235
; %bb.1228:                             ;   in Loop: Header=BB4_1027 Depth=2
	v_and_b32_e32 v10, 0x7fffff, v5
	v_bfe_u32 v5, v5, 23, 8
	v_cmp_gt_u32_e64 s[22:23], s54, v5
	v_sub_u32_e32 v11, 0x79, v5
	v_cmp_eq_u32_e64 s[20:21], 0, v5
	v_cndmask_b32_e64 v11, 0, v11, s[22:23]
	v_mov_b32_e32 v15, 0x78
	v_or_b32_e32 v14, 0x800000, v10
	v_cndmask_b32_e64 v24, v11, v15, s[20:21]
	v_cndmask_b32_e64 v52, v14, v10, s[20:21]
	v_add_u32_e32 v10, 20, v24
	v_lshlrev_b64 v[10:11], v10, -1
	v_add_u32_e32 v14, 19, v24
	v_lshlrev_b64 v[14:15], v14, 1
	v_bfi_b32 v11, v11, 0, 0
	v_bfi_b32 v10, v10, 0, v52
	v_cmp_eq_u64_e64 s[22:23], v[10:11], v[14:15]
	v_lshrrev_b64 v[10:11], v24, v[52:53]
	v_mov_b32_e32 v15, v11
	v_mov_b32_e32 v14, v10
	s_and_saveexec_b64 s[30:31], s[22:23]
; %bb.1229:                             ;   in Loop: Header=BB4_1027 Depth=2
	v_bfe_u32 v11, v10, 20, 1
	v_add_co_u32_e64 v11, s[22:23], v10, v11
	v_add_co_u32_e64 v14, s[22:23], -1, v11
; %bb.1230:                             ;   in Loop: Header=BB4_1027 Depth=2
	s_or_b64 exec, exec, s[30:31]
	v_add_u32_e32 v5, 0xffffff81, v5
	v_mov_b32_e32 v11, 0xffffff82
	v_cndmask_b32_e64 v5, v5, v11, s[20:21]
	v_lshrrev_b32_e32 v11, 23, v10
	v_add3_u32 v24, v24, v5, v11
	v_add_u32_e32 v15, 6, v24
	v_and_b32_e32 v5, 0xfffff, v14
	v_add_u32_e32 v52, v5, v10
	v_cmp_ne_u32_e64 s[20:21], 0, v15
                                        ; implicit-def: $vgpr10_vgpr11
                                        ; implicit-def: $vgpr5
	s_and_saveexec_b64 s[22:23], s[20:21]
	s_xor_b64 s[22:23], exec, s[22:23]
; %bb.1231:                             ;   in Loop: Header=BB4_1027 Depth=2
	v_cmp_lt_u64_e64 s[20:21], s[60:61], v[52:53]
	v_add_u32_e32 v5, 7, v24
	v_cndmask_b32_e64 v10, 0, 1, s[20:21]
	v_cndmask_b32_e64 v5, v15, v5, s[20:21]
	v_lshrrev_b64 v[10:11], v10, v[52:53]
; %bb.1232:                             ;   in Loop: Header=BB4_1027 Depth=2
	s_andn2_saveexec_b64 s[20:21], s[22:23]
; %bb.1233:                             ;   in Loop: Header=BB4_1027 Depth=2
	v_mov_b32_e32 v10, v52
	v_bfe_u32 v5, v52, 23, 1
	v_mov_b32_e32 v11, v53
; %bb.1234:                             ;   in Loop: Header=BB4_1027 Depth=2
	s_or_b64 exec, exec, s[20:21]
	v_lshrrev_b64 v[10:11], 20, v[10:11]
	v_cmp_gt_i32_e64 s[20:21], 16, v5
	v_cndmask_b32_e64 v11, 0, v11, s[20:21]
	v_cndmask_b32_e64 v10, 7, v10, s[20:21]
	v_cmp_eq_u32_e64 s[20:21], 0, v5
	v_min_i32_e32 v5, 15, v5
	v_cmp_eq_u64_e64 s[22:23], 0, v[10:11]
	v_lshlrev_b32_e32 v5, 3, v5
	v_and_b32_e32 v5, 0xf8, v5
	v_and_or_b32 v5, v10, 7, v5
	s_and_b64 s[20:21], s[20:21], s[22:23]
	v_cndmask_b32_e64 v5, v5, 0, s[20:21]
	v_or_b32_e32 v41, v5, v4
.LBB4_1235:                             ;   in Loop: Header=BB4_1027 Depth=2
	s_or_b64 exec, exec, s[94:95]
                                        ; implicit-def: $vgpr4
.LBB4_1236:                             ;   in Loop: Header=BB4_1027 Depth=2
	s_andn2_saveexec_b64 s[20:21], s[92:93]
; %bb.1237:                             ;   in Loop: Header=BB4_1027 Depth=2
	v_or_b32_e32 v41, 0x7e, v4
; %bb.1238:                             ;   in Loop: Header=BB4_1027 Depth=2
	s_or_b64 exec, exec, s[20:21]
                                        ; implicit-def: $vgpr5
.LBB4_1239:                             ;   in Loop: Header=BB4_1027 Depth=2
	s_andn2_saveexec_b64 s[20:21], s[90:91]
; %bb.1240:                             ;   in Loop: Header=BB4_1027 Depth=2
	v_or_b32_sdwa v41, v5, s53 dst_sel:DWORD dst_unused:UNUSED_PAD src0_sel:BYTE_3 src1_sel:DWORD
; %bb.1241:                             ;   in Loop: Header=BB4_1027 Depth=2
	s_or_b64 exec, exec, s[20:21]
	v_cmp_ne_u16_sdwa s[20:21], v16, v53 src0_sel:BYTE_0 src1_sel:DWORD
	v_mov_b32_e32 v4, 0
	s_and_saveexec_b64 s[22:23], s[20:21]
	s_cbranch_execz .LBB4_1247
; %bb.1242:                             ;   in Loop: Header=BB4_1027 Depth=2
	v_cmp_ne_u16_sdwa s[20:21], v16, s52 src0_sel:BYTE_0 src1_sel:DWORD
	v_bfrev_b32_e32 v4, 1
	s_and_saveexec_b64 s[90:91], s[20:21]
	s_cbranch_execz .LBB4_1246
; %bb.1243:                             ;   in Loop: Header=BB4_1027 Depth=2
	v_and_b32_e32 v5, 0x7f, v16
	v_cmp_ne_u32_e64 s[20:21], s53, v5
	v_mov_b32_e32 v4, 0x7f800001
	s_and_saveexec_b64 s[92:93], s[20:21]
	s_cbranch_execz .LBB4_1245
; %bb.1244:                             ;   in Loop: Header=BB4_1027 Depth=2
	v_and_b32_e32 v4, 7, v16
	v_ffbh_u32_e32 v4, v4
	v_min_u32_e32 v4, 32, v4
	v_lshrrev_b32_e32 v10, 3, v5
	v_cmp_gt_u32_e64 s[20:21], 8, v5
	v_subrev_u32_e32 v5, 28, v4
	v_sub_u32_e32 v4, 29, v4
	v_cndmask_b32_e64 v10, v10, v4, s[20:21]
	v_cndmask_b32_e64 v4, 0, v5, s[20:21]
	v_lshlrev_b64 v[4:5], v4, v[16:17]
	v_lshlrev_b32_e32 v5, 24, v16
	v_lshlrev_b32_e32 v4, 20, v4
	v_and_b32_e32 v4, 0x700000, v4
	v_and_b32_e32 v5, 0x80000000, v5
	v_lshl_add_u32 v10, v10, 23, v50
	v_or3_b32 v4, v5, v10, v4
.LBB4_1245:                             ;   in Loop: Header=BB4_1027 Depth=2
	s_or_b64 exec, exec, s[92:93]
.LBB4_1246:                             ;   in Loop: Header=BB4_1027 Depth=2
	s_or_b64 exec, exec, s[90:91]
.LBB4_1247:                             ;   in Loop: Header=BB4_1027 Depth=2
	s_or_b64 exec, exec, s[22:23]
	v_cmp_gt_i16_sdwa s[22:23], v12, s53 src0_sel:BYTE_0 src1_sel:DWORD
	s_mov_b64 s[20:21], 0
	s_and_saveexec_b64 s[90:91], s[22:23]
	s_xor_b64 s[22:23], exec, s[90:91]
	s_cbranch_execz .LBB4_1465
; %bb.1248:                             ;   in Loop: Header=BB4_1027 Depth=2
	v_cmp_eq_u16_sdwa s[92:93], v12, s52 src0_sel:BYTE_0 src1_sel:DWORD
	s_mov_b64 s[20:21], -1
	s_and_saveexec_b64 s[90:91], s[92:93]
; %bb.1249:                             ;   in Loop: Header=BB4_1027 Depth=2
	s_xor_b64 s[20:21], exec, -1
; %bb.1250:                             ;   in Loop: Header=BB4_1027 Depth=2
	s_or_b64 exec, exec, s[90:91]
	s_and_b64 s[20:21], s[20:21], exec
	s_or_saveexec_b64 s[22:23], s[22:23]
	v_bfrev_b32_e32 v5, 1
	s_xor_b64 exec, exec, s[22:23]
	s_cbranch_execnz .LBB4_1466
.LBB4_1251:                             ;   in Loop: Header=BB4_1027 Depth=2
	s_or_b64 exec, exec, s[22:23]
	s_and_saveexec_b64 s[22:23], s[20:21]
	s_cbranch_execz .LBB4_1253
.LBB4_1252:                             ;   in Loop: Header=BB4_1027 Depth=2
	v_and_b32_e32 v5, 7, v12
	v_ffbh_u32_e32 v5, v5
	v_and_b32_e32 v14, 0x7f, v12
	v_min_u32_e32 v5, 32, v5
	v_bfe_u32 v10, v12, 3, 4
	v_subrev_u32_e32 v11, 28, v5
	v_sub_u32_e32 v5, 29, v5
	v_cmp_gt_u32_e64 s[20:21], 8, v14
	v_cndmask_b32_e64 v5, v10, v5, s[20:21]
	v_cndmask_b32_e64 v10, 0, v11, s[20:21]
	v_lshlrev_b64 v[10:11], v10, v[12:13]
	v_lshlrev_b32_e32 v11, 24, v12
	v_lshlrev_b32_e32 v10, 20, v10
	v_and_b32_e32 v10, 0x700000, v10
	v_and_b32_e32 v11, 0x80000000, v11
	v_lshl_add_u32 v5, v5, 23, v50
	v_or3_b32 v5, v11, v5, v10
	v_cmp_ne_u32_e64 s[20:21], s53, v14
	v_cndmask_b32_e64 v5, v45, v5, s[20:21]
.LBB4_1253:                             ;   in Loop: Header=BB4_1027 Depth=2
	s_or_b64 exec, exec, s[22:23]
	v_add_f32_e32 v5, v4, v5
	v_and_b32_e32 v52, 0x7f800000, v5
	v_cmp_ne_u64_e64 s[20:21], s[56:57], v[52:53]
                                        ; implicit-def: $vgpr42
	s_and_saveexec_b64 s[22:23], s[20:21]
	s_xor_b64 s[90:91], exec, s[22:23]
	s_cbranch_execz .LBB4_1267
; %bb.1254:                             ;   in Loop: Header=BB4_1027 Depth=2
	v_and_b32_e32 v52, 0x7fffffff, v5
	v_cmp_gt_u64_e64 s[20:21], s[58:59], v[52:53]
	v_and_b32_sdwa v4, v5, s52 dst_sel:DWORD dst_unused:UNUSED_PAD src0_sel:BYTE_3 src1_sel:DWORD
                                        ; implicit-def: $vgpr42
	s_and_saveexec_b64 s[22:23], s[20:21]
	s_xor_b64 s[92:93], exec, s[22:23]
	s_cbranch_execz .LBB4_1264
; %bb.1255:                             ;   in Loop: Header=BB4_1027 Depth=2
	v_mov_b32_e32 v42, 0
	v_cmp_ne_u32_e64 s[20:21], 0, v5
	s_and_saveexec_b64 s[94:95], s[20:21]
	s_cbranch_execz .LBB4_1263
; %bb.1256:                             ;   in Loop: Header=BB4_1027 Depth=2
	v_and_b32_e32 v10, 0x7fffff, v5
	v_bfe_u32 v5, v5, 23, 8
	v_cmp_gt_u32_e64 s[22:23], s54, v5
	v_sub_u32_e32 v11, 0x79, v5
	v_cmp_eq_u32_e64 s[20:21], 0, v5
	v_cndmask_b32_e64 v11, 0, v11, s[22:23]
	v_mov_b32_e32 v15, 0x78
	v_or_b32_e32 v14, 0x800000, v10
	v_cndmask_b32_e64 v24, v11, v15, s[20:21]
	v_cndmask_b32_e64 v52, v14, v10, s[20:21]
	v_add_u32_e32 v10, 20, v24
	v_lshlrev_b64 v[10:11], v10, -1
	v_add_u32_e32 v14, 19, v24
	v_lshlrev_b64 v[14:15], v14, 1
	v_bfi_b32 v11, v11, 0, 0
	v_bfi_b32 v10, v10, 0, v52
	v_cmp_eq_u64_e64 s[22:23], v[10:11], v[14:15]
	v_lshrrev_b64 v[10:11], v24, v[52:53]
	v_mov_b32_e32 v15, v11
	v_mov_b32_e32 v14, v10
	s_and_saveexec_b64 s[30:31], s[22:23]
; %bb.1257:                             ;   in Loop: Header=BB4_1027 Depth=2
	v_bfe_u32 v11, v10, 20, 1
	v_add_co_u32_e64 v11, s[22:23], v10, v11
	v_add_co_u32_e64 v14, s[22:23], -1, v11
; %bb.1258:                             ;   in Loop: Header=BB4_1027 Depth=2
	s_or_b64 exec, exec, s[30:31]
	v_add_u32_e32 v5, 0xffffff81, v5
	v_mov_b32_e32 v11, 0xffffff82
	v_cndmask_b32_e64 v5, v5, v11, s[20:21]
	v_lshrrev_b32_e32 v11, 23, v10
	v_add3_u32 v24, v24, v5, v11
	v_add_u32_e32 v15, 6, v24
	v_and_b32_e32 v5, 0xfffff, v14
	v_add_u32_e32 v52, v5, v10
	v_cmp_ne_u32_e64 s[20:21], 0, v15
                                        ; implicit-def: $vgpr10_vgpr11
                                        ; implicit-def: $vgpr5
	s_and_saveexec_b64 s[22:23], s[20:21]
	s_xor_b64 s[22:23], exec, s[22:23]
; %bb.1259:                             ;   in Loop: Header=BB4_1027 Depth=2
	v_cmp_lt_u64_e64 s[20:21], s[60:61], v[52:53]
	v_add_u32_e32 v5, 7, v24
	v_cndmask_b32_e64 v10, 0, 1, s[20:21]
	v_cndmask_b32_e64 v5, v15, v5, s[20:21]
	v_lshrrev_b64 v[10:11], v10, v[52:53]
; %bb.1260:                             ;   in Loop: Header=BB4_1027 Depth=2
	s_andn2_saveexec_b64 s[20:21], s[22:23]
; %bb.1261:                             ;   in Loop: Header=BB4_1027 Depth=2
	v_mov_b32_e32 v10, v52
	v_bfe_u32 v5, v52, 23, 1
	v_mov_b32_e32 v11, v53
; %bb.1262:                             ;   in Loop: Header=BB4_1027 Depth=2
	s_or_b64 exec, exec, s[20:21]
	v_lshrrev_b64 v[10:11], 20, v[10:11]
	v_cmp_gt_i32_e64 s[20:21], 16, v5
	v_cndmask_b32_e64 v11, 0, v11, s[20:21]
	v_cndmask_b32_e64 v10, 7, v10, s[20:21]
	v_cmp_eq_u32_e64 s[20:21], 0, v5
	v_min_i32_e32 v5, 15, v5
	v_cmp_eq_u64_e64 s[22:23], 0, v[10:11]
	v_lshlrev_b32_e32 v5, 3, v5
	v_and_b32_e32 v5, 0xf8, v5
	v_and_or_b32 v5, v10, 7, v5
	s_and_b64 s[20:21], s[20:21], s[22:23]
	v_cndmask_b32_e64 v5, v5, 0, s[20:21]
	v_or_b32_e32 v42, v5, v4
.LBB4_1263:                             ;   in Loop: Header=BB4_1027 Depth=2
	s_or_b64 exec, exec, s[94:95]
                                        ; implicit-def: $vgpr4
.LBB4_1264:                             ;   in Loop: Header=BB4_1027 Depth=2
	s_andn2_saveexec_b64 s[20:21], s[92:93]
; %bb.1265:                             ;   in Loop: Header=BB4_1027 Depth=2
	v_or_b32_e32 v42, 0x7e, v4
; %bb.1266:                             ;   in Loop: Header=BB4_1027 Depth=2
	s_or_b64 exec, exec, s[20:21]
                                        ; implicit-def: $vgpr5
.LBB4_1267:                             ;   in Loop: Header=BB4_1027 Depth=2
	s_andn2_saveexec_b64 s[20:21], s[90:91]
; %bb.1268:                             ;   in Loop: Header=BB4_1027 Depth=2
	v_or_b32_sdwa v42, v5, s53 dst_sel:DWORD dst_unused:UNUSED_PAD src0_sel:BYTE_3 src1_sel:DWORD
; %bb.1269:                             ;   in Loop: Header=BB4_1027 Depth=2
	s_or_b64 exec, exec, s[20:21]
	v_lshrrev_b16_e32 v10, 8, v16
	v_cmp_ne_u16_e64 s[20:21], 0, v10
	v_mov_b32_e32 v4, 0
	s_and_saveexec_b64 s[22:23], s[20:21]
	s_cbranch_execz .LBB4_1275
; %bb.1270:                             ;   in Loop: Header=BB4_1027 Depth=2
	v_cmp_ne_u16_e64 s[20:21], s52, v10
	v_bfrev_b32_e32 v4, 1
	s_and_saveexec_b64 s[90:91], s[20:21]
	s_cbranch_execz .LBB4_1274
; %bb.1271:                             ;   in Loop: Header=BB4_1027 Depth=2
	v_and_b32_e32 v5, 0x7f, v10
	v_cmp_ne_u32_e64 s[20:21], s53, v5
	v_mov_b32_e32 v4, 0x7f800001
	s_and_saveexec_b64 s[92:93], s[20:21]
	s_cbranch_execz .LBB4_1273
; %bb.1272:                             ;   in Loop: Header=BB4_1027 Depth=2
	v_and_b32_e32 v11, 7, v10
	v_ffbh_u32_e32 v4, v11
	v_min_u32_e32 v15, 32, v4
	v_subrev_u32_e32 v4, 28, v15
	v_lshrrev_b32_e32 v14, 3, v5
	v_cmp_gt_u32_e64 s[20:21], 8, v5
	v_lshlrev_b64 v[4:5], v4, v[10:11]
	v_sub_u32_e32 v5, 29, v15
	v_and_b32_e32 v4, 7, v4
	v_cndmask_b32_e64 v5, v14, v5, s[20:21]
	v_cndmask_b32_e64 v4, v11, v4, s[20:21]
	v_lshlrev_b32_e32 v10, 16, v16
	v_lshlrev_b32_e32 v4, 20, v4
	v_and_b32_e32 v10, 0x80000000, v10
	v_lshl_add_u32 v5, v5, 23, v50
	v_or3_b32 v4, v10, v5, v4
.LBB4_1273:                             ;   in Loop: Header=BB4_1027 Depth=2
	s_or_b64 exec, exec, s[92:93]
.LBB4_1274:                             ;   in Loop: Header=BB4_1027 Depth=2
	s_or_b64 exec, exec, s[90:91]
.LBB4_1275:                             ;   in Loop: Header=BB4_1027 Depth=2
	s_or_b64 exec, exec, s[22:23]
	v_lshrrev_b16_e32 v52, 8, v12
	v_cmp_lt_i16_e64 s[20:21], s53, v52
	s_mov_b64 s[22:23], 0
	s_and_saveexec_b64 s[90:91], s[20:21]
	s_xor_b64 s[90:91], exec, s[90:91]
	s_cbranch_execz .LBB4_1467
; %bb.1276:                             ;   in Loop: Header=BB4_1027 Depth=2
	v_cmp_eq_u16_e64 s[20:21], s52, v52
	s_mov_b64 s[22:23], -1
	s_and_saveexec_b64 s[92:93], s[20:21]
; %bb.1277:                             ;   in Loop: Header=BB4_1027 Depth=2
	s_xor_b64 s[22:23], exec, -1
; %bb.1278:                             ;   in Loop: Header=BB4_1027 Depth=2
	s_or_b64 exec, exec, s[92:93]
	s_and_b64 s[22:23], s[22:23], exec
	s_or_saveexec_b64 s[90:91], s[90:91]
	v_bfrev_b32_e32 v5, 1
	s_xor_b64 exec, exec, s[90:91]
	s_cbranch_execnz .LBB4_1468
.LBB4_1279:                             ;   in Loop: Header=BB4_1027 Depth=2
	s_or_b64 exec, exec, s[90:91]
	s_and_saveexec_b64 s[90:91], s[22:23]
	s_cbranch_execz .LBB4_1281
.LBB4_1280:                             ;   in Loop: Header=BB4_1027 Depth=2
	v_and_b32_e32 v5, 7, v52
	v_ffbh_u32_e32 v10, v5
	v_min_u32_e32 v24, 32, v10
	v_subrev_u32_e32 v10, 28, v24
	v_lshlrev_b64 v[10:11], v10, v[52:53]
	v_and_b32_e32 v14, 0x7f, v52
	v_bfe_u32 v15, v52, 3, 4
	v_sub_u32_e32 v11, 29, v24
	v_and_b32_e32 v10, 7, v10
	v_cmp_gt_u32_e64 s[20:21], 8, v14
	v_cndmask_b32_e64 v11, v15, v11, s[20:21]
	v_cndmask_b32_e64 v5, v5, v10, s[20:21]
	v_lshlrev_b32_e32 v10, 24, v52
	v_lshlrev_b32_e32 v5, 20, v5
	v_and_b32_e32 v10, 0x80000000, v10
	v_lshl_add_u32 v11, v11, 23, v50
	v_or3_b32 v5, v10, v11, v5
	v_cmp_ne_u32_e64 s[20:21], s53, v14
	v_cndmask_b32_e64 v5, v45, v5, s[20:21]
.LBB4_1281:                             ;   in Loop: Header=BB4_1027 Depth=2
	s_or_b64 exec, exec, s[90:91]
	v_add_f32_e32 v5, v4, v5
	v_and_b32_e32 v52, 0x7f800000, v5
	v_cmp_ne_u64_e64 s[20:21], s[56:57], v[52:53]
                                        ; implicit-def: $vgpr44
	s_and_saveexec_b64 s[22:23], s[20:21]
	s_xor_b64 s[90:91], exec, s[22:23]
	s_cbranch_execz .LBB4_1295
; %bb.1282:                             ;   in Loop: Header=BB4_1027 Depth=2
	v_and_b32_e32 v52, 0x7fffffff, v5
	v_cmp_gt_u64_e64 s[20:21], s[58:59], v[52:53]
	v_and_b32_sdwa v4, v5, s52 dst_sel:DWORD dst_unused:UNUSED_PAD src0_sel:BYTE_3 src1_sel:DWORD
                                        ; implicit-def: $vgpr44
	s_and_saveexec_b64 s[22:23], s[20:21]
	s_xor_b64 s[92:93], exec, s[22:23]
	s_cbranch_execz .LBB4_1292
; %bb.1283:                             ;   in Loop: Header=BB4_1027 Depth=2
	v_mov_b32_e32 v44, 0
	v_cmp_ne_u32_e64 s[20:21], 0, v5
	s_and_saveexec_b64 s[94:95], s[20:21]
	s_cbranch_execz .LBB4_1291
; %bb.1284:                             ;   in Loop: Header=BB4_1027 Depth=2
	v_and_b32_e32 v10, 0x7fffff, v5
	v_bfe_u32 v5, v5, 23, 8
	v_cmp_gt_u32_e64 s[22:23], s54, v5
	v_sub_u32_e32 v11, 0x79, v5
	v_cmp_eq_u32_e64 s[20:21], 0, v5
	v_cndmask_b32_e64 v11, 0, v11, s[22:23]
	v_mov_b32_e32 v15, 0x78
	v_or_b32_e32 v14, 0x800000, v10
	v_cndmask_b32_e64 v24, v11, v15, s[20:21]
	v_cndmask_b32_e64 v52, v14, v10, s[20:21]
	v_add_u32_e32 v10, 20, v24
	v_lshlrev_b64 v[10:11], v10, -1
	v_add_u32_e32 v14, 19, v24
	v_lshlrev_b64 v[14:15], v14, 1
	v_bfi_b32 v11, v11, 0, 0
	v_bfi_b32 v10, v10, 0, v52
	v_cmp_eq_u64_e64 s[22:23], v[10:11], v[14:15]
	v_lshrrev_b64 v[10:11], v24, v[52:53]
	v_mov_b32_e32 v15, v11
	v_mov_b32_e32 v14, v10
	s_and_saveexec_b64 s[30:31], s[22:23]
; %bb.1285:                             ;   in Loop: Header=BB4_1027 Depth=2
	v_bfe_u32 v11, v10, 20, 1
	v_add_co_u32_e64 v11, s[22:23], v10, v11
	v_add_co_u32_e64 v14, s[22:23], -1, v11
; %bb.1286:                             ;   in Loop: Header=BB4_1027 Depth=2
	s_or_b64 exec, exec, s[30:31]
	v_add_u32_e32 v5, 0xffffff81, v5
	v_mov_b32_e32 v11, 0xffffff82
	v_cndmask_b32_e64 v5, v5, v11, s[20:21]
	v_lshrrev_b32_e32 v11, 23, v10
	v_add3_u32 v24, v24, v5, v11
	v_add_u32_e32 v15, 6, v24
	v_and_b32_e32 v5, 0xfffff, v14
	v_add_u32_e32 v52, v5, v10
	v_cmp_ne_u32_e64 s[20:21], 0, v15
                                        ; implicit-def: $vgpr10_vgpr11
                                        ; implicit-def: $vgpr5
	s_and_saveexec_b64 s[22:23], s[20:21]
	s_xor_b64 s[22:23], exec, s[22:23]
; %bb.1287:                             ;   in Loop: Header=BB4_1027 Depth=2
	v_cmp_lt_u64_e64 s[20:21], s[60:61], v[52:53]
	v_add_u32_e32 v5, 7, v24
	v_cndmask_b32_e64 v10, 0, 1, s[20:21]
	v_cndmask_b32_e64 v5, v15, v5, s[20:21]
	v_lshrrev_b64 v[10:11], v10, v[52:53]
; %bb.1288:                             ;   in Loop: Header=BB4_1027 Depth=2
	s_andn2_saveexec_b64 s[20:21], s[22:23]
; %bb.1289:                             ;   in Loop: Header=BB4_1027 Depth=2
	v_mov_b32_e32 v10, v52
	v_bfe_u32 v5, v52, 23, 1
	v_mov_b32_e32 v11, v53
; %bb.1290:                             ;   in Loop: Header=BB4_1027 Depth=2
	s_or_b64 exec, exec, s[20:21]
	v_lshrrev_b64 v[10:11], 20, v[10:11]
	v_cmp_gt_i32_e64 s[20:21], 16, v5
	v_cndmask_b32_e64 v11, 0, v11, s[20:21]
	v_cndmask_b32_e64 v10, 7, v10, s[20:21]
	v_cmp_eq_u32_e64 s[20:21], 0, v5
	v_min_i32_e32 v5, 15, v5
	v_cmp_eq_u64_e64 s[22:23], 0, v[10:11]
	v_lshlrev_b32_e32 v5, 3, v5
	v_and_b32_e32 v5, 0xf8, v5
	v_and_or_b32 v5, v10, 7, v5
	s_and_b64 s[20:21], s[20:21], s[22:23]
	v_cndmask_b32_e64 v5, v5, 0, s[20:21]
	v_or_b32_e32 v44, v5, v4
.LBB4_1291:                             ;   in Loop: Header=BB4_1027 Depth=2
	s_or_b64 exec, exec, s[94:95]
                                        ; implicit-def: $vgpr4
.LBB4_1292:                             ;   in Loop: Header=BB4_1027 Depth=2
	s_andn2_saveexec_b64 s[20:21], s[92:93]
; %bb.1293:                             ;   in Loop: Header=BB4_1027 Depth=2
	v_or_b32_e32 v44, 0x7e, v4
; %bb.1294:                             ;   in Loop: Header=BB4_1027 Depth=2
	s_or_b64 exec, exec, s[20:21]
                                        ; implicit-def: $vgpr5
.LBB4_1295:                             ;   in Loop: Header=BB4_1027 Depth=2
	s_andn2_saveexec_b64 s[20:21], s[90:91]
; %bb.1296:                             ;   in Loop: Header=BB4_1027 Depth=2
	v_or_b32_sdwa v44, v5, s53 dst_sel:DWORD dst_unused:UNUSED_PAD src0_sel:BYTE_3 src1_sel:DWORD
; %bb.1297:                             ;   in Loop: Header=BB4_1027 Depth=2
	s_or_b64 exec, exec, s[20:21]
	v_lshrrev_b32_e32 v10, 16, v16
	v_cmp_ne_u16_sdwa s[20:21], v10, v53 src0_sel:BYTE_0 src1_sel:DWORD
	v_mov_b32_e32 v4, 0
	s_and_saveexec_b64 s[22:23], s[20:21]
	s_cbranch_execz .LBB4_1303
; %bb.1298:                             ;   in Loop: Header=BB4_1027 Depth=2
	v_cmp_ne_u16_sdwa s[20:21], v10, s52 src0_sel:BYTE_0 src1_sel:DWORD
	v_bfrev_b32_e32 v4, 1
	s_and_saveexec_b64 s[90:91], s[20:21]
	s_cbranch_execz .LBB4_1302
; %bb.1299:                             ;   in Loop: Header=BB4_1027 Depth=2
	v_bfe_u32 v5, v16, 16, 7
	v_cmp_ne_u32_e64 s[20:21], s53, v5
	v_mov_b32_e32 v4, 0x7f800001
	s_and_saveexec_b64 s[92:93], s[20:21]
	s_cbranch_execz .LBB4_1301
; %bb.1300:                             ;   in Loop: Header=BB4_1027 Depth=2
	v_and_b32_e32 v11, 7, v10
	v_ffbh_u32_e32 v4, v11
	v_min_u32_e32 v15, 32, v4
	v_subrev_u32_e32 v4, 28, v15
	v_lshrrev_b32_e32 v14, 3, v5
	v_cmp_gt_u32_e64 s[20:21], 8, v5
	v_lshlrev_b64 v[4:5], v4, v[10:11]
	v_sub_u32_e32 v5, 29, v15
	v_and_b32_e32 v4, 7, v4
	v_cndmask_b32_e64 v5, v14, v5, s[20:21]
	v_cndmask_b32_e64 v4, v11, v4, s[20:21]
	v_lshlrev_b32_e32 v10, 24, v10
	v_lshlrev_b32_e32 v4, 20, v4
	v_and_b32_e32 v10, 0x80000000, v10
	v_lshl_add_u32 v5, v5, 23, v50
	v_or3_b32 v4, v10, v5, v4
.LBB4_1301:                             ;   in Loop: Header=BB4_1027 Depth=2
	s_or_b64 exec, exec, s[92:93]
.LBB4_1302:                             ;   in Loop: Header=BB4_1027 Depth=2
	s_or_b64 exec, exec, s[90:91]
.LBB4_1303:                             ;   in Loop: Header=BB4_1027 Depth=2
	s_or_b64 exec, exec, s[22:23]
	v_lshrrev_b32_e32 v10, 16, v12
	v_cmp_gt_i16_sdwa s[22:23], v10, s53 src0_sel:BYTE_0 src1_sel:DWORD
	s_mov_b64 s[20:21], 0
	s_and_saveexec_b64 s[90:91], s[22:23]
	s_xor_b64 s[22:23], exec, s[90:91]
	s_cbranch_execz .LBB4_1469
; %bb.1304:                             ;   in Loop: Header=BB4_1027 Depth=2
	v_cmp_eq_u16_sdwa s[92:93], v10, s52 src0_sel:BYTE_0 src1_sel:DWORD
	s_mov_b64 s[20:21], -1
	s_and_saveexec_b64 s[90:91], s[92:93]
; %bb.1305:                             ;   in Loop: Header=BB4_1027 Depth=2
	s_xor_b64 s[20:21], exec, -1
; %bb.1306:                             ;   in Loop: Header=BB4_1027 Depth=2
	s_or_b64 exec, exec, s[90:91]
	s_and_b64 s[20:21], s[20:21], exec
	s_or_saveexec_b64 s[22:23], s[22:23]
	v_bfrev_b32_e32 v5, 1
	s_xor_b64 exec, exec, s[22:23]
	s_cbranch_execnz .LBB4_1470
.LBB4_1307:                             ;   in Loop: Header=BB4_1027 Depth=2
	s_or_b64 exec, exec, s[22:23]
	s_and_saveexec_b64 s[22:23], s[20:21]
	s_cbranch_execz .LBB4_1309
.LBB4_1308:                             ;   in Loop: Header=BB4_1027 Depth=2
	v_and_b32_e32 v5, 7, v10
	v_ffbh_u32_e32 v14, v5
	v_min_u32_e32 v25, 32, v14
	v_and_b32_e32 v11, 0x7f, v10
	v_subrev_u32_e32 v14, 28, v25
	v_lshlrev_b64 v[14:15], v14, v[10:11]
	v_bfe_u32 v24, v10, 3, 4
	v_sub_u32_e32 v15, 29, v25
	v_and_b32_e32 v14, 7, v14
	v_cmp_gt_u32_e64 s[20:21], 8, v11
	v_cndmask_b32_e64 v15, v24, v15, s[20:21]
	v_cndmask_b32_e64 v5, v5, v14, s[20:21]
	v_lshlrev_b32_e32 v10, 24, v10
	v_lshlrev_b32_e32 v5, 20, v5
	v_and_b32_e32 v10, 0x80000000, v10
	v_lshl_add_u32 v14, v15, 23, v50
	v_or3_b32 v5, v10, v14, v5
	v_cmp_ne_u32_e64 s[20:21], s53, v11
	v_cndmask_b32_e64 v5, v45, v5, s[20:21]
.LBB4_1309:                             ;   in Loop: Header=BB4_1027 Depth=2
	s_or_b64 exec, exec, s[22:23]
	v_add_f32_e32 v5, v4, v5
	v_and_b32_e32 v52, 0x7f800000, v5
	v_cmp_ne_u64_e64 s[20:21], s[56:57], v[52:53]
                                        ; implicit-def: $vgpr51
	s_and_saveexec_b64 s[22:23], s[20:21]
	s_xor_b64 s[90:91], exec, s[22:23]
	s_cbranch_execz .LBB4_1323
; %bb.1310:                             ;   in Loop: Header=BB4_1027 Depth=2
	v_and_b32_e32 v52, 0x7fffffff, v5
	v_cmp_gt_u64_e64 s[20:21], s[58:59], v[52:53]
	v_and_b32_sdwa v4, v5, s52 dst_sel:DWORD dst_unused:UNUSED_PAD src0_sel:BYTE_3 src1_sel:DWORD
                                        ; implicit-def: $vgpr51
	s_and_saveexec_b64 s[22:23], s[20:21]
	s_xor_b64 s[92:93], exec, s[22:23]
	s_cbranch_execz .LBB4_1320
; %bb.1311:                             ;   in Loop: Header=BB4_1027 Depth=2
	v_mov_b32_e32 v51, 0
	v_cmp_ne_u32_e64 s[20:21], 0, v5
	s_and_saveexec_b64 s[94:95], s[20:21]
	s_cbranch_execz .LBB4_1319
; %bb.1312:                             ;   in Loop: Header=BB4_1027 Depth=2
	v_and_b32_e32 v10, 0x7fffff, v5
	v_bfe_u32 v5, v5, 23, 8
	v_cmp_gt_u32_e64 s[22:23], s54, v5
	v_sub_u32_e32 v11, 0x79, v5
	v_cmp_eq_u32_e64 s[20:21], 0, v5
	v_cndmask_b32_e64 v11, 0, v11, s[22:23]
	v_mov_b32_e32 v15, 0x78
	v_or_b32_e32 v14, 0x800000, v10
	v_cndmask_b32_e64 v24, v11, v15, s[20:21]
	v_cndmask_b32_e64 v52, v14, v10, s[20:21]
	v_add_u32_e32 v10, 20, v24
	v_lshlrev_b64 v[10:11], v10, -1
	v_add_u32_e32 v14, 19, v24
	v_lshlrev_b64 v[14:15], v14, 1
	v_bfi_b32 v11, v11, 0, 0
	v_bfi_b32 v10, v10, 0, v52
	v_cmp_eq_u64_e64 s[22:23], v[10:11], v[14:15]
	v_lshrrev_b64 v[10:11], v24, v[52:53]
	v_mov_b32_e32 v15, v11
	v_mov_b32_e32 v14, v10
	s_and_saveexec_b64 s[30:31], s[22:23]
; %bb.1313:                             ;   in Loop: Header=BB4_1027 Depth=2
	v_bfe_u32 v11, v10, 20, 1
	v_add_co_u32_e64 v11, s[22:23], v10, v11
	v_add_co_u32_e64 v14, s[22:23], -1, v11
; %bb.1314:                             ;   in Loop: Header=BB4_1027 Depth=2
	s_or_b64 exec, exec, s[30:31]
	v_add_u32_e32 v5, 0xffffff81, v5
	v_mov_b32_e32 v11, 0xffffff82
	v_cndmask_b32_e64 v5, v5, v11, s[20:21]
	v_lshrrev_b32_e32 v11, 23, v10
	v_add3_u32 v24, v24, v5, v11
	v_add_u32_e32 v15, 6, v24
	v_and_b32_e32 v5, 0xfffff, v14
	v_add_u32_e32 v52, v5, v10
	v_cmp_ne_u32_e64 s[20:21], 0, v15
                                        ; implicit-def: $vgpr10_vgpr11
                                        ; implicit-def: $vgpr5
	s_and_saveexec_b64 s[22:23], s[20:21]
	s_xor_b64 s[22:23], exec, s[22:23]
; %bb.1315:                             ;   in Loop: Header=BB4_1027 Depth=2
	v_cmp_lt_u64_e64 s[20:21], s[60:61], v[52:53]
	v_add_u32_e32 v5, 7, v24
	v_cndmask_b32_e64 v10, 0, 1, s[20:21]
	v_cndmask_b32_e64 v5, v15, v5, s[20:21]
	v_lshrrev_b64 v[10:11], v10, v[52:53]
; %bb.1316:                             ;   in Loop: Header=BB4_1027 Depth=2
	s_andn2_saveexec_b64 s[20:21], s[22:23]
; %bb.1317:                             ;   in Loop: Header=BB4_1027 Depth=2
	v_mov_b32_e32 v10, v52
	v_bfe_u32 v5, v52, 23, 1
	v_mov_b32_e32 v11, v53
; %bb.1318:                             ;   in Loop: Header=BB4_1027 Depth=2
	s_or_b64 exec, exec, s[20:21]
	v_lshrrev_b64 v[10:11], 20, v[10:11]
	v_cmp_gt_i32_e64 s[20:21], 16, v5
	v_cndmask_b32_e64 v11, 0, v11, s[20:21]
	v_cndmask_b32_e64 v10, 7, v10, s[20:21]
	v_cmp_eq_u32_e64 s[20:21], 0, v5
	v_min_i32_e32 v5, 15, v5
	v_cmp_eq_u64_e64 s[22:23], 0, v[10:11]
	v_lshlrev_b32_e32 v5, 3, v5
	v_and_b32_e32 v5, 0xf8, v5
	v_and_or_b32 v5, v10, 7, v5
	s_and_b64 s[20:21], s[20:21], s[22:23]
	v_cndmask_b32_e64 v5, v5, 0, s[20:21]
	v_or_b32_e32 v51, v5, v4
.LBB4_1319:                             ;   in Loop: Header=BB4_1027 Depth=2
	s_or_b64 exec, exec, s[94:95]
                                        ; implicit-def: $vgpr4
.LBB4_1320:                             ;   in Loop: Header=BB4_1027 Depth=2
	s_andn2_saveexec_b64 s[20:21], s[92:93]
; %bb.1321:                             ;   in Loop: Header=BB4_1027 Depth=2
	v_or_b32_e32 v51, 0x7e, v4
; %bb.1322:                             ;   in Loop: Header=BB4_1027 Depth=2
	s_or_b64 exec, exec, s[20:21]
                                        ; implicit-def: $vgpr5
.LBB4_1323:                             ;   in Loop: Header=BB4_1027 Depth=2
	s_andn2_saveexec_b64 s[20:21], s[90:91]
; %bb.1324:                             ;   in Loop: Header=BB4_1027 Depth=2
	v_or_b32_sdwa v51, v5, s53 dst_sel:DWORD dst_unused:UNUSED_PAD src0_sel:BYTE_3 src1_sel:DWORD
; %bb.1325:                             ;   in Loop: Header=BB4_1027 Depth=2
	s_or_b64 exec, exec, s[20:21]
	v_cmp_lt_u32_e64 s[20:21], s63, v16
	v_mov_b32_e32 v4, 0
	s_and_saveexec_b64 s[22:23], s[20:21]
	s_cbranch_execz .LBB4_1331
; %bb.1326:                             ;   in Loop: Header=BB4_1027 Depth=2
	v_lshrrev_b32_e32 v10, 24, v16
	v_cmp_ne_u32_e64 s[20:21], s52, v10
	v_bfrev_b32_e32 v4, 1
	s_and_saveexec_b64 s[90:91], s[20:21]
	s_cbranch_execz .LBB4_1330
; %bb.1327:                             ;   in Loop: Header=BB4_1027 Depth=2
	v_bfe_u32 v5, v16, 24, 7
	v_cmp_ne_u32_e64 s[20:21], s53, v5
	v_mov_b32_e32 v4, 0x7f800001
	s_and_saveexec_b64 s[92:93], s[20:21]
	s_cbranch_execz .LBB4_1329
; %bb.1328:                             ;   in Loop: Header=BB4_1027 Depth=2
	v_and_b32_e32 v11, 7, v10
	v_ffbh_u32_e32 v4, v11
	v_min_u32_e32 v15, 32, v4
	v_subrev_u32_e32 v4, 28, v15
	v_lshrrev_b32_e32 v14, 3, v5
	v_cmp_gt_u32_e64 s[20:21], 8, v5
	v_lshlrev_b64 v[4:5], v4, v[10:11]
	v_sub_u32_e32 v5, 29, v15
	v_and_b32_e32 v4, 7, v4
	v_cndmask_b32_e64 v5, v14, v5, s[20:21]
	v_cndmask_b32_e64 v4, v11, v4, s[20:21]
	v_lshlrev_b32_e32 v10, 24, v10
	v_lshlrev_b32_e32 v4, 20, v4
	v_and_b32_e32 v10, 0x80000000, v10
	v_lshl_add_u32 v5, v5, 23, v50
	v_or3_b32 v4, v10, v5, v4
.LBB4_1329:                             ;   in Loop: Header=BB4_1027 Depth=2
	s_or_b64 exec, exec, s[92:93]
.LBB4_1330:                             ;   in Loop: Header=BB4_1027 Depth=2
	s_or_b64 exec, exec, s[90:91]
.LBB4_1331:                             ;   in Loop: Header=BB4_1027 Depth=2
	s_or_b64 exec, exec, s[22:23]
	v_bfe_u32 v14, v12, 24, 3
	v_ffbh_u32_e32 v10, v14
	v_min_u32_e32 v25, 32, v10
	v_lshrrev_b32_e32 v5, 24, v12
	v_subrev_u32_e32 v10, 28, v25
	v_lshlrev_b64 v[10:11], v10, v[5:6]
	v_bfe_u32 v15, v12, 24, 7
	v_bfe_u32 v24, v5, 3, 4
	v_sub_u32_e32 v11, 29, v25
	v_and_b32_e32 v10, 7, v10
	v_cmp_gt_u32_e64 s[20:21], 8, v15
	v_cndmask_b32_e64 v11, v24, v11, s[20:21]
	v_cndmask_b32_e64 v10, v14, v10, s[20:21]
	v_lshlrev_b32_e32 v10, 20, v10
	v_and_b32_e32 v14, 0x80000000, v12
	v_lshl_add_u32 v11, v11, 23, v50
	v_or3_b32 v10, v14, v11, v10
	v_cmp_ne_u32_e64 s[20:21], s53, v15
	v_cndmask_b32_e64 v10, v45, v10, s[20:21]
	v_cmp_ne_u32_e64 s[20:21], s52, v5
	v_cndmask_b32_e64 v5, v56, v10, s[20:21]
	v_cmp_lt_u32_e64 s[20:21], s63, v12
	v_cndmask_b32_e64 v5, 0, v5, s[20:21]
	v_add_f32_e32 v5, v5, v4
	v_and_b32_e32 v52, 0x7f800000, v5
	v_cmp_ne_u64_e64 s[20:21], s[56:57], v[52:53]
                                        ; implicit-def: $vgpr43
	s_and_saveexec_b64 s[22:23], s[20:21]
	s_xor_b64 s[90:91], exec, s[22:23]
	s_cbranch_execz .LBB4_1345
; %bb.1332:                             ;   in Loop: Header=BB4_1027 Depth=2
	v_and_b32_e32 v52, 0x7fffffff, v5
	v_cmp_gt_u64_e64 s[20:21], s[58:59], v[52:53]
	v_and_b32_sdwa v4, v5, s52 dst_sel:DWORD dst_unused:UNUSED_PAD src0_sel:BYTE_3 src1_sel:DWORD
                                        ; implicit-def: $vgpr43
	s_and_saveexec_b64 s[22:23], s[20:21]
	s_xor_b64 s[92:93], exec, s[22:23]
	s_cbranch_execz .LBB4_1342
; %bb.1333:                             ;   in Loop: Header=BB4_1027 Depth=2
	v_mov_b32_e32 v43, 0
	v_cmp_ne_u32_e64 s[20:21], 0, v5
	s_and_saveexec_b64 s[94:95], s[20:21]
	s_cbranch_execz .LBB4_1341
; %bb.1334:                             ;   in Loop: Header=BB4_1027 Depth=2
	v_and_b32_e32 v10, 0x7fffff, v5
	v_bfe_u32 v5, v5, 23, 8
	v_cmp_gt_u32_e64 s[22:23], s54, v5
	v_sub_u32_e32 v11, 0x79, v5
	v_cmp_eq_u32_e64 s[20:21], 0, v5
	v_cndmask_b32_e64 v11, 0, v11, s[22:23]
	v_mov_b32_e32 v15, 0x78
	v_or_b32_e32 v14, 0x800000, v10
	v_cndmask_b32_e64 v24, v11, v15, s[20:21]
	v_cndmask_b32_e64 v52, v14, v10, s[20:21]
	v_add_u32_e32 v10, 20, v24
	v_lshlrev_b64 v[10:11], v10, -1
	v_add_u32_e32 v14, 19, v24
	v_lshlrev_b64 v[14:15], v14, 1
	v_bfi_b32 v11, v11, 0, 0
	v_bfi_b32 v10, v10, 0, v52
	v_cmp_eq_u64_e64 s[22:23], v[10:11], v[14:15]
	v_lshrrev_b64 v[10:11], v24, v[52:53]
	v_mov_b32_e32 v15, v11
	v_mov_b32_e32 v14, v10
	s_and_saveexec_b64 s[30:31], s[22:23]
; %bb.1335:                             ;   in Loop: Header=BB4_1027 Depth=2
	v_bfe_u32 v11, v10, 20, 1
	v_add_co_u32_e64 v11, s[22:23], v10, v11
	v_add_co_u32_e64 v14, s[22:23], -1, v11
; %bb.1336:                             ;   in Loop: Header=BB4_1027 Depth=2
	s_or_b64 exec, exec, s[30:31]
	v_add_u32_e32 v5, 0xffffff81, v5
	v_mov_b32_e32 v11, 0xffffff82
	v_cndmask_b32_e64 v5, v5, v11, s[20:21]
	v_lshrrev_b32_e32 v11, 23, v10
	v_add3_u32 v24, v24, v5, v11
	v_add_u32_e32 v15, 6, v24
	v_and_b32_e32 v5, 0xfffff, v14
	v_add_u32_e32 v52, v5, v10
	v_cmp_ne_u32_e64 s[20:21], 0, v15
                                        ; implicit-def: $vgpr10_vgpr11
                                        ; implicit-def: $vgpr5
	s_and_saveexec_b64 s[22:23], s[20:21]
	s_xor_b64 s[22:23], exec, s[22:23]
; %bb.1337:                             ;   in Loop: Header=BB4_1027 Depth=2
	v_cmp_lt_u64_e64 s[20:21], s[60:61], v[52:53]
	v_add_u32_e32 v5, 7, v24
	v_cndmask_b32_e64 v10, 0, 1, s[20:21]
	v_cndmask_b32_e64 v5, v15, v5, s[20:21]
	v_lshrrev_b64 v[10:11], v10, v[52:53]
; %bb.1338:                             ;   in Loop: Header=BB4_1027 Depth=2
	s_andn2_saveexec_b64 s[20:21], s[22:23]
; %bb.1339:                             ;   in Loop: Header=BB4_1027 Depth=2
	v_mov_b32_e32 v10, v52
	v_bfe_u32 v5, v52, 23, 1
	v_mov_b32_e32 v11, v53
; %bb.1340:                             ;   in Loop: Header=BB4_1027 Depth=2
	s_or_b64 exec, exec, s[20:21]
	v_lshrrev_b64 v[10:11], 20, v[10:11]
	v_cmp_gt_i32_e64 s[20:21], 16, v5
	v_cndmask_b32_e64 v11, 0, v11, s[20:21]
	v_cndmask_b32_e64 v10, 7, v10, s[20:21]
	v_cmp_eq_u32_e64 s[20:21], 0, v5
	v_min_i32_e32 v5, 15, v5
	v_cmp_eq_u64_e64 s[22:23], 0, v[10:11]
	v_lshlrev_b32_e32 v5, 3, v5
	v_and_b32_e32 v5, 0xf8, v5
	v_and_or_b32 v5, v10, 7, v5
	s_and_b64 s[20:21], s[20:21], s[22:23]
	v_cndmask_b32_e64 v5, v5, 0, s[20:21]
	v_or_b32_e32 v43, v5, v4
.LBB4_1341:                             ;   in Loop: Header=BB4_1027 Depth=2
	s_or_b64 exec, exec, s[94:95]
                                        ; implicit-def: $vgpr4
.LBB4_1342:                             ;   in Loop: Header=BB4_1027 Depth=2
	s_andn2_saveexec_b64 s[20:21], s[92:93]
; %bb.1343:                             ;   in Loop: Header=BB4_1027 Depth=2
	v_or_b32_e32 v43, 0x7e, v4
; %bb.1344:                             ;   in Loop: Header=BB4_1027 Depth=2
	s_or_b64 exec, exec, s[20:21]
                                        ; implicit-def: $vgpr5
.LBB4_1345:                             ;   in Loop: Header=BB4_1027 Depth=2
	s_andn2_saveexec_b64 s[20:21], s[90:91]
; %bb.1346:                             ;   in Loop: Header=BB4_1027 Depth=2
	v_or_b32_sdwa v43, v5, s53 dst_sel:DWORD dst_unused:UNUSED_PAD src0_sel:BYTE_3 src1_sel:DWORD
; %bb.1347:                             ;   in Loop: Header=BB4_1027 Depth=2
	s_or_b64 exec, exec, s[20:21]
	v_mov_b32_e32 v52, v17
	v_cmp_ne_u16_sdwa s[20:21], v17, v53 src0_sel:BYTE_0 src1_sel:DWORD
	v_mov_b32_e32 v4, 0
	s_and_saveexec_b64 s[22:23], s[20:21]
	s_cbranch_execz .LBB4_1353
; %bb.1348:                             ;   in Loop: Header=BB4_1027 Depth=2
	v_cmp_ne_u16_sdwa s[20:21], v17, s52 src0_sel:BYTE_0 src1_sel:DWORD
	v_bfrev_b32_e32 v4, 1
	s_and_saveexec_b64 s[90:91], s[20:21]
	s_cbranch_execz .LBB4_1352
; %bb.1349:                             ;   in Loop: Header=BB4_1027 Depth=2
	v_and_b32_e32 v5, 0x7f, v17
	v_cmp_ne_u32_e64 s[20:21], s53, v5
	v_mov_b32_e32 v4, 0x7f800001
	s_and_saveexec_b64 s[92:93], s[20:21]
	s_cbranch_execz .LBB4_1351
; %bb.1350:                             ;   in Loop: Header=BB4_1027 Depth=2
	v_and_b32_e32 v4, 7, v17
	v_ffbh_u32_e32 v4, v4
	v_min_u32_e32 v4, 32, v4
	v_lshrrev_b32_e32 v10, 3, v5
	v_cmp_gt_u32_e64 s[20:21], 8, v5
	v_subrev_u32_e32 v5, 28, v4
	v_sub_u32_e32 v4, 29, v4
	v_cndmask_b32_e64 v10, v10, v4, s[20:21]
	v_cndmask_b32_e64 v4, 0, v5, s[20:21]
	v_lshlrev_b64 v[4:5], v4, v[52:53]
	v_lshlrev_b32_e32 v5, 24, v52
	v_lshlrev_b32_e32 v4, 20, v4
	v_and_b32_e32 v4, 0x700000, v4
	v_and_b32_e32 v5, 0x80000000, v5
	v_lshl_add_u32 v10, v10, 23, v50
	v_or3_b32 v4, v5, v10, v4
.LBB4_1351:                             ;   in Loop: Header=BB4_1027 Depth=2
	s_or_b64 exec, exec, s[92:93]
.LBB4_1352:                             ;   in Loop: Header=BB4_1027 Depth=2
	s_or_b64 exec, exec, s[90:91]
.LBB4_1353:                             ;   in Loop: Header=BB4_1027 Depth=2
	s_or_b64 exec, exec, s[22:23]
	v_cmp_gt_i16_sdwa s[22:23], v13, s53 src0_sel:BYTE_0 src1_sel:DWORD
	s_mov_b64 s[20:21], 0
	s_and_saveexec_b64 s[90:91], s[22:23]
	s_xor_b64 s[22:23], exec, s[90:91]
	s_cbranch_execz .LBB4_1357
; %bb.1354:                             ;   in Loop: Header=BB4_1027 Depth=2
	v_cmp_eq_u16_sdwa s[92:93], v13, s52 src0_sel:BYTE_0 src1_sel:DWORD
	s_mov_b64 s[20:21], -1
	s_and_saveexec_b64 s[90:91], s[92:93]
; %bb.1355:                             ;   in Loop: Header=BB4_1027 Depth=2
	s_xor_b64 s[20:21], exec, -1
; %bb.1356:                             ;   in Loop: Header=BB4_1027 Depth=2
	s_or_b64 exec, exec, s[90:91]
	s_and_b64 s[20:21], s[20:21], exec
.LBB4_1357:                             ;   in Loop: Header=BB4_1027 Depth=2
	s_or_saveexec_b64 s[22:23], s[22:23]
	v_bfrev_b32_e32 v5, 1
	s_xor_b64 exec, exec, s[22:23]
; %bb.1358:                             ;   in Loop: Header=BB4_1027 Depth=2
	v_cmp_ne_u16_sdwa s[90:91], v13, v53 src0_sel:BYTE_0 src1_sel:DWORD
	s_andn2_b64 s[20:21], s[20:21], exec
	s_and_b64 s[90:91], s[90:91], exec
	v_mov_b32_e32 v5, 0
	s_or_b64 s[20:21], s[20:21], s[90:91]
; %bb.1359:                             ;   in Loop: Header=BB4_1027 Depth=2
	s_or_b64 exec, exec, s[22:23]
	v_mov_b32_e32 v10, v13
	v_mov_b32_e32 v11, v53
	s_and_saveexec_b64 s[22:23], s[20:21]
	s_cbranch_execz .LBB4_1361
; %bb.1360:                             ;   in Loop: Header=BB4_1027 Depth=2
	v_and_b32_e32 v5, 7, v13
	v_ffbh_u32_e32 v5, v5
	v_and_b32_e32 v24, 0x7f, v13
	v_min_u32_e32 v5, 32, v5
	v_bfe_u32 v14, v13, 3, 4
	v_subrev_u32_e32 v15, 28, v5
	v_sub_u32_e32 v5, 29, v5
	v_cmp_gt_u32_e64 s[20:21], 8, v24
	v_cndmask_b32_e64 v5, v14, v5, s[20:21]
	v_cndmask_b32_e64 v14, 0, v15, s[20:21]
	v_lshlrev_b64 v[14:15], v14, v[10:11]
	v_lshl_add_u32 v5, v5, 23, v50
	v_lshlrev_b32_e32 v11, 20, v14
	v_lshlrev_b32_e32 v14, 24, v10
	v_and_b32_e32 v11, 0x700000, v11
	v_and_b32_e32 v14, 0x80000000, v14
	v_or3_b32 v5, v14, v5, v11
	v_cmp_ne_u32_e64 s[20:21], s53, v24
	v_cndmask_b32_e64 v5, v45, v5, s[20:21]
.LBB4_1361:                             ;   in Loop: Header=BB4_1027 Depth=2
	s_or_b64 exec, exec, s[22:23]
	v_add_f32_e32 v5, v4, v5
	v_and_b32_e32 v14, 0x7f800000, v5
	v_mov_b32_e32 v15, v53
	v_cmp_ne_u64_e64 s[20:21], s[56:57], v[14:15]
                                        ; implicit-def: $vgpr24
	s_and_saveexec_b64 s[22:23], s[20:21]
	s_xor_b64 s[90:91], exec, s[22:23]
	s_cbranch_execz .LBB4_1375
; %bb.1362:                             ;   in Loop: Header=BB4_1027 Depth=2
	v_and_b32_e32 v14, 0x7fffffff, v5
	v_mov_b32_e32 v15, v53
	v_cmp_gt_u64_e64 s[20:21], s[58:59], v[14:15]
	v_and_b32_sdwa v4, v5, s52 dst_sel:DWORD dst_unused:UNUSED_PAD src0_sel:BYTE_3 src1_sel:DWORD
                                        ; implicit-def: $vgpr24
	s_and_saveexec_b64 s[22:23], s[20:21]
	s_xor_b64 s[92:93], exec, s[22:23]
	s_cbranch_execz .LBB4_1372
; %bb.1363:                             ;   in Loop: Header=BB4_1027 Depth=2
	v_mov_b32_e32 v24, 0
	v_cmp_ne_u32_e64 s[20:21], 0, v5
	s_and_saveexec_b64 s[94:95], s[20:21]
	s_cbranch_execz .LBB4_1371
; %bb.1364:                             ;   in Loop: Header=BB4_1027 Depth=2
	v_and_b32_e32 v14, 0x7fffff, v5
	v_bfe_u32 v5, v5, 23, 8
	v_cmp_gt_u32_e64 s[22:23], s54, v5
	v_sub_u32_e32 v11, 0x79, v5
	v_cmp_eq_u32_e64 s[20:21], 0, v5
	v_cndmask_b32_e64 v11, 0, v11, s[22:23]
	v_mov_b32_e32 v24, 0x78
	v_cndmask_b32_e64 v11, v11, v24, s[20:21]
	v_add_u32_e32 v24, 20, v11
	v_or_b32_e32 v15, 0x800000, v14
	v_lshlrev_b64 v[24:25], v24, -1
	v_cndmask_b32_e64 v14, v15, v14, s[20:21]
	v_mov_b32_e32 v15, v53
	v_add_u32_e32 v48, 19, v11
	v_bfi_b32 v24, v24, 0, v14
	v_lshlrev_b64 v[48:49], v48, 1
	v_lshrrev_b64 v[14:15], v11, v[14:15]
	v_bfi_b32 v25, v25, 0, 0
	v_cmp_eq_u64_e64 s[22:23], v[24:25], v[48:49]
	v_mov_b32_e32 v25, v15
	v_mov_b32_e32 v24, v14
	s_and_saveexec_b64 s[30:31], s[22:23]
; %bb.1365:                             ;   in Loop: Header=BB4_1027 Depth=2
	v_bfe_u32 v15, v14, 20, 1
	v_add_co_u32_e64 v15, s[22:23], v14, v15
	v_add_co_u32_e64 v24, s[22:23], -1, v15
; %bb.1366:                             ;   in Loop: Header=BB4_1027 Depth=2
	s_or_b64 exec, exec, s[30:31]
	v_add_u32_e32 v5, 0xffffff81, v5
	v_mov_b32_e32 v15, 0xffffff82
	v_cndmask_b32_e64 v5, v5, v15, s[20:21]
	v_lshrrev_b32_e32 v15, 23, v14
	v_add3_u32 v25, v11, v5, v15
	v_add_u32_e32 v11, 6, v25
	v_and_b32_e32 v5, 0xfffff, v24
	v_add_u32_e32 v14, v5, v14
	v_mov_b32_e32 v15, v53
	v_cmp_ne_u32_e64 s[20:21], 0, v11
                                        ; implicit-def: $vgpr5
	s_and_saveexec_b64 s[22:23], s[20:21]
	s_xor_b64 s[22:23], exec, s[22:23]
; %bb.1367:                             ;   in Loop: Header=BB4_1027 Depth=2
	v_cmp_lt_u64_e64 s[20:21], s[60:61], v[14:15]
	v_add_u32_e32 v5, 7, v25
	v_cndmask_b32_e64 v5, v11, v5, s[20:21]
	v_cndmask_b32_e64 v11, 0, 1, s[20:21]
	v_lshrrev_b64 v[14:15], v11, v[14:15]
; %bb.1368:                             ;   in Loop: Header=BB4_1027 Depth=2
	s_andn2_saveexec_b64 s[20:21], s[22:23]
; %bb.1369:                             ;   in Loop: Header=BB4_1027 Depth=2
	v_bfe_u32 v5, v14, 23, 1
; %bb.1370:                             ;   in Loop: Header=BB4_1027 Depth=2
	s_or_b64 exec, exec, s[20:21]
	v_lshrrev_b64 v[14:15], 20, v[14:15]
	v_cmp_gt_i32_e64 s[20:21], 16, v5
	v_cndmask_b32_e64 v15, 0, v15, s[20:21]
	v_cndmask_b32_e64 v14, 7, v14, s[20:21]
	v_cmp_eq_u32_e64 s[20:21], 0, v5
	v_min_i32_e32 v5, 15, v5
	v_cmp_eq_u64_e64 s[22:23], 0, v[14:15]
	v_lshlrev_b32_e32 v5, 3, v5
	v_and_b32_e32 v5, 0xf8, v5
	v_and_or_b32 v5, v14, 7, v5
	s_and_b64 s[20:21], s[20:21], s[22:23]
	v_cndmask_b32_e64 v5, v5, 0, s[20:21]
	v_or_b32_e32 v24, v5, v4
.LBB4_1371:                             ;   in Loop: Header=BB4_1027 Depth=2
	s_or_b64 exec, exec, s[94:95]
                                        ; implicit-def: $vgpr4
.LBB4_1372:                             ;   in Loop: Header=BB4_1027 Depth=2
	s_andn2_saveexec_b64 s[20:21], s[92:93]
; %bb.1373:                             ;   in Loop: Header=BB4_1027 Depth=2
	v_or_b32_e32 v24, 0x7e, v4
; %bb.1374:                             ;   in Loop: Header=BB4_1027 Depth=2
	s_or_b64 exec, exec, s[20:21]
                                        ; implicit-def: $vgpr5
.LBB4_1375:                             ;   in Loop: Header=BB4_1027 Depth=2
	s_andn2_saveexec_b64 s[20:21], s[90:91]
; %bb.1376:                             ;   in Loop: Header=BB4_1027 Depth=2
	v_or_b32_sdwa v24, v5, s53 dst_sel:DWORD dst_unused:UNUSED_PAD src0_sel:BYTE_3 src1_sel:DWORD
; %bb.1377:                             ;   in Loop: Header=BB4_1027 Depth=2
	s_or_b64 exec, exec, s[20:21]
	v_lshrrev_b16_e32 v11, 8, v52
	v_cmp_ne_u16_e64 s[20:21], 0, v11
	v_mov_b32_e32 v4, 0
	s_and_saveexec_b64 s[22:23], s[20:21]
	s_cbranch_execz .LBB4_1383
; %bb.1378:                             ;   in Loop: Header=BB4_1027 Depth=2
	v_cmp_ne_u16_e64 s[20:21], s52, v11
	v_bfrev_b32_e32 v4, 1
	s_and_saveexec_b64 s[90:91], s[20:21]
	s_cbranch_execz .LBB4_1382
; %bb.1379:                             ;   in Loop: Header=BB4_1027 Depth=2
	v_and_b32_e32 v5, 0x7f, v11
	v_cmp_ne_u32_e64 s[20:21], s53, v5
	v_mov_b32_e32 v4, 0x7f800001
	s_and_saveexec_b64 s[92:93], s[20:21]
	s_cbranch_execz .LBB4_1381
; %bb.1380:                             ;   in Loop: Header=BB4_1027 Depth=2
	v_and_b32_e32 v14, 7, v11
	v_ffbh_u32_e32 v4, v14
	v_min_u32_e32 v25, 32, v4
	v_subrev_u32_e32 v4, 28, v25
	v_lshrrev_b32_e32 v15, 3, v5
	v_cmp_gt_u32_e64 s[20:21], 8, v5
	v_lshlrev_b64 v[4:5], v4, v[11:12]
	v_sub_u32_e32 v5, 29, v25
	v_and_b32_e32 v4, 7, v4
	v_cndmask_b32_e64 v5, v15, v5, s[20:21]
	v_cndmask_b32_e64 v4, v14, v4, s[20:21]
	v_lshlrev_b32_e32 v11, 16, v52
	v_lshlrev_b32_e32 v4, 20, v4
	v_and_b32_e32 v11, 0x80000000, v11
	v_lshl_add_u32 v5, v5, 23, v50
	v_or3_b32 v4, v11, v5, v4
.LBB4_1381:                             ;   in Loop: Header=BB4_1027 Depth=2
	s_or_b64 exec, exec, s[92:93]
.LBB4_1382:                             ;   in Loop: Header=BB4_1027 Depth=2
	s_or_b64 exec, exec, s[90:91]
.LBB4_1383:                             ;   in Loop: Header=BB4_1027 Depth=2
	s_or_b64 exec, exec, s[22:23]
	v_lshrrev_b16_e32 v52, 8, v10
	v_cmp_lt_i16_e64 s[20:21], s53, v52
	s_mov_b64 s[22:23], 0
	s_and_saveexec_b64 s[90:91], s[20:21]
	s_xor_b64 s[90:91], exec, s[90:91]
	s_cbranch_execz .LBB4_1471
; %bb.1384:                             ;   in Loop: Header=BB4_1027 Depth=2
	v_cmp_eq_u16_e64 s[20:21], s52, v52
	s_mov_b64 s[22:23], -1
	s_and_saveexec_b64 s[92:93], s[20:21]
; %bb.1385:                             ;   in Loop: Header=BB4_1027 Depth=2
	s_xor_b64 s[22:23], exec, -1
; %bb.1386:                             ;   in Loop: Header=BB4_1027 Depth=2
	s_or_b64 exec, exec, s[92:93]
	s_and_b64 s[22:23], s[22:23], exec
	s_or_saveexec_b64 s[90:91], s[90:91]
	v_bfrev_b32_e32 v5, 1
	s_xor_b64 exec, exec, s[90:91]
	s_cbranch_execnz .LBB4_1472
.LBB4_1387:                             ;   in Loop: Header=BB4_1027 Depth=2
	s_or_b64 exec, exec, s[90:91]
	s_and_saveexec_b64 s[90:91], s[22:23]
	s_cbranch_execz .LBB4_1389
.LBB4_1388:                             ;   in Loop: Header=BB4_1027 Depth=2
	v_and_b32_e32 v5, 7, v52
	v_ffbh_u32_e32 v10, v5
	v_min_u32_e32 v25, 32, v10
	v_subrev_u32_e32 v10, 28, v25
	v_lshlrev_b64 v[10:11], v10, v[52:53]
	v_and_b32_e32 v14, 0x7f, v52
	v_bfe_u32 v15, v52, 3, 4
	v_sub_u32_e32 v11, 29, v25
	v_and_b32_e32 v10, 7, v10
	v_cmp_gt_u32_e64 s[20:21], 8, v14
	v_cndmask_b32_e64 v11, v15, v11, s[20:21]
	v_cndmask_b32_e64 v5, v5, v10, s[20:21]
	v_lshlrev_b32_e32 v10, 24, v52
	v_lshlrev_b32_e32 v5, 20, v5
	v_and_b32_e32 v10, 0x80000000, v10
	v_lshl_add_u32 v11, v11, 23, v50
	v_or3_b32 v5, v10, v11, v5
	v_cmp_ne_u32_e64 s[20:21], s53, v14
	v_cndmask_b32_e64 v5, v45, v5, s[20:21]
.LBB4_1389:                             ;   in Loop: Header=BB4_1027 Depth=2
	s_or_b64 exec, exec, s[90:91]
	v_add_f32_e32 v10, v4, v5
	v_and_b32_e32 v52, 0x7f800000, v10
	v_cmp_ne_u64_e64 s[20:21], s[56:57], v[52:53]
                                        ; implicit-def: $vgpr4
	s_and_saveexec_b64 s[22:23], s[20:21]
	s_xor_b64 s[90:91], exec, s[22:23]
	s_cbranch_execz .LBB4_1403
; %bb.1390:                             ;   in Loop: Header=BB4_1027 Depth=2
	v_and_b32_e32 v52, 0x7fffffff, v10
	v_cmp_gt_u64_e64 s[20:21], s[58:59], v[52:53]
	v_and_b32_sdwa v5, v10, s52 dst_sel:DWORD dst_unused:UNUSED_PAD src0_sel:BYTE_3 src1_sel:DWORD
                                        ; implicit-def: $vgpr4
	s_and_saveexec_b64 s[22:23], s[20:21]
	s_xor_b64 s[92:93], exec, s[22:23]
	s_cbranch_execz .LBB4_1400
; %bb.1391:                             ;   in Loop: Header=BB4_1027 Depth=2
	v_mov_b32_e32 v4, 0
	v_cmp_ne_u32_e64 s[20:21], 0, v10
	s_and_saveexec_b64 s[94:95], s[20:21]
	s_cbranch_execz .LBB4_1399
; %bb.1392:                             ;   in Loop: Header=BB4_1027 Depth=2
	v_bfe_u32 v4, v10, 23, 8
	v_and_b32_e32 v11, 0x7fffff, v10
	v_cmp_gt_u32_e64 s[22:23], s54, v4
	v_sub_u32_e32 v10, 0x79, v4
	v_cmp_eq_u32_e64 s[20:21], 0, v4
	v_cndmask_b32_e64 v10, 0, v10, s[22:23]
	v_mov_b32_e32 v15, 0x78
	v_cndmask_b32_e64 v25, v10, v15, s[20:21]
	v_or_b32_e32 v14, 0x800000, v11
	v_add_u32_e32 v10, 20, v25
	v_cndmask_b32_e64 v52, v14, v11, s[20:21]
	v_lshlrev_b64 v[10:11], v10, -1
	v_add_u32_e32 v14, 19, v25
	v_lshlrev_b64 v[14:15], v14, 1
	v_bfi_b32 v11, v11, 0, 0
	v_bfi_b32 v10, v10, 0, v52
	v_cmp_eq_u64_e64 s[22:23], v[10:11], v[14:15]
	v_lshrrev_b64 v[10:11], v25, v[52:53]
	v_mov_b32_e32 v15, v11
	v_mov_b32_e32 v14, v10
	s_and_saveexec_b64 s[30:31], s[22:23]
; %bb.1393:                             ;   in Loop: Header=BB4_1027 Depth=2
	v_bfe_u32 v11, v10, 20, 1
	v_add_co_u32_e64 v11, s[22:23], v10, v11
	v_add_co_u32_e64 v14, s[22:23], -1, v11
; %bb.1394:                             ;   in Loop: Header=BB4_1027 Depth=2
	s_or_b64 exec, exec, s[30:31]
	v_add_u32_e32 v4, 0xffffff81, v4
	v_mov_b32_e32 v11, 0xffffff82
	v_cndmask_b32_e64 v4, v4, v11, s[20:21]
	v_lshrrev_b32_e32 v11, 23, v10
	v_add3_u32 v25, v25, v4, v11
	v_add_u32_e32 v15, 6, v25
	v_and_b32_e32 v4, 0xfffff, v14
	v_add_u32_e32 v52, v4, v10
	v_cmp_ne_u32_e64 s[20:21], 0, v15
                                        ; implicit-def: $vgpr10_vgpr11
                                        ; implicit-def: $vgpr4
	s_and_saveexec_b64 s[22:23], s[20:21]
	s_xor_b64 s[22:23], exec, s[22:23]
; %bb.1395:                             ;   in Loop: Header=BB4_1027 Depth=2
	v_cmp_lt_u64_e64 s[20:21], s[60:61], v[52:53]
	v_add_u32_e32 v4, 7, v25
	v_cndmask_b32_e64 v10, 0, 1, s[20:21]
	v_cndmask_b32_e64 v4, v15, v4, s[20:21]
	v_lshrrev_b64 v[10:11], v10, v[52:53]
; %bb.1396:                             ;   in Loop: Header=BB4_1027 Depth=2
	s_andn2_saveexec_b64 s[20:21], s[22:23]
; %bb.1397:                             ;   in Loop: Header=BB4_1027 Depth=2
	v_mov_b32_e32 v10, v52
	v_bfe_u32 v4, v52, 23, 1
	v_mov_b32_e32 v11, v53
; %bb.1398:                             ;   in Loop: Header=BB4_1027 Depth=2
	s_or_b64 exec, exec, s[20:21]
	v_lshrrev_b64 v[10:11], 20, v[10:11]
	v_cmp_gt_i32_e64 s[20:21], 16, v4
	v_cndmask_b32_e64 v11, 0, v11, s[20:21]
	v_cndmask_b32_e64 v10, 7, v10, s[20:21]
	v_cmp_eq_u32_e64 s[20:21], 0, v4
	v_min_i32_e32 v4, 15, v4
	v_cmp_eq_u64_e64 s[22:23], 0, v[10:11]
	v_lshlrev_b32_e32 v4, 3, v4
	v_and_b32_e32 v4, 0xf8, v4
	v_and_or_b32 v4, v10, 7, v4
	s_and_b64 s[20:21], s[20:21], s[22:23]
	v_cndmask_b32_e64 v4, v4, 0, s[20:21]
	v_or_b32_e32 v4, v4, v5
.LBB4_1399:                             ;   in Loop: Header=BB4_1027 Depth=2
	s_or_b64 exec, exec, s[94:95]
                                        ; implicit-def: $vgpr5
.LBB4_1400:                             ;   in Loop: Header=BB4_1027 Depth=2
	s_andn2_saveexec_b64 s[20:21], s[92:93]
; %bb.1401:                             ;   in Loop: Header=BB4_1027 Depth=2
	v_or_b32_e32 v4, 0x7e, v5
; %bb.1402:                             ;   in Loop: Header=BB4_1027 Depth=2
	s_or_b64 exec, exec, s[20:21]
                                        ; implicit-def: $vgpr10
.LBB4_1403:                             ;   in Loop: Header=BB4_1027 Depth=2
	s_andn2_saveexec_b64 s[20:21], s[90:91]
; %bb.1404:                             ;   in Loop: Header=BB4_1027 Depth=2
	v_or_b32_sdwa v4, v10, s53 dst_sel:DWORD dst_unused:UNUSED_PAD src0_sel:BYTE_3 src1_sel:DWORD
; %bb.1405:                             ;   in Loop: Header=BB4_1027 Depth=2
	s_or_b64 exec, exec, s[20:21]
	v_lshrrev_b32_e32 v10, 16, v17
	v_cmp_ne_u16_sdwa s[20:21], v10, v53 src0_sel:BYTE_0 src1_sel:DWORD
	v_mov_b32_e32 v5, 0
	s_and_saveexec_b64 s[22:23], s[20:21]
	s_cbranch_execz .LBB4_1411
; %bb.1406:                             ;   in Loop: Header=BB4_1027 Depth=2
	v_cmp_ne_u16_sdwa s[20:21], v10, s52 src0_sel:BYTE_0 src1_sel:DWORD
	v_bfrev_b32_e32 v5, 1
	s_and_saveexec_b64 s[90:91], s[20:21]
	s_cbranch_execz .LBB4_1410
; %bb.1407:                             ;   in Loop: Header=BB4_1027 Depth=2
	v_bfe_u32 v11, v17, 16, 7
	v_cmp_ne_u32_e64 s[20:21], s53, v11
	v_mov_b32_e32 v5, 0x7f800001
	s_and_saveexec_b64 s[92:93], s[20:21]
	s_cbranch_execz .LBB4_1409
; %bb.1408:                             ;   in Loop: Header=BB4_1027 Depth=2
	v_and_b32_e32 v5, 7, v10
	v_lshrrev_b32_e32 v25, 3, v11
	v_cmp_gt_u32_e64 s[20:21], 8, v11
	v_ffbh_u32_e32 v11, v5
	v_min_u32_e32 v11, 32, v11
	v_subrev_u32_e32 v14, 28, v11
	v_lshlrev_b64 v[14:15], v14, v[10:11]
	v_sub_u32_e32 v11, 29, v11
	v_and_b32_e32 v14, 7, v14
	v_cndmask_b32_e64 v11, v25, v11, s[20:21]
	v_cndmask_b32_e64 v5, v5, v14, s[20:21]
	v_lshlrev_b32_e32 v10, 24, v10
	v_lshlrev_b32_e32 v5, 20, v5
	v_and_b32_e32 v10, 0x80000000, v10
	v_lshl_add_u32 v11, v11, 23, v50
	v_or3_b32 v5, v10, v11, v5
.LBB4_1409:                             ;   in Loop: Header=BB4_1027 Depth=2
	s_or_b64 exec, exec, s[92:93]
.LBB4_1410:                             ;   in Loop: Header=BB4_1027 Depth=2
	s_or_b64 exec, exec, s[90:91]
.LBB4_1411:                             ;   in Loop: Header=BB4_1027 Depth=2
	s_or_b64 exec, exec, s[22:23]
	v_lshrrev_b32_e32 v10, 16, v13
	v_cmp_gt_i16_sdwa s[22:23], v10, s53 src0_sel:BYTE_0 src1_sel:DWORD
	s_mov_b64 s[20:21], 0
	s_and_saveexec_b64 s[90:91], s[22:23]
	s_xor_b64 s[22:23], exec, s[90:91]
	s_cbranch_execz .LBB4_1473
; %bb.1412:                             ;   in Loop: Header=BB4_1027 Depth=2
	v_cmp_eq_u16_sdwa s[92:93], v10, s52 src0_sel:BYTE_0 src1_sel:DWORD
	s_mov_b64 s[20:21], -1
	s_and_saveexec_b64 s[90:91], s[92:93]
; %bb.1413:                             ;   in Loop: Header=BB4_1027 Depth=2
	s_xor_b64 s[20:21], exec, -1
; %bb.1414:                             ;   in Loop: Header=BB4_1027 Depth=2
	s_or_b64 exec, exec, s[90:91]
	s_and_b64 s[20:21], s[20:21], exec
	s_or_saveexec_b64 s[22:23], s[22:23]
	v_bfrev_b32_e32 v11, 1
	s_xor_b64 exec, exec, s[22:23]
	s_cbranch_execnz .LBB4_1474
.LBB4_1415:                             ;   in Loop: Header=BB4_1027 Depth=2
	s_or_b64 exec, exec, s[22:23]
	s_and_saveexec_b64 s[22:23], s[20:21]
	s_cbranch_execz .LBB4_1417
.LBB4_1416:                             ;   in Loop: Header=BB4_1027 Depth=2
	v_and_b32_e32 v11, 7, v10
	v_ffbh_u32_e32 v14, v11
	v_min_u32_e32 v49, 32, v14
	v_subrev_u32_e32 v14, 28, v49
	v_lshlrev_b64 v[14:15], v14, v[10:11]
	v_and_b32_e32 v25, 0x7f, v10
	v_bfe_u32 v48, v10, 3, 4
	v_sub_u32_e32 v15, 29, v49
	v_and_b32_e32 v14, 7, v14
	v_cmp_gt_u32_e64 s[20:21], 8, v25
	v_cndmask_b32_e64 v15, v48, v15, s[20:21]
	v_cndmask_b32_e64 v11, v11, v14, s[20:21]
	v_lshlrev_b32_e32 v10, 24, v10
	v_lshlrev_b32_e32 v11, 20, v11
	v_and_b32_e32 v10, 0x80000000, v10
	v_lshl_add_u32 v14, v15, 23, v50
	v_or3_b32 v10, v10, v14, v11
	v_cmp_ne_u32_e64 s[20:21], s53, v25
	v_cndmask_b32_e64 v11, v45, v10, s[20:21]
.LBB4_1417:                             ;   in Loop: Header=BB4_1027 Depth=2
	s_or_b64 exec, exec, s[22:23]
	v_add_f32_e32 v10, v5, v11
	v_and_b32_e32 v52, 0x7f800000, v10
	v_cmp_ne_u64_e64 s[20:21], s[56:57], v[52:53]
                                        ; implicit-def: $vgpr5
	s_and_saveexec_b64 s[22:23], s[20:21]
	s_xor_b64 s[90:91], exec, s[22:23]
	s_cbranch_execz .LBB4_1431
; %bb.1418:                             ;   in Loop: Header=BB4_1027 Depth=2
	v_and_b32_e32 v52, 0x7fffffff, v10
	v_cmp_gt_u64_e64 s[20:21], s[58:59], v[52:53]
	v_and_b32_sdwa v25, v10, s52 dst_sel:DWORD dst_unused:UNUSED_PAD src0_sel:BYTE_3 src1_sel:DWORD
                                        ; implicit-def: $vgpr5
	s_and_saveexec_b64 s[22:23], s[20:21]
	s_xor_b64 s[92:93], exec, s[22:23]
	s_cbranch_execz .LBB4_1428
; %bb.1419:                             ;   in Loop: Header=BB4_1027 Depth=2
	v_mov_b32_e32 v5, 0
	v_cmp_ne_u32_e64 s[20:21], 0, v10
	s_and_saveexec_b64 s[94:95], s[20:21]
	s_cbranch_execz .LBB4_1427
; %bb.1420:                             ;   in Loop: Header=BB4_1027 Depth=2
	v_bfe_u32 v5, v10, 23, 8
	v_and_b32_e32 v11, 0x7fffff, v10
	v_cmp_gt_u32_e64 s[22:23], s54, v5
	v_sub_u32_e32 v10, 0x79, v5
	v_cmp_eq_u32_e64 s[20:21], 0, v5
	v_cndmask_b32_e64 v10, 0, v10, s[22:23]
	v_mov_b32_e32 v15, 0x78
	v_cndmask_b32_e64 v48, v10, v15, s[20:21]
	v_or_b32_e32 v14, 0x800000, v11
	v_add_u32_e32 v10, 20, v48
	v_cndmask_b32_e64 v52, v14, v11, s[20:21]
	v_lshlrev_b64 v[10:11], v10, -1
	v_add_u32_e32 v14, 19, v48
	v_lshlrev_b64 v[14:15], v14, 1
	v_bfi_b32 v11, v11, 0, 0
	v_bfi_b32 v10, v10, 0, v52
	v_cmp_eq_u64_e64 s[22:23], v[10:11], v[14:15]
	v_lshrrev_b64 v[10:11], v48, v[52:53]
	v_mov_b32_e32 v15, v11
	v_mov_b32_e32 v14, v10
	s_and_saveexec_b64 s[30:31], s[22:23]
; %bb.1421:                             ;   in Loop: Header=BB4_1027 Depth=2
	v_bfe_u32 v11, v10, 20, 1
	v_add_co_u32_e64 v11, s[22:23], v10, v11
	v_add_co_u32_e64 v14, s[22:23], -1, v11
; %bb.1422:                             ;   in Loop: Header=BB4_1027 Depth=2
	s_or_b64 exec, exec, s[30:31]
	v_add_u32_e32 v5, 0xffffff81, v5
	v_mov_b32_e32 v11, 0xffffff82
	v_cndmask_b32_e64 v5, v5, v11, s[20:21]
	v_lshrrev_b32_e32 v11, 23, v10
	v_add3_u32 v48, v48, v5, v11
	v_add_u32_e32 v15, 6, v48
	v_and_b32_e32 v5, 0xfffff, v14
	v_add_u32_e32 v52, v5, v10
	v_cmp_ne_u32_e64 s[20:21], 0, v15
                                        ; implicit-def: $vgpr10_vgpr11
                                        ; implicit-def: $vgpr5
	s_and_saveexec_b64 s[22:23], s[20:21]
	s_xor_b64 s[22:23], exec, s[22:23]
; %bb.1423:                             ;   in Loop: Header=BB4_1027 Depth=2
	v_cmp_lt_u64_e64 s[20:21], s[60:61], v[52:53]
	v_add_u32_e32 v5, 7, v48
	v_cndmask_b32_e64 v10, 0, 1, s[20:21]
	v_cndmask_b32_e64 v5, v15, v5, s[20:21]
	v_lshrrev_b64 v[10:11], v10, v[52:53]
; %bb.1424:                             ;   in Loop: Header=BB4_1027 Depth=2
	s_andn2_saveexec_b64 s[20:21], s[22:23]
; %bb.1425:                             ;   in Loop: Header=BB4_1027 Depth=2
	v_mov_b32_e32 v10, v52
	v_bfe_u32 v5, v52, 23, 1
	v_mov_b32_e32 v11, v53
; %bb.1426:                             ;   in Loop: Header=BB4_1027 Depth=2
	s_or_b64 exec, exec, s[20:21]
	v_lshrrev_b64 v[10:11], 20, v[10:11]
	v_cmp_gt_i32_e64 s[20:21], 16, v5
	v_cndmask_b32_e64 v11, 0, v11, s[20:21]
	v_cndmask_b32_e64 v10, 7, v10, s[20:21]
	v_cmp_eq_u32_e64 s[20:21], 0, v5
	v_min_i32_e32 v5, 15, v5
	v_cmp_eq_u64_e64 s[22:23], 0, v[10:11]
	v_lshlrev_b32_e32 v5, 3, v5
	v_and_b32_e32 v5, 0xf8, v5
	v_and_or_b32 v5, v10, 7, v5
	s_and_b64 s[20:21], s[20:21], s[22:23]
	v_cndmask_b32_e64 v5, v5, 0, s[20:21]
	v_or_b32_e32 v5, v5, v25
.LBB4_1427:                             ;   in Loop: Header=BB4_1027 Depth=2
	s_or_b64 exec, exec, s[94:95]
                                        ; implicit-def: $vgpr25
.LBB4_1428:                             ;   in Loop: Header=BB4_1027 Depth=2
	s_andn2_saveexec_b64 s[20:21], s[92:93]
; %bb.1429:                             ;   in Loop: Header=BB4_1027 Depth=2
	v_or_b32_e32 v5, 0x7e, v25
; %bb.1430:                             ;   in Loop: Header=BB4_1027 Depth=2
	s_or_b64 exec, exec, s[20:21]
                                        ; implicit-def: $vgpr10
.LBB4_1431:                             ;   in Loop: Header=BB4_1027 Depth=2
	s_andn2_saveexec_b64 s[20:21], s[90:91]
; %bb.1432:                             ;   in Loop: Header=BB4_1027 Depth=2
	v_or_b32_sdwa v5, v10, s53 dst_sel:DWORD dst_unused:UNUSED_PAD src0_sel:BYTE_3 src1_sel:DWORD
; %bb.1433:                             ;   in Loop: Header=BB4_1027 Depth=2
	s_or_b64 exec, exec, s[20:21]
	v_cmp_lt_u64_e64 s[20:21], s[62:63], v[16:17]
	v_mov_b32_e32 v11, 0
	s_and_saveexec_b64 s[22:23], s[20:21]
	s_cbranch_execz .LBB4_1439
; %bb.1434:                             ;   in Loop: Header=BB4_1027 Depth=2
	v_lshrrev_b32_e32 v10, 24, v17
	v_cmp_ne_u32_e64 s[20:21], s52, v10
	v_bfrev_b32_e32 v11, 1
	s_and_saveexec_b64 s[90:91], s[20:21]
	s_cbranch_execz .LBB4_1438
; %bb.1435:                             ;   in Loop: Header=BB4_1027 Depth=2
	v_bfe_u32 v14, v17, 24, 7
	v_cmp_ne_u32_e64 s[20:21], s53, v14
	v_mov_b32_e32 v11, 0x7f800001
	s_and_saveexec_b64 s[92:93], s[20:21]
	s_cbranch_execz .LBB4_1437
; %bb.1436:                             ;   in Loop: Header=BB4_1027 Depth=2
	v_and_b32_e32 v11, 7, v10
	v_lshrrev_b32_e32 v16, 3, v14
	v_cmp_gt_u32_e64 s[20:21], 8, v14
	v_ffbh_u32_e32 v14, v11
	v_min_u32_e32 v17, 32, v14
	v_subrev_u32_e32 v14, 28, v17
	v_lshlrev_b64 v[14:15], v14, v[10:11]
	v_sub_u32_e32 v15, 29, v17
	v_and_b32_e32 v14, 7, v14
	v_cndmask_b32_e64 v15, v16, v15, s[20:21]
	v_cndmask_b32_e64 v11, v11, v14, s[20:21]
	v_lshlrev_b32_e32 v10, 24, v10
	v_lshlrev_b32_e32 v11, 20, v11
	v_and_b32_e32 v10, 0x80000000, v10
	v_lshl_add_u32 v14, v15, 23, v50
	v_or3_b32 v11, v10, v14, v11
.LBB4_1437:                             ;   in Loop: Header=BB4_1027 Depth=2
	s_or_b64 exec, exec, s[92:93]
.LBB4_1438:                             ;   in Loop: Header=BB4_1027 Depth=2
	s_or_b64 exec, exec, s[90:91]
.LBB4_1439:                             ;   in Loop: Header=BB4_1027 Depth=2
	s_or_b64 exec, exec, s[22:23]
	v_bfe_u32 v16, v13, 24, 3
	v_ffbh_u32_e32 v14, v16
	v_min_u32_e32 v48, 32, v14
	v_lshrrev_b32_e32 v10, 24, v13
	v_subrev_u32_e32 v14, 28, v48
	v_lshlrev_b64 v[14:15], v14, v[10:11]
	v_bfe_u32 v17, v13, 24, 7
	v_bfe_u32 v25, v10, 3, 4
	v_sub_u32_e32 v15, 29, v48
	v_and_b32_e32 v14, 7, v14
	v_cmp_gt_u32_e64 s[20:21], 8, v17
	v_cndmask_b32_e64 v15, v25, v15, s[20:21]
	v_cndmask_b32_e64 v14, v16, v14, s[20:21]
	v_lshlrev_b32_e32 v14, 20, v14
	v_and_b32_e32 v16, 0x80000000, v13
	v_lshl_add_u32 v15, v15, 23, v50
	v_or3_b32 v14, v16, v15, v14
	v_cmp_ne_u32_e64 s[20:21], s53, v17
	v_cndmask_b32_e64 v14, v45, v14, s[20:21]
	v_cmp_ne_u32_e64 s[20:21], s52, v10
	v_cndmask_b32_e64 v10, v56, v14, s[20:21]
	v_cmp_lt_u64_e64 s[20:21], s[62:63], v[12:13]
	v_cndmask_b32_e64 v10, 0, v10, s[20:21]
	v_add_f32_e32 v11, v10, v11
	v_and_b32_e32 v52, 0x7f800000, v11
	v_cmp_ne_u64_e64 s[20:21], s[56:57], v[52:53]
                                        ; implicit-def: $vgpr10
	s_and_saveexec_b64 s[22:23], s[20:21]
	s_xor_b64 s[90:91], exec, s[22:23]
	s_cbranch_execz .LBB4_1453
; %bb.1440:                             ;   in Loop: Header=BB4_1027 Depth=2
	v_and_b32_e32 v52, 0x7fffffff, v11
	v_cmp_gt_u64_e64 s[20:21], s[58:59], v[52:53]
	v_and_b32_sdwa v13, v11, s52 dst_sel:DWORD dst_unused:UNUSED_PAD src0_sel:BYTE_3 src1_sel:DWORD
                                        ; implicit-def: $vgpr10
	s_and_saveexec_b64 s[22:23], s[20:21]
	s_xor_b64 s[92:93], exec, s[22:23]
	s_cbranch_execz .LBB4_1450
; %bb.1441:                             ;   in Loop: Header=BB4_1027 Depth=2
	v_mov_b32_e32 v10, 0
	v_cmp_ne_u32_e64 s[20:21], 0, v11
	s_and_saveexec_b64 s[94:95], s[20:21]
	s_cbranch_execz .LBB4_1449
; %bb.1442:                             ;   in Loop: Header=BB4_1027 Depth=2
	v_bfe_u32 v14, v11, 23, 8
	v_and_b32_e32 v10, 0x7fffff, v11
	v_cmp_gt_u32_e64 s[22:23], s54, v14
	v_sub_u32_e32 v11, 0x79, v14
	v_cmp_eq_u32_e64 s[20:21], 0, v14
	v_cndmask_b32_e64 v11, 0, v11, s[22:23]
	v_mov_b32_e32 v15, 0x78
	v_or_b32_e32 v12, 0x800000, v10
	v_cndmask_b32_e64 v15, v11, v15, s[20:21]
	v_cndmask_b32_e64 v52, v12, v10, s[20:21]
	v_add_u32_e32 v10, 20, v15
	v_lshlrev_b64 v[10:11], v10, -1
	v_add_u32_e32 v12, 19, v15
	v_lshlrev_b64 v[16:17], v12, 1
	v_bfi_b32 v11, v11, 0, 0
	v_bfi_b32 v10, v10, 0, v52
	v_cmp_eq_u64_e64 s[22:23], v[10:11], v[16:17]
	v_lshrrev_b64 v[10:11], v15, v[52:53]
	v_mov_b32_e32 v12, v11
	v_mov_b32_e32 v11, v10
	s_and_saveexec_b64 s[30:31], s[22:23]
; %bb.1443:                             ;   in Loop: Header=BB4_1027 Depth=2
	v_bfe_u32 v11, v10, 20, 1
	v_add_co_u32_e64 v11, s[22:23], v10, v11
	v_add_co_u32_e64 v11, s[22:23], -1, v11
; %bb.1444:                             ;   in Loop: Header=BB4_1027 Depth=2
	s_or_b64 exec, exec, s[30:31]
	v_add_u32_e32 v12, 0xffffff81, v14
	v_mov_b32_e32 v14, 0xffffff82
	v_cndmask_b32_e64 v12, v12, v14, s[20:21]
	v_lshrrev_b32_e32 v14, 23, v10
	v_add3_u32 v15, v15, v12, v14
	v_add_u32_e32 v14, 6, v15
	v_and_b32_e32 v11, 0xfffff, v11
	v_add_u32_e32 v52, v11, v10
	v_cmp_ne_u32_e64 s[20:21], 0, v14
                                        ; implicit-def: $vgpr10_vgpr11
                                        ; implicit-def: $vgpr12
	s_and_saveexec_b64 s[22:23], s[20:21]
	s_xor_b64 s[22:23], exec, s[22:23]
; %bb.1445:                             ;   in Loop: Header=BB4_1027 Depth=2
	v_cmp_lt_u64_e64 s[20:21], s[60:61], v[52:53]
	v_add_u32_e32 v10, 7, v15
	v_cndmask_b32_e64 v12, v14, v10, s[20:21]
	v_cndmask_b32_e64 v10, 0, 1, s[20:21]
	v_lshrrev_b64 v[10:11], v10, v[52:53]
; %bb.1446:                             ;   in Loop: Header=BB4_1027 Depth=2
	s_andn2_saveexec_b64 s[20:21], s[22:23]
; %bb.1447:                             ;   in Loop: Header=BB4_1027 Depth=2
	v_mov_b32_e32 v10, v52
	v_bfe_u32 v12, v52, 23, 1
	v_mov_b32_e32 v11, v53
; %bb.1448:                             ;   in Loop: Header=BB4_1027 Depth=2
	s_or_b64 exec, exec, s[20:21]
	v_lshrrev_b64 v[10:11], 20, v[10:11]
	v_cmp_gt_i32_e64 s[20:21], 16, v12
	v_cndmask_b32_e64 v11, 0, v11, s[20:21]
	v_cndmask_b32_e64 v10, 7, v10, s[20:21]
	v_cmp_eq_u64_e64 s[22:23], 0, v[10:11]
	v_min_i32_e32 v11, 15, v12
	v_lshlrev_b32_e32 v11, 3, v11
	v_cmp_eq_u32_e64 s[20:21], 0, v12
	v_and_b32_e32 v11, 0xf8, v11
	v_and_or_b32 v10, v10, 7, v11
	s_and_b64 s[20:21], s[20:21], s[22:23]
	v_cndmask_b32_e64 v10, v10, 0, s[20:21]
	v_or_b32_e32 v10, v10, v13
.LBB4_1449:                             ;   in Loop: Header=BB4_1027 Depth=2
	s_or_b64 exec, exec, s[94:95]
                                        ; implicit-def: $vgpr13
.LBB4_1450:                             ;   in Loop: Header=BB4_1027 Depth=2
	s_andn2_saveexec_b64 s[20:21], s[92:93]
; %bb.1451:                             ;   in Loop: Header=BB4_1027 Depth=2
	v_or_b32_e32 v10, 0x7e, v13
; %bb.1452:                             ;   in Loop: Header=BB4_1027 Depth=2
	s_or_b64 exec, exec, s[20:21]
                                        ; implicit-def: $vgpr11
.LBB4_1453:                             ;   in Loop: Header=BB4_1027 Depth=2
	s_andn2_saveexec_b64 s[20:21], s[90:91]
	s_cbranch_execz .LBB4_1026
; %bb.1454:                             ;   in Loop: Header=BB4_1027 Depth=2
	v_or_b32_sdwa v10, v11, s53 dst_sel:DWORD dst_unused:UNUSED_PAD src0_sel:BYTE_3 src1_sel:DWORD
	s_branch .LBB4_1026
.LBB4_1455:                             ;   in Loop: Header=BB4_1027 Depth=2
	s_or_saveexec_b64 s[22:23], s[22:23]
	v_bfrev_b32_e32 v4, 1
	s_xor_b64 exec, exec, s[22:23]
	s_cbranch_execz .LBB4_1037
.LBB4_1456:                             ;   in Loop: Header=BB4_1027 Depth=2
	v_cmp_ne_u16_sdwa s[90:91], v10, v53 src0_sel:BYTE_0 src1_sel:DWORD
	s_andn2_b64 s[20:21], s[20:21], exec
	s_and_b64 s[90:91], s[90:91], exec
	v_mov_b32_e32 v4, 0
	s_or_b64 s[20:21], s[20:21], s[90:91]
	s_or_b64 exec, exec, s[22:23]
	s_and_saveexec_b64 s[22:23], s[20:21]
	s_cbranch_execnz .LBB4_1038
	s_branch .LBB4_1039
.LBB4_1457:                             ;   in Loop: Header=BB4_1027 Depth=2
	s_or_saveexec_b64 s[90:91], s[90:91]
	v_bfrev_b32_e32 v4, 1
	s_xor_b64 exec, exec, s[90:91]
	s_cbranch_execz .LBB4_1065
.LBB4_1458:                             ;   in Loop: Header=BB4_1027 Depth=2
	v_cmp_ne_u16_e64 s[20:21], 0, v52
	s_andn2_b64 s[22:23], s[22:23], exec
	s_and_b64 s[20:21], s[20:21], exec
	v_mov_b32_e32 v4, 0
	s_or_b64 s[22:23], s[22:23], s[20:21]
	s_or_b64 exec, exec, s[90:91]
	s_and_saveexec_b64 s[90:91], s[22:23]
	s_cbranch_execnz .LBB4_1066
	s_branch .LBB4_1067
.LBB4_1459:                             ;   in Loop: Header=BB4_1027 Depth=2
	s_or_saveexec_b64 s[22:23], s[22:23]
	v_bfrev_b32_e32 v4, 1
	s_xor_b64 exec, exec, s[22:23]
	s_cbranch_execz .LBB4_1093
.LBB4_1460:                             ;   in Loop: Header=BB4_1027 Depth=2
	v_cmp_ne_u16_sdwa s[90:91], v24, v53 src0_sel:BYTE_0 src1_sel:DWORD
	s_andn2_b64 s[20:21], s[20:21], exec
	s_and_b64 s[90:91], s[90:91], exec
	v_mov_b32_e32 v4, 0
	s_or_b64 s[20:21], s[20:21], s[90:91]
	s_or_b64 exec, exec, s[22:23]
	s_and_saveexec_b64 s[22:23], s[20:21]
	s_cbranch_execnz .LBB4_1094
	s_branch .LBB4_1095
.LBB4_1461:                             ;   in Loop: Header=BB4_1027 Depth=2
	s_or_saveexec_b64 s[90:91], s[90:91]
	v_bfrev_b32_e32 v5, 1
	s_xor_b64 exec, exec, s[90:91]
	s_cbranch_execz .LBB4_1173
.LBB4_1462:                             ;   in Loop: Header=BB4_1027 Depth=2
	v_cmp_ne_u16_e64 s[20:21], 0, v52
	s_andn2_b64 s[22:23], s[22:23], exec
	s_and_b64 s[20:21], s[20:21], exec
	v_mov_b32_e32 v5, 0
	s_or_b64 s[22:23], s[22:23], s[20:21]
	s_or_b64 exec, exec, s[90:91]
	s_and_saveexec_b64 s[90:91], s[22:23]
	s_cbranch_execnz .LBB4_1174
	s_branch .LBB4_1175
.LBB4_1463:                             ;   in Loop: Header=BB4_1027 Depth=2
	s_or_saveexec_b64 s[22:23], s[22:23]
	v_bfrev_b32_e32 v5, 1
	s_xor_b64 exec, exec, s[22:23]
	s_cbranch_execz .LBB4_1201
.LBB4_1464:                             ;   in Loop: Header=BB4_1027 Depth=2
	v_cmp_ne_u16_sdwa s[90:91], v24, v53 src0_sel:BYTE_0 src1_sel:DWORD
	s_andn2_b64 s[20:21], s[20:21], exec
	s_and_b64 s[90:91], s[90:91], exec
	v_mov_b32_e32 v5, 0
	s_or_b64 s[20:21], s[20:21], s[90:91]
	s_or_b64 exec, exec, s[22:23]
	s_and_saveexec_b64 s[22:23], s[20:21]
	s_cbranch_execnz .LBB4_1202
	s_branch .LBB4_1203
.LBB4_1465:                             ;   in Loop: Header=BB4_1027 Depth=2
	s_or_saveexec_b64 s[22:23], s[22:23]
	v_bfrev_b32_e32 v5, 1
	s_xor_b64 exec, exec, s[22:23]
	s_cbranch_execz .LBB4_1251
.LBB4_1466:                             ;   in Loop: Header=BB4_1027 Depth=2
	v_cmp_ne_u16_sdwa s[90:91], v12, v53 src0_sel:BYTE_0 src1_sel:DWORD
	s_andn2_b64 s[20:21], s[20:21], exec
	s_and_b64 s[90:91], s[90:91], exec
	v_mov_b32_e32 v5, 0
	s_or_b64 s[20:21], s[20:21], s[90:91]
	s_or_b64 exec, exec, s[22:23]
	s_and_saveexec_b64 s[22:23], s[20:21]
	s_cbranch_execnz .LBB4_1252
	s_branch .LBB4_1253
.LBB4_1467:                             ;   in Loop: Header=BB4_1027 Depth=2
	s_or_saveexec_b64 s[90:91], s[90:91]
	v_bfrev_b32_e32 v5, 1
	s_xor_b64 exec, exec, s[90:91]
	s_cbranch_execz .LBB4_1279
.LBB4_1468:                             ;   in Loop: Header=BB4_1027 Depth=2
	v_cmp_ne_u16_e64 s[20:21], 0, v52
	s_andn2_b64 s[22:23], s[22:23], exec
	s_and_b64 s[20:21], s[20:21], exec
	v_mov_b32_e32 v5, 0
	s_or_b64 s[22:23], s[22:23], s[20:21]
	s_or_b64 exec, exec, s[90:91]
	s_and_saveexec_b64 s[90:91], s[22:23]
	s_cbranch_execnz .LBB4_1280
	s_branch .LBB4_1281
.LBB4_1469:                             ;   in Loop: Header=BB4_1027 Depth=2
	s_or_saveexec_b64 s[22:23], s[22:23]
	v_bfrev_b32_e32 v5, 1
	s_xor_b64 exec, exec, s[22:23]
	s_cbranch_execz .LBB4_1307
.LBB4_1470:                             ;   in Loop: Header=BB4_1027 Depth=2
	v_cmp_ne_u16_sdwa s[90:91], v10, v53 src0_sel:BYTE_0 src1_sel:DWORD
	s_andn2_b64 s[20:21], s[20:21], exec
	s_and_b64 s[90:91], s[90:91], exec
	v_mov_b32_e32 v5, 0
	s_or_b64 s[20:21], s[20:21], s[90:91]
	s_or_b64 exec, exec, s[22:23]
	s_and_saveexec_b64 s[22:23], s[20:21]
	s_cbranch_execnz .LBB4_1308
	s_branch .LBB4_1309
.LBB4_1471:                             ;   in Loop: Header=BB4_1027 Depth=2
	s_or_saveexec_b64 s[90:91], s[90:91]
	v_bfrev_b32_e32 v5, 1
	s_xor_b64 exec, exec, s[90:91]
	s_cbranch_execz .LBB4_1387
.LBB4_1472:                             ;   in Loop: Header=BB4_1027 Depth=2
	v_cmp_ne_u16_e64 s[20:21], 0, v52
	s_andn2_b64 s[22:23], s[22:23], exec
	s_and_b64 s[20:21], s[20:21], exec
	v_mov_b32_e32 v5, 0
	s_or_b64 s[22:23], s[22:23], s[20:21]
	s_or_b64 exec, exec, s[90:91]
	s_and_saveexec_b64 s[90:91], s[22:23]
	s_cbranch_execnz .LBB4_1388
	s_branch .LBB4_1389
.LBB4_1473:                             ;   in Loop: Header=BB4_1027 Depth=2
	s_or_saveexec_b64 s[22:23], s[22:23]
	v_bfrev_b32_e32 v11, 1
	s_xor_b64 exec, exec, s[22:23]
	s_cbranch_execz .LBB4_1415
.LBB4_1474:                             ;   in Loop: Header=BB4_1027 Depth=2
	v_cmp_ne_u16_sdwa s[90:91], v10, v53 src0_sel:BYTE_0 src1_sel:DWORD
	s_andn2_b64 s[20:21], s[20:21], exec
	s_and_b64 s[90:91], s[90:91], exec
	v_mov_b32_e32 v11, 0
	s_or_b64 s[20:21], s[20:21], s[90:91]
	s_or_b64 exec, exec, s[22:23]
	s_and_saveexec_b64 s[22:23], s[20:21]
	s_cbranch_execnz .LBB4_1416
	s_branch .LBB4_1417
.LBB4_1475:                             ;   in Loop: Header=BB4_49 Depth=1
	s_or_b64 exec, exec, s[88:89]
.LBB4_1476:                             ;   in Loop: Header=BB4_49 Depth=1
	s_or_b64 exec, exec, s[78:79]
	v_and_b32_e32 v0, 15, v57
	v_cndmask_b32_e32 v2, v1, v0, vcc
	v_mov_b32_e32 v14, 0
	v_cmp_ne_u32_e64 s[20:21], 0, v2
	s_mov_b64 s[22:23], 0
                                        ; implicit-def: $vgpr40
                                        ; implicit-def: $vgpr0
	s_and_saveexec_b64 s[78:79], s[20:21]
	s_cbranch_execz .LBB4_1478
; %bb.1477:                             ;   in Loop: Header=BB4_49 Depth=1
	v_and_b32_e32 v0, 0x3f0, v57
	v_cndmask_b32_e32 v0, 0, v0, vcc
	v_and_or_b32 v14, v57, s55, v0
	buffer_load_dword v0, off, s[0:3], s33 offset:68 ; 4-byte Folded Reload
	v_cmp_lt_i32_e32 vcc, 0, v27
	s_mov_b64 s[22:23], exec
	s_waitcnt vmcnt(0)
	v_cndmask_b32_e32 v0, 0, v0, vcc
	v_sub_u32_e32 v0, v0, v27
	v_lshl_add_u32 v40, v0, 6, v26
	v_ashrrev_i32_e32 v0, 31, v40
	v_lshrrev_b32_e32 v0, 26, v0
	v_add_u32_e32 v0, v40, v0
	v_ashrrev_i32_e32 v0, 6, v0
.LBB4_1478:                             ;   in Loop: Header=BB4_49 Depth=1
	s_or_b64 exec, exec, s[78:79]
	s_and_b64 s[20:21], s[22:23], exec
.LBB4_1479:                             ;   in Loop: Header=BB4_49 Depth=1
	s_or_b64 exec, exec, s[76:77]
	buffer_load_dword v21, off, s[0:3], s33 offset:180 ; 4-byte Folded Reload
	buffer_load_dword v22, off, s[0:3], s33 offset:184 ; 4-byte Folded Reload
	;; [unrolled: 1-line block ×5, first 2 shown]
	v_mov_b32_e32 v24, 1
	v_mov_b32_e32 v25, 0xc8
	;; [unrolled: 1-line block ×3, first 2 shown]
	s_and_saveexec_b64 s[22:23], s[20:21]
	s_cbranch_execz .LBB4_2032
.LBB4_1480:                             ;   in Loop: Header=BB4_49 Depth=1
	v_lshrrev_b32_e32 v1, 10, v2
	v_sub_u32_e32 v20, v1, v0
	s_waitcnt vmcnt(0)
	v_ashrrev_i32_e32 v1, 31, v40
	v_cmp_lt_i32_e32 vcc, 0, v20
	v_lshrrev_b32_e32 v10, 26, v1
	s_and_saveexec_b64 s[76:77], vcc
	s_cbranch_execz .LBB4_1996
; %bb.1481:                             ;   in Loop: Header=BB4_49 Depth=1
	v_add_u32_e32 v1, v40, v10
	v_and_b32_e32 v1, 0xffffffc0, v1
	buffer_store_dword v57, off, s[0:3], s33 offset:164 ; 4-byte Folded Spill
	buffer_store_dword v10, off, s[0:3], s33 offset:172 ; 4-byte Folded Spill
	v_sub_u32_e32 v1, v40, v1
	v_lshlrev_b32_e32 v0, 10, v0
	v_mov_b32_e32 v11, v5
	v_mov_b32_e32 v10, v4
	buffer_store_dword v14, off, s[0:3], s33 offset:72 ; 4-byte Folded Spill
	v_add3_u32 v4, v14, v1, v0
	s_trap 2
	ds_read_b64 v[0:1], v0
	v_ashrrev_i32_e32 v5, 31, v4
	v_add_co_u32_e32 v10, vcc, v4, v10
	v_addc_co_u32_e32 v11, vcc, v5, v11, vcc
	s_waitcnt lgkmcnt(0)
	v_add_co_u32_e32 v12, vcc, v0, v4
	v_addc_co_u32_e32 v13, vcc, v1, v5, vcc
	v_add_co_u32_e32 v0, vcc, 0x3c0, v59
	v_addc_co_u32_e32 v1, vcc, 0, v60, vcc
	;; [unrolled: 2-line block ×3, first 2 shown]
	s_mov_b64 s[78:79], 0
	s_branch .LBB4_1483
.LBB4_1482:                             ;   in Loop: Header=BB4_1483 Depth=2
	s_or_b64 exec, exec, s[20:21]
	v_add_co_u32_e32 v16, vcc, 0xfffffc40, v14
	v_addc_co_u32_e32 v17, vcc, -1, v15, vcc
	flat_store_byte v[16:17], v23 glc slc
	v_add_co_u32_e32 v16, vcc, 0xfffffc80, v14
	v_addc_co_u32_e32 v17, vcc, -1, v15, vcc
	flat_store_byte v[16:17], v26 glc slc
	;; [unrolled: 3-line block ×15, first 2 shown]
	flat_store_byte v[14:15], v4 glc slc
	buffer_load_dword v1, off, s[0:3], s33 offset:76 ; 4-byte Folded Reload
	s_nop 0
	buffer_load_dword v0, off, s[0:3], s33 offset:68 ; 4-byte Folded Reload
	s_waitcnt vmcnt(0)
	v_add_co_u32_e32 v10, vcc, v10, v1
	v_addc_co_u32_e32 v11, vcc, 0, v11, vcc
	v_add_co_u32_e32 v12, vcc, v12, v1
	v_addc_co_u32_e32 v13, vcc, 0, v13, vcc
	v_sub_u32_e32 v20, v20, v0
	v_cmp_gt_i32_e32 vcc, 1, v20
	s_or_b64 s[78:79], vcc, s[78:79]
	v_add_co_u32_e32 v14, vcc, v14, v1
	v_addc_co_u32_e32 v15, vcc, 0, v15, vcc
	s_andn2_b64 exec, exec, s[78:79]
	s_cbranch_execz .LBB4_1995
.LBB4_1483:                             ;   Parent Loop BB4_49 Depth=1
                                        ; =>  This Inner Loop Header: Depth=2
	flat_load_ubyte v26, v[10:11] glc slc
	flat_load_ubyte v5, v[10:11] offset:64 glc slc
	flat_load_ubyte v1, v[10:11] offset:128 glc slc
	;; [unrolled: 1-line block ×15, first 2 shown]
	flat_load_ubyte v17, v[12:13] glc slc
	flat_load_ubyte v4, v[12:13] offset:64 glc slc
	flat_load_ubyte v29, v[12:13] offset:128 glc slc
	;; [unrolled: 1-line block ×15, first 2 shown]
	v_mov_b32_e32 v18, 0
	v_mov_b32_e32 v23, 0
	s_waitcnt vmcnt(0) lgkmcnt(0)
	v_cmp_ne_u16_e32 vcc, 0, v26
	s_and_saveexec_b64 s[20:21], vcc
	s_cbranch_execz .LBB4_1489
; %bb.1484:                             ;   in Loop: Header=BB4_1483 Depth=2
	v_cmp_ne_u16_e32 vcc, s52, v26
	v_bfrev_b32_e32 v23, 1
	s_and_saveexec_b64 s[88:89], vcc
	s_cbranch_execz .LBB4_1488
; %bb.1485:                             ;   in Loop: Header=BB4_1483 Depth=2
	v_and_b32_e32 v16, 0xffff, v26
	v_and_b32_e32 v48, 0x7f, v16
	v_cmp_ne_u32_e32 vcc, s53, v48
	v_mov_b32_e32 v23, 0x7f800001
	s_and_saveexec_b64 s[90:91], vcc
	s_cbranch_execz .LBB4_1487
; %bb.1486:                             ;   in Loop: Header=BB4_1483 Depth=2
	v_and_b32_e32 v19, 7, v16
	v_lshrrev_b32_e32 v23, 3, v48
	v_cmp_gt_u32_e32 vcc, 8, v48
	v_ffbh_u32_e32 v48, v19
	v_min_u32_e32 v52, 32, v48
	v_subrev_u32_e32 v48, 28, v52
	v_lshlrev_b64 v[48:49], v48, v[16:17]
	v_sub_u32_e32 v16, 29, v52
	v_and_b32_e32 v48, 7, v48
	v_cndmask_b32_e32 v16, v23, v16, vcc
	v_cndmask_b32_e32 v19, v19, v48, vcc
	v_lshlrev_b32_e32 v23, 24, v26
	v_lshlrev_b32_e32 v19, 20, v19
	v_and_b32_e32 v23, 0x80000000, v23
	v_lshl_add_u32 v16, v16, 23, v50
	v_or3_b32 v23, v23, v16, v19
.LBB4_1487:                             ;   in Loop: Header=BB4_1483 Depth=2
	s_or_b64 exec, exec, s[90:91]
.LBB4_1488:                             ;   in Loop: Header=BB4_1483 Depth=2
	s_or_b64 exec, exec, s[88:89]
.LBB4_1489:                             ;   in Loop: Header=BB4_1483 Depth=2
	s_or_b64 exec, exec, s[20:21]
	v_and_b32_e32 v16, 0xff, v17
	v_cmp_ne_u16_e32 vcc, 0, v16
	s_and_saveexec_b64 s[20:21], vcc
	s_cbranch_execz .LBB4_1495
; %bb.1490:                             ;   in Loop: Header=BB4_1483 Depth=2
	v_cmp_ne_u16_e32 vcc, s52, v16
	v_bfrev_b32_e32 v18, 1
	s_and_saveexec_b64 s[88:89], vcc
	s_cbranch_execz .LBB4_1494
; %bb.1491:                             ;   in Loop: Header=BB4_1483 Depth=2
	v_and_b32_e32 v26, 0x7f, v17
	v_cmp_ne_u32_e32 vcc, s53, v26
	v_mov_b32_e32 v18, 0x7f800001
	s_and_saveexec_b64 s[90:91], vcc
	s_cbranch_execz .LBB4_1493
; %bb.1492:                             ;   in Loop: Header=BB4_1483 Depth=2
	v_and_b32_e32 v18, 7, v16
	v_lshrrev_b32_e32 v19, 3, v26
	v_cmp_gt_u32_e32 vcc, 8, v26
	v_ffbh_u32_e32 v26, v18
	v_min_u32_e32 v26, 32, v26
	v_subrev_u32_e32 v48, 28, v26
	v_lshlrev_b64 v[48:49], v48, v[16:17]
	v_sub_u32_e32 v16, 29, v26
	v_and_b32_e32 v26, 7, v48
	v_cndmask_b32_e32 v16, v19, v16, vcc
	v_cndmask_b32_e32 v18, v18, v26, vcc
	v_lshlrev_b32_e32 v17, 24, v17
	v_lshlrev_b32_e32 v18, 20, v18
	v_and_b32_e32 v17, 0x80000000, v17
	v_lshl_add_u32 v16, v16, 23, v50
	v_or3_b32 v18, v17, v16, v18
.LBB4_1493:                             ;   in Loop: Header=BB4_1483 Depth=2
	s_or_b64 exec, exec, s[90:91]
.LBB4_1494:                             ;   in Loop: Header=BB4_1483 Depth=2
	s_or_b64 exec, exec, s[88:89]
.LBB4_1495:                             ;   in Loop: Header=BB4_1483 Depth=2
	s_or_b64 exec, exec, s[20:21]
	v_add_f32_e32 v16, v23, v18
	v_and_b32_e32 v52, 0x7f800000, v16
	v_cmp_ne_u64_e32 vcc, s[56:57], v[52:53]
                                        ; implicit-def: $vgpr23
	s_and_saveexec_b64 s[20:21], vcc
	s_xor_b64 s[88:89], exec, s[20:21]
	s_cbranch_execz .LBB4_1513
; %bb.1496:                             ;   in Loop: Header=BB4_1483 Depth=2
	v_and_b32_e32 v52, 0x7fffffff, v16
	v_cmp_gt_u64_e32 vcc, s[58:59], v[52:53]
	v_and_b32_sdwa v26, v16, s52 dst_sel:DWORD dst_unused:UNUSED_PAD src0_sel:BYTE_3 src1_sel:DWORD
                                        ; implicit-def: $vgpr23
	s_and_saveexec_b64 s[20:21], vcc
	s_xor_b64 s[90:91], exec, s[20:21]
	s_cbranch_execz .LBB4_1510
; %bb.1497:                             ;   in Loop: Header=BB4_1483 Depth=2
	v_cmp_ne_u32_e32 vcc, 0, v16
	v_mov_b32_e32 v23, 0
	s_and_saveexec_b64 s[92:93], vcc
	s_cbranch_execz .LBB4_1509
; %bb.1498:                             ;   in Loop: Header=BB4_1483 Depth=2
	v_bfe_u32 v23, v16, 23, 8
	v_and_b32_e32 v17, 0x7fffff, v16
	v_cmp_gt_u32_e64 s[20:21], s54, v23
	v_sub_u32_e32 v16, 0x79, v23
	v_cmp_eq_u32_e32 vcc, 0, v23
	v_cndmask_b32_e64 v16, 0, v16, s[20:21]
	v_mov_b32_e32 v19, 0x78
	v_cndmask_b32_e32 v48, v16, v19, vcc
	v_or_b32_e32 v18, 0x800000, v17
	v_add_u32_e32 v16, 20, v48
	v_cndmask_b32_e32 v52, v18, v17, vcc
	v_lshlrev_b64 v[16:17], v16, -1
	v_add_u32_e32 v18, 19, v48
	v_lshlrev_b64 v[18:19], v18, 1
	v_bfi_b32 v17, v17, 0, 0
	v_bfi_b32 v16, v16, 0, v52
	v_cmp_eq_u64_e64 s[20:21], v[16:17], v[18:19]
	v_lshrrev_b64 v[16:17], v48, v[52:53]
	v_mov_b32_e32 v18, v17
	v_mov_b32_e32 v17, v16
	s_and_saveexec_b64 s[94:95], s[20:21]
; %bb.1499:                             ;   in Loop: Header=BB4_1483 Depth=2
	v_bfe_u32 v17, v16, 20, 1
	v_add_co_u32_e64 v17, s[20:21], v16, v17
	v_add_co_u32_e64 v17, s[20:21], -1, v17
; %bb.1500:                             ;   in Loop: Header=BB4_1483 Depth=2
	s_or_b64 exec, exec, s[94:95]
	v_add_u32_e32 v18, 0xffffff81, v23
	v_mov_b32_e32 v19, 0xffffff82
	v_cndmask_b32_e32 v18, v18, v19, vcc
	v_lshrrev_b32_e32 v19, 23, v16
	v_add3_u32 v48, v48, v18, v19
	v_add_u32_e32 v23, 6, v48
	v_and_b32_e32 v17, 0xfffff, v17
	v_add_u32_e32 v52, v17, v16
	v_cmp_ne_u32_e32 vcc, 0, v23
                                        ; implicit-def: $vgpr16_vgpr17
                                        ; implicit-def: $vgpr18
	s_and_saveexec_b64 s[20:21], vcc
	s_xor_b64 s[20:21], exec, s[20:21]
; %bb.1501:                             ;   in Loop: Header=BB4_1483 Depth=2
	v_cmp_lt_u64_e32 vcc, s[60:61], v[52:53]
	v_add_u32_e32 v16, 7, v48
	v_cndmask_b32_e32 v18, v23, v16, vcc
	v_cndmask_b32_e64 v16, 0, 1, vcc
	v_lshrrev_b64 v[16:17], v16, v[52:53]
; %bb.1502:                             ;   in Loop: Header=BB4_1483 Depth=2
	s_andn2_saveexec_b64 s[20:21], s[20:21]
; %bb.1503:                             ;   in Loop: Header=BB4_1483 Depth=2
	v_mov_b32_e32 v16, v52
	v_bfe_u32 v18, v52, 23, 1
	v_mov_b32_e32 v17, v53
; %bb.1504:                             ;   in Loop: Header=BB4_1483 Depth=2
	s_or_b64 exec, exec, s[20:21]
	v_lshrrev_b64 v[16:17], 20, v[16:17]
	v_cmp_gt_i32_e32 vcc, 16, v18
	v_cndmask_b32_e32 v17, 0, v17, vcc
	v_cndmask_b32_e32 v16, 7, v16, vcc
	v_cmp_ne_u64_e32 vcc, 0, v[16:17]
	v_cmp_ne_u32_e64 s[20:21], 0, v18
	s_or_b64 s[20:21], s[20:21], vcc
                                        ; implicit-def: $vgpr23
	s_and_saveexec_b64 s[94:95], s[20:21]
	s_xor_b64 s[20:21], exec, s[94:95]
; %bb.1505:                             ;   in Loop: Header=BB4_1483 Depth=2
	v_min_i32_e32 v17, 15, v18
	v_lshl_or_b32 v17, v17, 3, v26
	v_and_or_b32 v23, v16, 7, v17
                                        ; implicit-def: $vgpr26
; %bb.1506:                             ;   in Loop: Header=BB4_1483 Depth=2
	s_andn2_saveexec_b64 s[20:21], s[20:21]
; %bb.1507:                             ;   in Loop: Header=BB4_1483 Depth=2
	v_mov_b32_e32 v23, v26
; %bb.1508:                             ;   in Loop: Header=BB4_1483 Depth=2
	s_or_b64 exec, exec, s[20:21]
.LBB4_1509:                             ;   in Loop: Header=BB4_1483 Depth=2
	s_or_b64 exec, exec, s[92:93]
                                        ; implicit-def: $vgpr26
.LBB4_1510:                             ;   in Loop: Header=BB4_1483 Depth=2
	s_andn2_saveexec_b64 s[20:21], s[90:91]
; %bb.1511:                             ;   in Loop: Header=BB4_1483 Depth=2
	v_or_b32_e32 v23, 0x7e, v26
; %bb.1512:                             ;   in Loop: Header=BB4_1483 Depth=2
	s_or_b64 exec, exec, s[20:21]
                                        ; implicit-def: $vgpr16
.LBB4_1513:                             ;   in Loop: Header=BB4_1483 Depth=2
	s_andn2_saveexec_b64 s[20:21], s[88:89]
; %bb.1514:                             ;   in Loop: Header=BB4_1483 Depth=2
	v_or_b32_sdwa v23, v16, s53 dst_sel:DWORD dst_unused:UNUSED_PAD src0_sel:BYTE_3 src1_sel:DWORD
; %bb.1515:                             ;   in Loop: Header=BB4_1483 Depth=2
	s_or_b64 exec, exec, s[20:21]
	v_and_b32_e32 v16, 0xff, v5
	v_cmp_ne_u16_e32 vcc, 0, v16
	v_mov_b32_e32 v17, 0
	v_mov_b32_e32 v18, 0
	s_and_saveexec_b64 s[20:21], vcc
	s_cbranch_execz .LBB4_1521
; %bb.1516:                             ;   in Loop: Header=BB4_1483 Depth=2
	v_cmp_ne_u16_e32 vcc, s52, v16
	v_bfrev_b32_e32 v18, 1
	s_and_saveexec_b64 s[88:89], vcc
	s_cbranch_execz .LBB4_1520
; %bb.1517:                             ;   in Loop: Header=BB4_1483 Depth=2
	v_and_b32_e32 v26, 0x7f, v5
	v_cmp_ne_u32_e32 vcc, s53, v26
	v_mov_b32_e32 v18, 0x7f800001
	s_and_saveexec_b64 s[90:91], vcc
	s_cbranch_execz .LBB4_1519
; %bb.1518:                             ;   in Loop: Header=BB4_1483 Depth=2
	v_and_b32_e32 v48, 7, v16
	v_ffbh_u32_e32 v18, v48
	v_lshrrev_b32_e32 v49, 3, v26
	v_cmp_gt_u32_e32 vcc, 8, v26
	v_min_u32_e32 v26, 32, v18
	v_subrev_u32_e32 v18, 28, v26
	v_lshlrev_b64 v[18:19], v18, v[16:17]
	v_sub_u32_e32 v16, 29, v26
	v_and_b32_e32 v18, 7, v18
	v_cndmask_b32_e32 v16, v49, v16, vcc
	v_cndmask_b32_e32 v18, v48, v18, vcc
	v_lshlrev_b32_e32 v5, 24, v5
	v_lshlrev_b32_e32 v18, 20, v18
	v_and_b32_e32 v5, 0x80000000, v5
	v_lshl_add_u32 v16, v16, 23, v50
	v_or3_b32 v18, v5, v16, v18
.LBB4_1519:                             ;   in Loop: Header=BB4_1483 Depth=2
	s_or_b64 exec, exec, s[90:91]
.LBB4_1520:                             ;   in Loop: Header=BB4_1483 Depth=2
	s_or_b64 exec, exec, s[88:89]
.LBB4_1521:                             ;   in Loop: Header=BB4_1483 Depth=2
	s_or_b64 exec, exec, s[20:21]
	v_and_b32_e32 v16, 0xff, v4
	v_cmp_ne_u16_e32 vcc, 0, v16
	s_and_saveexec_b64 s[20:21], vcc
	s_cbranch_execz .LBB4_1527
; %bb.1522:                             ;   in Loop: Header=BB4_1483 Depth=2
	v_cmp_ne_u16_e32 vcc, s52, v16
	v_bfrev_b32_e32 v17, 1
	s_and_saveexec_b64 s[88:89], vcc
	s_cbranch_execz .LBB4_1526
; %bb.1523:                             ;   in Loop: Header=BB4_1483 Depth=2
	v_and_b32_e32 v5, 0x7f, v4
	v_cmp_ne_u32_e32 vcc, s53, v5
	v_mov_b32_e32 v17, 0x7f800001
	s_and_saveexec_b64 s[90:91], vcc
	s_cbranch_execz .LBB4_1525
; %bb.1524:                             ;   in Loop: Header=BB4_1483 Depth=2
	v_and_b32_e32 v19, 7, v16
	v_lshrrev_b32_e32 v26, 3, v5
	v_cmp_gt_u32_e32 vcc, 8, v5
	v_ffbh_u32_e32 v5, v19
	v_min_u32_e32 v5, 32, v5
	v_subrev_u32_e32 v17, 28, v5
	v_lshlrev_b64 v[16:17], v17, v[16:17]
	v_sub_u32_e32 v5, 29, v5
	v_and_b32_e32 v16, 7, v16
	v_cndmask_b32_e32 v5, v26, v5, vcc
	v_cndmask_b32_e32 v16, v19, v16, vcc
	v_lshlrev_b32_e32 v4, 24, v4
	v_lshlrev_b32_e32 v16, 20, v16
	v_and_b32_e32 v4, 0x80000000, v4
	v_lshl_add_u32 v5, v5, 23, v50
	v_or3_b32 v17, v4, v5, v16
.LBB4_1525:                             ;   in Loop: Header=BB4_1483 Depth=2
	s_or_b64 exec, exec, s[90:91]
.LBB4_1526:                             ;   in Loop: Header=BB4_1483 Depth=2
	s_or_b64 exec, exec, s[88:89]
.LBB4_1527:                             ;   in Loop: Header=BB4_1483 Depth=2
	s_or_b64 exec, exec, s[20:21]
	v_add_f32_e32 v5, v18, v17
	v_and_b32_e32 v52, 0x7f800000, v5
	v_cmp_ne_u64_e32 vcc, s[56:57], v[52:53]
                                        ; implicit-def: $vgpr26
	s_and_saveexec_b64 s[20:21], vcc
	s_xor_b64 s[88:89], exec, s[20:21]
	s_cbranch_execz .LBB4_1545
; %bb.1528:                             ;   in Loop: Header=BB4_1483 Depth=2
	v_and_b32_e32 v52, 0x7fffffff, v5
	v_cmp_gt_u64_e32 vcc, s[58:59], v[52:53]
	v_and_b32_sdwa v4, v5, s52 dst_sel:DWORD dst_unused:UNUSED_PAD src0_sel:BYTE_3 src1_sel:DWORD
                                        ; implicit-def: $vgpr26
	s_and_saveexec_b64 s[20:21], vcc
	s_xor_b64 s[90:91], exec, s[20:21]
	s_cbranch_execz .LBB4_1542
; %bb.1529:                             ;   in Loop: Header=BB4_1483 Depth=2
	v_cmp_ne_u32_e32 vcc, 0, v5
	v_mov_b32_e32 v26, 0
	s_and_saveexec_b64 s[92:93], vcc
	s_cbranch_execz .LBB4_1541
; %bb.1530:                             ;   in Loop: Header=BB4_1483 Depth=2
	v_and_b32_e32 v16, 0x7fffff, v5
	v_bfe_u32 v5, v5, 23, 8
	v_cmp_gt_u32_e64 s[20:21], s54, v5
	v_sub_u32_e32 v17, 0x79, v5
	v_cmp_eq_u32_e32 vcc, 0, v5
	v_cndmask_b32_e64 v17, 0, v17, s[20:21]
	v_mov_b32_e32 v19, 0x78
	v_or_b32_e32 v18, 0x800000, v16
	v_cndmask_b32_e32 v26, v17, v19, vcc
	v_cndmask_b32_e32 v52, v18, v16, vcc
	v_add_u32_e32 v16, 20, v26
	v_lshlrev_b64 v[16:17], v16, -1
	v_add_u32_e32 v18, 19, v26
	v_lshlrev_b64 v[18:19], v18, 1
	v_bfi_b32 v17, v17, 0, 0
	v_bfi_b32 v16, v16, 0, v52
	v_cmp_eq_u64_e64 s[20:21], v[16:17], v[18:19]
	v_lshrrev_b64 v[16:17], v26, v[52:53]
	v_mov_b32_e32 v18, v17
	v_mov_b32_e32 v17, v16
	s_and_saveexec_b64 s[94:95], s[20:21]
; %bb.1531:                             ;   in Loop: Header=BB4_1483 Depth=2
	v_bfe_u32 v17, v16, 20, 1
	v_add_co_u32_e64 v17, s[20:21], v16, v17
	v_add_co_u32_e64 v17, s[20:21], -1, v17
; %bb.1532:                             ;   in Loop: Header=BB4_1483 Depth=2
	s_or_b64 exec, exec, s[94:95]
	v_add_u32_e32 v5, 0xffffff81, v5
	v_mov_b32_e32 v18, 0xffffff82
	v_cndmask_b32_e32 v5, v5, v18, vcc
	v_lshrrev_b32_e32 v18, 23, v16
	v_add3_u32 v26, v26, v5, v18
	v_add_u32_e32 v18, 6, v26
	v_and_b32_e32 v5, 0xfffff, v17
	v_add_u32_e32 v52, v5, v16
	v_cmp_ne_u32_e32 vcc, 0, v18
                                        ; implicit-def: $vgpr16_vgpr17
                                        ; implicit-def: $vgpr5
	s_and_saveexec_b64 s[20:21], vcc
	s_xor_b64 s[20:21], exec, s[20:21]
; %bb.1533:                             ;   in Loop: Header=BB4_1483 Depth=2
	v_cmp_lt_u64_e32 vcc, s[60:61], v[52:53]
	v_add_u32_e32 v5, 7, v26
	v_cndmask_b32_e64 v16, 0, 1, vcc
	v_lshrrev_b64 v[16:17], v16, v[52:53]
	v_cndmask_b32_e32 v5, v18, v5, vcc
; %bb.1534:                             ;   in Loop: Header=BB4_1483 Depth=2
	s_andn2_saveexec_b64 s[20:21], s[20:21]
; %bb.1535:                             ;   in Loop: Header=BB4_1483 Depth=2
	v_mov_b32_e32 v16, v52
	v_bfe_u32 v5, v52, 23, 1
	v_mov_b32_e32 v17, v53
; %bb.1536:                             ;   in Loop: Header=BB4_1483 Depth=2
	s_or_b64 exec, exec, s[20:21]
	v_lshrrev_b64 v[16:17], 20, v[16:17]
	v_cmp_gt_i32_e32 vcc, 16, v5
	v_cndmask_b32_e32 v17, 0, v17, vcc
	v_cndmask_b32_e32 v16, 7, v16, vcc
	v_cmp_ne_u64_e32 vcc, 0, v[16:17]
	v_cmp_ne_u32_e64 s[20:21], 0, v5
	s_or_b64 s[20:21], s[20:21], vcc
                                        ; implicit-def: $vgpr26
	s_and_saveexec_b64 s[94:95], s[20:21]
	s_xor_b64 s[20:21], exec, s[94:95]
; %bb.1537:                             ;   in Loop: Header=BB4_1483 Depth=2
	v_min_i32_e32 v5, 15, v5
	v_lshl_or_b32 v4, v5, 3, v4
	v_and_or_b32 v26, v16, 7, v4
                                        ; implicit-def: $vgpr4
; %bb.1538:                             ;   in Loop: Header=BB4_1483 Depth=2
	s_andn2_saveexec_b64 s[20:21], s[20:21]
; %bb.1539:                             ;   in Loop: Header=BB4_1483 Depth=2
	v_mov_b32_e32 v26, v4
; %bb.1540:                             ;   in Loop: Header=BB4_1483 Depth=2
	s_or_b64 exec, exec, s[20:21]
.LBB4_1541:                             ;   in Loop: Header=BB4_1483 Depth=2
	s_or_b64 exec, exec, s[92:93]
                                        ; implicit-def: $vgpr4
.LBB4_1542:                             ;   in Loop: Header=BB4_1483 Depth=2
	s_andn2_saveexec_b64 s[20:21], s[90:91]
; %bb.1543:                             ;   in Loop: Header=BB4_1483 Depth=2
	v_or_b32_e32 v26, 0x7e, v4
; %bb.1544:                             ;   in Loop: Header=BB4_1483 Depth=2
	s_or_b64 exec, exec, s[20:21]
                                        ; implicit-def: $vgpr5
.LBB4_1545:                             ;   in Loop: Header=BB4_1483 Depth=2
	s_andn2_saveexec_b64 s[20:21], s[88:89]
; %bb.1546:                             ;   in Loop: Header=BB4_1483 Depth=2
	v_or_b32_sdwa v26, v5, s53 dst_sel:DWORD dst_unused:UNUSED_PAD src0_sel:BYTE_3 src1_sel:DWORD
; %bb.1547:                             ;   in Loop: Header=BB4_1483 Depth=2
	s_or_b64 exec, exec, s[20:21]
	v_and_b32_e32 v16, 0xff, v1
	v_cmp_ne_u16_e32 vcc, 0, v16
	v_mov_b32_e32 v4, 0
	v_mov_b32_e32 v5, 0
	s_and_saveexec_b64 s[20:21], vcc
	s_cbranch_execz .LBB4_1553
; %bb.1548:                             ;   in Loop: Header=BB4_1483 Depth=2
	v_cmp_ne_u16_e32 vcc, s52, v16
	v_bfrev_b32_e32 v5, 1
	s_and_saveexec_b64 s[88:89], vcc
	s_cbranch_execz .LBB4_1552
; %bb.1549:                             ;   in Loop: Header=BB4_1483 Depth=2
	v_and_b32_e32 v17, 0x7f, v1
	v_cmp_ne_u32_e32 vcc, s53, v17
	v_mov_b32_e32 v5, 0x7f800001
	s_and_saveexec_b64 s[90:91], vcc
	s_cbranch_execz .LBB4_1551
; %bb.1550:                             ;   in Loop: Header=BB4_1483 Depth=2
	v_and_b32_e32 v5, 7, v16
	v_lshrrev_b32_e32 v18, 3, v17
	v_cmp_gt_u32_e32 vcc, 8, v17
	v_ffbh_u32_e32 v17, v5
	v_min_u32_e32 v19, 32, v17
	v_subrev_u32_e32 v17, 28, v19
	v_lshlrev_b64 v[16:17], v17, v[16:17]
	v_sub_u32_e32 v17, 29, v19
	v_and_b32_e32 v16, 7, v16
	v_cndmask_b32_e32 v17, v18, v17, vcc
	v_cndmask_b32_e32 v5, v5, v16, vcc
	v_lshlrev_b32_e32 v1, 24, v1
	v_lshlrev_b32_e32 v5, 20, v5
	v_and_b32_e32 v1, 0x80000000, v1
	v_lshl_add_u32 v16, v17, 23, v50
	v_or3_b32 v5, v1, v16, v5
.LBB4_1551:                             ;   in Loop: Header=BB4_1483 Depth=2
	s_or_b64 exec, exec, s[90:91]
.LBB4_1552:                             ;   in Loop: Header=BB4_1483 Depth=2
	s_or_b64 exec, exec, s[88:89]
.LBB4_1553:                             ;   in Loop: Header=BB4_1483 Depth=2
	s_or_b64 exec, exec, s[20:21]
	v_and_b32_e32 v16, 0xff, v29
	v_cmp_ne_u16_e32 vcc, 0, v16
	s_and_saveexec_b64 s[20:21], vcc
	s_cbranch_execz .LBB4_1559
; %bb.1554:                             ;   in Loop: Header=BB4_1483 Depth=2
	v_cmp_ne_u16_e32 vcc, s52, v16
	v_bfrev_b32_e32 v4, 1
	s_and_saveexec_b64 s[88:89], vcc
	s_cbranch_execz .LBB4_1558
; %bb.1555:                             ;   in Loop: Header=BB4_1483 Depth=2
	v_and_b32_e32 v1, 0x7f, v29
	v_cmp_ne_u32_e32 vcc, s53, v1
	v_mov_b32_e32 v4, 0x7f800001
	s_and_saveexec_b64 s[90:91], vcc
	s_cbranch_execz .LBB4_1557
; %bb.1556:                             ;   in Loop: Header=BB4_1483 Depth=2
	v_and_b32_e32 v4, 7, v16
	v_lshrrev_b32_e32 v18, 3, v1
	v_cmp_gt_u32_e32 vcc, 8, v1
	v_ffbh_u32_e32 v1, v4
	v_min_u32_e32 v1, 32, v1
	v_subrev_u32_e32 v17, 28, v1
	v_lshlrev_b64 v[16:17], v17, v[16:17]
	v_sub_u32_e32 v1, 29, v1
	v_and_b32_e32 v16, 7, v16
	v_cndmask_b32_e32 v1, v18, v1, vcc
	v_cndmask_b32_e32 v4, v4, v16, vcc
	v_lshlrev_b32_e32 v16, 24, v29
	v_lshlrev_b32_e32 v4, 20, v4
	v_and_b32_e32 v16, 0x80000000, v16
	v_lshl_add_u32 v1, v1, 23, v50
	v_or3_b32 v4, v16, v1, v4
.LBB4_1557:                             ;   in Loop: Header=BB4_1483 Depth=2
	s_or_b64 exec, exec, s[90:91]
.LBB4_1558:                             ;   in Loop: Header=BB4_1483 Depth=2
	s_or_b64 exec, exec, s[88:89]
.LBB4_1559:                             ;   in Loop: Header=BB4_1483 Depth=2
	s_or_b64 exec, exec, s[20:21]
	v_add_f32_e32 v4, v5, v4
	v_and_b32_e32 v52, 0x7f800000, v4
	v_cmp_ne_u64_e32 vcc, s[56:57], v[52:53]
                                        ; implicit-def: $vgpr29
	s_and_saveexec_b64 s[20:21], vcc
	s_xor_b64 s[88:89], exec, s[20:21]
	s_cbranch_execz .LBB4_1577
; %bb.1560:                             ;   in Loop: Header=BB4_1483 Depth=2
	v_and_b32_e32 v52, 0x7fffffff, v4
	v_cmp_gt_u64_e32 vcc, s[58:59], v[52:53]
	v_and_b32_sdwa v1, v4, s52 dst_sel:DWORD dst_unused:UNUSED_PAD src0_sel:BYTE_3 src1_sel:DWORD
                                        ; implicit-def: $vgpr29
	s_and_saveexec_b64 s[20:21], vcc
	s_xor_b64 s[90:91], exec, s[20:21]
	s_cbranch_execz .LBB4_1574
; %bb.1561:                             ;   in Loop: Header=BB4_1483 Depth=2
	v_cmp_ne_u32_e32 vcc, 0, v4
	v_mov_b32_e32 v29, 0
	s_and_saveexec_b64 s[92:93], vcc
	s_cbranch_execz .LBB4_1573
; %bb.1562:                             ;   in Loop: Header=BB4_1483 Depth=2
	v_and_b32_e32 v16, 0x7fffff, v4
	v_bfe_u32 v4, v4, 23, 8
	v_cmp_gt_u32_e64 s[20:21], s54, v4
	v_sub_u32_e32 v5, 0x79, v4
	v_cmp_eq_u32_e32 vcc, 0, v4
	v_cndmask_b32_e64 v5, 0, v5, s[20:21]
	v_mov_b32_e32 v18, 0x78
	v_or_b32_e32 v17, 0x800000, v16
	v_cndmask_b32_e32 v5, v5, v18, vcc
	v_cndmask_b32_e32 v52, v17, v16, vcc
	v_add_u32_e32 v16, 20, v5
	v_lshlrev_b64 v[16:17], v16, -1
	v_add_u32_e32 v18, 19, v5
	v_lshlrev_b64 v[18:19], v18, 1
	v_bfi_b32 v17, v17, 0, 0
	v_bfi_b32 v16, v16, 0, v52
	v_cmp_eq_u64_e64 s[20:21], v[16:17], v[18:19]
	v_lshrrev_b64 v[16:17], v5, v[52:53]
	v_mov_b32_e32 v18, v17
	v_mov_b32_e32 v17, v16
	s_and_saveexec_b64 s[94:95], s[20:21]
; %bb.1563:                             ;   in Loop: Header=BB4_1483 Depth=2
	v_bfe_u32 v17, v16, 20, 1
	v_add_co_u32_e64 v17, s[20:21], v16, v17
	v_add_co_u32_e64 v17, s[20:21], -1, v17
; %bb.1564:                             ;   in Loop: Header=BB4_1483 Depth=2
	s_or_b64 exec, exec, s[94:95]
	v_add_u32_e32 v4, 0xffffff81, v4
	v_mov_b32_e32 v18, 0xffffff82
	v_cndmask_b32_e32 v4, v4, v18, vcc
	v_lshrrev_b32_e32 v18, 23, v16
	v_add3_u32 v18, v5, v4, v18
	v_add_u32_e32 v5, 6, v18
	v_and_b32_e32 v4, 0xfffff, v17
	v_add_u32_e32 v52, v4, v16
	v_cmp_ne_u32_e32 vcc, 0, v5
                                        ; implicit-def: $vgpr16_vgpr17
                                        ; implicit-def: $vgpr4
	s_and_saveexec_b64 s[20:21], vcc
	s_xor_b64 s[20:21], exec, s[20:21]
; %bb.1565:                             ;   in Loop: Header=BB4_1483 Depth=2
	v_cmp_lt_u64_e32 vcc, s[60:61], v[52:53]
	v_add_u32_e32 v4, 7, v18
	v_cndmask_b32_e32 v4, v5, v4, vcc
	v_cndmask_b32_e64 v5, 0, 1, vcc
	v_lshrrev_b64 v[16:17], v5, v[52:53]
; %bb.1566:                             ;   in Loop: Header=BB4_1483 Depth=2
	s_andn2_saveexec_b64 s[20:21], s[20:21]
; %bb.1567:                             ;   in Loop: Header=BB4_1483 Depth=2
	v_mov_b32_e32 v16, v52
	v_bfe_u32 v4, v52, 23, 1
	v_mov_b32_e32 v17, v53
; %bb.1568:                             ;   in Loop: Header=BB4_1483 Depth=2
	s_or_b64 exec, exec, s[20:21]
	v_lshrrev_b64 v[16:17], 20, v[16:17]
	v_cmp_gt_i32_e32 vcc, 16, v4
	v_cndmask_b32_e32 v17, 0, v17, vcc
	v_cndmask_b32_e32 v16, 7, v16, vcc
	v_cmp_ne_u64_e32 vcc, 0, v[16:17]
	v_cmp_ne_u32_e64 s[20:21], 0, v4
	s_or_b64 s[20:21], s[20:21], vcc
                                        ; implicit-def: $vgpr29
	s_and_saveexec_b64 s[94:95], s[20:21]
	s_xor_b64 s[20:21], exec, s[94:95]
; %bb.1569:                             ;   in Loop: Header=BB4_1483 Depth=2
	v_min_i32_e32 v4, 15, v4
	v_lshl_or_b32 v1, v4, 3, v1
	v_and_or_b32 v29, v16, 7, v1
                                        ; implicit-def: $vgpr1
; %bb.1570:                             ;   in Loop: Header=BB4_1483 Depth=2
	s_andn2_saveexec_b64 s[20:21], s[20:21]
; %bb.1571:                             ;   in Loop: Header=BB4_1483 Depth=2
	v_mov_b32_e32 v29, v1
; %bb.1572:                             ;   in Loop: Header=BB4_1483 Depth=2
	s_or_b64 exec, exec, s[20:21]
.LBB4_1573:                             ;   in Loop: Header=BB4_1483 Depth=2
	s_or_b64 exec, exec, s[92:93]
                                        ; implicit-def: $vgpr1
.LBB4_1574:                             ;   in Loop: Header=BB4_1483 Depth=2
	s_andn2_saveexec_b64 s[20:21], s[90:91]
; %bb.1575:                             ;   in Loop: Header=BB4_1483 Depth=2
	v_or_b32_e32 v29, 0x7e, v1
; %bb.1576:                             ;   in Loop: Header=BB4_1483 Depth=2
	s_or_b64 exec, exec, s[20:21]
                                        ; implicit-def: $vgpr4
.LBB4_1577:                             ;   in Loop: Header=BB4_1483 Depth=2
	s_andn2_saveexec_b64 s[20:21], s[88:89]
; %bb.1578:                             ;   in Loop: Header=BB4_1483 Depth=2
	v_or_b32_sdwa v29, v4, s53 dst_sel:DWORD dst_unused:UNUSED_PAD src0_sel:BYTE_3 src1_sel:DWORD
; %bb.1579:                             ;   in Loop: Header=BB4_1483 Depth=2
	s_or_b64 exec, exec, s[20:21]
	v_and_b32_e32 v16, 0xff, v21
	v_cmp_ne_u16_e32 vcc, 0, v16
	v_mov_b32_e32 v1, 0
	v_mov_b32_e32 v4, 0
	s_and_saveexec_b64 s[20:21], vcc
	s_cbranch_execz .LBB4_1585
; %bb.1580:                             ;   in Loop: Header=BB4_1483 Depth=2
	v_cmp_ne_u16_e32 vcc, s52, v16
	v_bfrev_b32_e32 v4, 1
	s_and_saveexec_b64 s[88:89], vcc
	s_cbranch_execz .LBB4_1584
; %bb.1581:                             ;   in Loop: Header=BB4_1483 Depth=2
	v_and_b32_e32 v5, 0x7f, v21
	v_cmp_ne_u32_e32 vcc, s53, v5
	v_mov_b32_e32 v4, 0x7f800001
	s_and_saveexec_b64 s[90:91], vcc
	s_cbranch_execz .LBB4_1583
; %bb.1582:                             ;   in Loop: Header=BB4_1483 Depth=2
	v_and_b32_e32 v17, 7, v16
	v_ffbh_u32_e32 v4, v17
	v_min_u32_e32 v19, 32, v4
	v_subrev_u32_e32 v4, 28, v19
	v_lshrrev_b32_e32 v18, 3, v5
	v_cmp_gt_u32_e32 vcc, 8, v5
	v_lshlrev_b64 v[4:5], v4, v[16:17]
	v_sub_u32_e32 v5, 29, v19
	v_and_b32_e32 v4, 7, v4
	v_cndmask_b32_e32 v5, v18, v5, vcc
	v_cndmask_b32_e32 v4, v17, v4, vcc
	v_lshlrev_b32_e32 v16, 24, v21
	v_lshlrev_b32_e32 v4, 20, v4
	v_and_b32_e32 v16, 0x80000000, v16
	v_lshl_add_u32 v5, v5, 23, v50
	v_or3_b32 v4, v16, v5, v4
.LBB4_1583:                             ;   in Loop: Header=BB4_1483 Depth=2
	s_or_b64 exec, exec, s[90:91]
.LBB4_1584:                             ;   in Loop: Header=BB4_1483 Depth=2
	s_or_b64 exec, exec, s[88:89]
.LBB4_1585:                             ;   in Loop: Header=BB4_1483 Depth=2
	s_or_b64 exec, exec, s[20:21]
	v_and_b32_e32 v16, 0xff, v34
	v_cmp_ne_u16_e32 vcc, 0, v16
	s_and_saveexec_b64 s[20:21], vcc
	s_cbranch_execz .LBB4_1591
; %bb.1586:                             ;   in Loop: Header=BB4_1483 Depth=2
	v_cmp_ne_u16_e32 vcc, s52, v16
	v_bfrev_b32_e32 v1, 1
	s_and_saveexec_b64 s[88:89], vcc
	s_cbranch_execz .LBB4_1590
; %bb.1587:                             ;   in Loop: Header=BB4_1483 Depth=2
	v_and_b32_e32 v5, 0x7f, v34
	v_cmp_ne_u32_e32 vcc, s53, v5
	v_mov_b32_e32 v1, 0x7f800001
	s_and_saveexec_b64 s[90:91], vcc
	s_cbranch_execz .LBB4_1589
; %bb.1588:                             ;   in Loop: Header=BB4_1483 Depth=2
	v_and_b32_e32 v1, 7, v16
	v_lshrrev_b32_e32 v18, 3, v5
	v_cmp_gt_u32_e32 vcc, 8, v5
	v_ffbh_u32_e32 v5, v1
	v_min_u32_e32 v5, 32, v5
	v_subrev_u32_e32 v17, 28, v5
	v_lshlrev_b64 v[16:17], v17, v[16:17]
	v_sub_u32_e32 v5, 29, v5
	v_and_b32_e32 v16, 7, v16
	v_cndmask_b32_e32 v5, v18, v5, vcc
	v_cndmask_b32_e32 v1, v1, v16, vcc
	v_lshlrev_b32_e32 v16, 24, v34
	v_lshlrev_b32_e32 v1, 20, v1
	v_and_b32_e32 v16, 0x80000000, v16
	v_lshl_add_u32 v5, v5, 23, v50
	v_or3_b32 v1, v16, v5, v1
.LBB4_1589:                             ;   in Loop: Header=BB4_1483 Depth=2
	s_or_b64 exec, exec, s[90:91]
.LBB4_1590:                             ;   in Loop: Header=BB4_1483 Depth=2
	s_or_b64 exec, exec, s[88:89]
.LBB4_1591:                             ;   in Loop: Header=BB4_1483 Depth=2
	s_or_b64 exec, exec, s[20:21]
	v_add_f32_e32 v4, v4, v1
	v_and_b32_e32 v52, 0x7f800000, v4
	v_cmp_ne_u64_e32 vcc, s[56:57], v[52:53]
                                        ; implicit-def: $vgpr34
	s_and_saveexec_b64 s[20:21], vcc
	s_xor_b64 s[88:89], exec, s[20:21]
	s_cbranch_execz .LBB4_1609
; %bb.1592:                             ;   in Loop: Header=BB4_1483 Depth=2
	v_and_b32_e32 v52, 0x7fffffff, v4
	v_cmp_gt_u64_e32 vcc, s[58:59], v[52:53]
	v_and_b32_sdwa v1, v4, s52 dst_sel:DWORD dst_unused:UNUSED_PAD src0_sel:BYTE_3 src1_sel:DWORD
                                        ; implicit-def: $vgpr34
	s_and_saveexec_b64 s[20:21], vcc
	s_xor_b64 s[90:91], exec, s[20:21]
	s_cbranch_execz .LBB4_1606
; %bb.1593:                             ;   in Loop: Header=BB4_1483 Depth=2
	v_cmp_ne_u32_e32 vcc, 0, v4
	v_mov_b32_e32 v34, 0
	s_and_saveexec_b64 s[92:93], vcc
	s_cbranch_execz .LBB4_1605
; %bb.1594:                             ;   in Loop: Header=BB4_1483 Depth=2
	v_and_b32_e32 v16, 0x7fffff, v4
	v_bfe_u32 v4, v4, 23, 8
	v_cmp_gt_u32_e64 s[20:21], s54, v4
	v_sub_u32_e32 v5, 0x79, v4
	v_cmp_eq_u32_e32 vcc, 0, v4
	v_cndmask_b32_e64 v5, 0, v5, s[20:21]
	v_mov_b32_e32 v18, 0x78
	v_or_b32_e32 v17, 0x800000, v16
	v_cndmask_b32_e32 v5, v5, v18, vcc
	v_cndmask_b32_e32 v52, v17, v16, vcc
	v_add_u32_e32 v16, 20, v5
	v_lshlrev_b64 v[16:17], v16, -1
	v_add_u32_e32 v18, 19, v5
	v_lshlrev_b64 v[18:19], v18, 1
	v_bfi_b32 v17, v17, 0, 0
	v_bfi_b32 v16, v16, 0, v52
	v_cmp_eq_u64_e64 s[20:21], v[16:17], v[18:19]
	v_lshrrev_b64 v[16:17], v5, v[52:53]
	v_mov_b32_e32 v18, v17
	v_mov_b32_e32 v17, v16
	s_and_saveexec_b64 s[94:95], s[20:21]
; %bb.1595:                             ;   in Loop: Header=BB4_1483 Depth=2
	v_bfe_u32 v17, v16, 20, 1
	v_add_co_u32_e64 v17, s[20:21], v16, v17
	v_add_co_u32_e64 v17, s[20:21], -1, v17
; %bb.1596:                             ;   in Loop: Header=BB4_1483 Depth=2
	s_or_b64 exec, exec, s[94:95]
	v_add_u32_e32 v4, 0xffffff81, v4
	v_mov_b32_e32 v18, 0xffffff82
	v_cndmask_b32_e32 v4, v4, v18, vcc
	v_lshrrev_b32_e32 v18, 23, v16
	v_add3_u32 v18, v5, v4, v18
	v_add_u32_e32 v5, 6, v18
	v_and_b32_e32 v4, 0xfffff, v17
	v_add_u32_e32 v52, v4, v16
	v_cmp_ne_u32_e32 vcc, 0, v5
                                        ; implicit-def: $vgpr16_vgpr17
                                        ; implicit-def: $vgpr4
	s_and_saveexec_b64 s[20:21], vcc
	s_xor_b64 s[20:21], exec, s[20:21]
; %bb.1597:                             ;   in Loop: Header=BB4_1483 Depth=2
	v_cmp_lt_u64_e32 vcc, s[60:61], v[52:53]
	v_add_u32_e32 v4, 7, v18
	v_cndmask_b32_e32 v4, v5, v4, vcc
	v_cndmask_b32_e64 v5, 0, 1, vcc
	v_lshrrev_b64 v[16:17], v5, v[52:53]
; %bb.1598:                             ;   in Loop: Header=BB4_1483 Depth=2
	s_andn2_saveexec_b64 s[20:21], s[20:21]
; %bb.1599:                             ;   in Loop: Header=BB4_1483 Depth=2
	v_mov_b32_e32 v16, v52
	v_bfe_u32 v4, v52, 23, 1
	v_mov_b32_e32 v17, v53
; %bb.1600:                             ;   in Loop: Header=BB4_1483 Depth=2
	s_or_b64 exec, exec, s[20:21]
	v_lshrrev_b64 v[16:17], 20, v[16:17]
	v_cmp_gt_i32_e32 vcc, 16, v4
	v_cndmask_b32_e32 v17, 0, v17, vcc
	v_cndmask_b32_e32 v16, 7, v16, vcc
	v_cmp_ne_u64_e32 vcc, 0, v[16:17]
	v_cmp_ne_u32_e64 s[20:21], 0, v4
	s_or_b64 s[20:21], s[20:21], vcc
                                        ; implicit-def: $vgpr34
	s_and_saveexec_b64 s[94:95], s[20:21]
	s_xor_b64 s[20:21], exec, s[94:95]
; %bb.1601:                             ;   in Loop: Header=BB4_1483 Depth=2
	v_min_i32_e32 v4, 15, v4
	v_lshl_or_b32 v1, v4, 3, v1
	v_and_or_b32 v34, v16, 7, v1
                                        ; implicit-def: $vgpr1
; %bb.1602:                             ;   in Loop: Header=BB4_1483 Depth=2
	s_andn2_saveexec_b64 s[20:21], s[20:21]
; %bb.1603:                             ;   in Loop: Header=BB4_1483 Depth=2
	v_mov_b32_e32 v34, v1
; %bb.1604:                             ;   in Loop: Header=BB4_1483 Depth=2
	s_or_b64 exec, exec, s[20:21]
.LBB4_1605:                             ;   in Loop: Header=BB4_1483 Depth=2
	s_or_b64 exec, exec, s[92:93]
                                        ; implicit-def: $vgpr1
.LBB4_1606:                             ;   in Loop: Header=BB4_1483 Depth=2
	s_andn2_saveexec_b64 s[20:21], s[90:91]
; %bb.1607:                             ;   in Loop: Header=BB4_1483 Depth=2
	v_or_b32_e32 v34, 0x7e, v1
; %bb.1608:                             ;   in Loop: Header=BB4_1483 Depth=2
	s_or_b64 exec, exec, s[20:21]
                                        ; implicit-def: $vgpr4
.LBB4_1609:                             ;   in Loop: Header=BB4_1483 Depth=2
	s_andn2_saveexec_b64 s[20:21], s[88:89]
; %bb.1610:                             ;   in Loop: Header=BB4_1483 Depth=2
	v_or_b32_sdwa v34, v4, s53 dst_sel:DWORD dst_unused:UNUSED_PAD src0_sel:BYTE_3 src1_sel:DWORD
; %bb.1611:                             ;   in Loop: Header=BB4_1483 Depth=2
	s_or_b64 exec, exec, s[20:21]
	v_and_b32_e32 v16, 0xff, v43
	v_cmp_ne_u16_e32 vcc, 0, v16
	v_mov_b32_e32 v1, 0
	v_mov_b32_e32 v4, 0
	s_and_saveexec_b64 s[20:21], vcc
	s_cbranch_execz .LBB4_1617
; %bb.1612:                             ;   in Loop: Header=BB4_1483 Depth=2
	v_cmp_ne_u16_e32 vcc, s52, v16
	v_bfrev_b32_e32 v4, 1
	s_and_saveexec_b64 s[88:89], vcc
	s_cbranch_execz .LBB4_1616
; %bb.1613:                             ;   in Loop: Header=BB4_1483 Depth=2
	v_and_b32_e32 v5, 0x7f, v43
	v_cmp_ne_u32_e32 vcc, s53, v5
	v_mov_b32_e32 v4, 0x7f800001
	s_and_saveexec_b64 s[90:91], vcc
	s_cbranch_execz .LBB4_1615
; %bb.1614:                             ;   in Loop: Header=BB4_1483 Depth=2
	v_and_b32_e32 v17, 7, v16
	v_ffbh_u32_e32 v4, v17
	v_min_u32_e32 v19, 32, v4
	v_subrev_u32_e32 v4, 28, v19
	v_lshrrev_b32_e32 v18, 3, v5
	v_cmp_gt_u32_e32 vcc, 8, v5
	v_lshlrev_b64 v[4:5], v4, v[16:17]
	v_sub_u32_e32 v5, 29, v19
	v_and_b32_e32 v4, 7, v4
	v_cndmask_b32_e32 v5, v18, v5, vcc
	v_cndmask_b32_e32 v4, v17, v4, vcc
	v_lshlrev_b32_e32 v16, 24, v43
	v_lshlrev_b32_e32 v4, 20, v4
	v_and_b32_e32 v16, 0x80000000, v16
	v_lshl_add_u32 v5, v5, 23, v50
	v_or3_b32 v4, v16, v5, v4
.LBB4_1615:                             ;   in Loop: Header=BB4_1483 Depth=2
	s_or_b64 exec, exec, s[90:91]
.LBB4_1616:                             ;   in Loop: Header=BB4_1483 Depth=2
	s_or_b64 exec, exec, s[88:89]
.LBB4_1617:                             ;   in Loop: Header=BB4_1483 Depth=2
	s_or_b64 exec, exec, s[20:21]
	v_and_b32_e32 v16, 0xff, v0
	v_cmp_ne_u16_e32 vcc, 0, v16
	s_and_saveexec_b64 s[20:21], vcc
	s_cbranch_execz .LBB4_1623
; %bb.1618:                             ;   in Loop: Header=BB4_1483 Depth=2
	v_cmp_ne_u16_e32 vcc, s52, v16
	v_bfrev_b32_e32 v1, 1
	s_and_saveexec_b64 s[88:89], vcc
	s_cbranch_execz .LBB4_1622
; %bb.1619:                             ;   in Loop: Header=BB4_1483 Depth=2
	v_and_b32_e32 v5, 0x7f, v0
	v_cmp_ne_u32_e32 vcc, s53, v5
	v_mov_b32_e32 v1, 0x7f800001
	s_and_saveexec_b64 s[90:91], vcc
	s_cbranch_execz .LBB4_1621
; %bb.1620:                             ;   in Loop: Header=BB4_1483 Depth=2
	v_and_b32_e32 v1, 7, v16
	v_lshrrev_b32_e32 v18, 3, v5
	v_cmp_gt_u32_e32 vcc, 8, v5
	v_ffbh_u32_e32 v5, v1
	v_min_u32_e32 v5, 32, v5
	v_subrev_u32_e32 v17, 28, v5
	v_lshlrev_b64 v[16:17], v17, v[16:17]
	v_sub_u32_e32 v5, 29, v5
	v_and_b32_e32 v16, 7, v16
	v_cndmask_b32_e32 v5, v18, v5, vcc
	v_cndmask_b32_e32 v1, v1, v16, vcc
	v_lshlrev_b32_e32 v0, 24, v0
	v_lshlrev_b32_e32 v1, 20, v1
	v_and_b32_e32 v0, 0x80000000, v0
	v_lshl_add_u32 v5, v5, 23, v50
	v_or3_b32 v1, v0, v5, v1
.LBB4_1621:                             ;   in Loop: Header=BB4_1483 Depth=2
	s_or_b64 exec, exec, s[90:91]
.LBB4_1622:                             ;   in Loop: Header=BB4_1483 Depth=2
	s_or_b64 exec, exec, s[88:89]
.LBB4_1623:                             ;   in Loop: Header=BB4_1483 Depth=2
	s_or_b64 exec, exec, s[20:21]
	v_add_f32_e32 v4, v4, v1
	v_and_b32_e32 v52, 0x7f800000, v4
	v_cmp_ne_u64_e32 vcc, s[56:57], v[52:53]
                                        ; implicit-def: $vgpr0
	s_and_saveexec_b64 s[20:21], vcc
	s_xor_b64 s[88:89], exec, s[20:21]
	s_cbranch_execz .LBB4_1641
; %bb.1624:                             ;   in Loop: Header=BB4_1483 Depth=2
	v_and_b32_e32 v52, 0x7fffffff, v4
	v_cmp_gt_u64_e32 vcc, s[58:59], v[52:53]
	v_and_b32_sdwa v1, v4, s52 dst_sel:DWORD dst_unused:UNUSED_PAD src0_sel:BYTE_3 src1_sel:DWORD
                                        ; implicit-def: $vgpr0
	s_and_saveexec_b64 s[20:21], vcc
	s_xor_b64 s[90:91], exec, s[20:21]
	s_cbranch_execz .LBB4_1638
; %bb.1625:                             ;   in Loop: Header=BB4_1483 Depth=2
	v_cmp_ne_u32_e32 vcc, 0, v4
	v_mov_b32_e32 v0, 0
	s_and_saveexec_b64 s[92:93], vcc
	s_cbranch_execz .LBB4_1637
; %bb.1626:                             ;   in Loop: Header=BB4_1483 Depth=2
	v_bfe_u32 v0, v4, 23, 8
	v_and_b32_e32 v5, 0x7fffff, v4
	v_cmp_gt_u32_e64 s[20:21], s54, v0
	v_sub_u32_e32 v4, 0x79, v0
	v_cmp_eq_u32_e32 vcc, 0, v0
	v_cndmask_b32_e64 v4, 0, v4, s[20:21]
	v_mov_b32_e32 v17, 0x78
	v_or_b32_e32 v16, 0x800000, v5
	v_cndmask_b32_e32 v4, v4, v17, vcc
	v_cndmask_b32_e32 v52, v16, v5, vcc
	v_add_u32_e32 v5, 20, v4
	v_lshlrev_b64 v[16:17], v5, -1
	v_add_u32_e32 v5, 19, v4
	v_lshlrev_b64 v[18:19], v5, 1
	v_bfi_b32 v17, v17, 0, 0
	v_bfi_b32 v16, v16, 0, v52
	v_cmp_eq_u64_e64 s[20:21], v[16:17], v[18:19]
	v_lshrrev_b64 v[16:17], v4, v[52:53]
	v_mov_b32_e32 v18, v17
	v_mov_b32_e32 v17, v16
	s_and_saveexec_b64 s[94:95], s[20:21]
; %bb.1627:                             ;   in Loop: Header=BB4_1483 Depth=2
	v_bfe_u32 v5, v16, 20, 1
	v_add_co_u32_e64 v5, s[20:21], v16, v5
	v_add_co_u32_e64 v17, s[20:21], -1, v5
; %bb.1628:                             ;   in Loop: Header=BB4_1483 Depth=2
	s_or_b64 exec, exec, s[94:95]
	v_add_u32_e32 v0, 0xffffff81, v0
	v_mov_b32_e32 v5, 0xffffff82
	v_cndmask_b32_e32 v0, v0, v5, vcc
	v_lshrrev_b32_e32 v5, 23, v16
	v_add3_u32 v5, v4, v0, v5
	v_add_u32_e32 v0, 6, v5
	v_and_b32_e32 v4, 0xfffff, v17
	v_add_u32_e32 v52, v4, v16
	v_cmp_ne_u32_e32 vcc, 0, v0
                                        ; implicit-def: $vgpr16_vgpr17
                                        ; implicit-def: $vgpr4
	s_and_saveexec_b64 s[20:21], vcc
	s_xor_b64 s[20:21], exec, s[20:21]
; %bb.1629:                             ;   in Loop: Header=BB4_1483 Depth=2
	v_cmp_lt_u64_e32 vcc, s[60:61], v[52:53]
	v_add_u32_e32 v4, 7, v5
	v_cndmask_b32_e32 v4, v0, v4, vcc
	v_cndmask_b32_e64 v0, 0, 1, vcc
	v_lshrrev_b64 v[16:17], v0, v[52:53]
; %bb.1630:                             ;   in Loop: Header=BB4_1483 Depth=2
	s_andn2_saveexec_b64 s[20:21], s[20:21]
; %bb.1631:                             ;   in Loop: Header=BB4_1483 Depth=2
	v_mov_b32_e32 v16, v52
	v_bfe_u32 v4, v52, 23, 1
	v_mov_b32_e32 v17, v53
; %bb.1632:                             ;   in Loop: Header=BB4_1483 Depth=2
	s_or_b64 exec, exec, s[20:21]
	v_lshrrev_b64 v[16:17], 20, v[16:17]
	v_cmp_gt_i32_e32 vcc, 16, v4
	v_cndmask_b32_e32 v17, 0, v17, vcc
	v_cndmask_b32_e32 v16, 7, v16, vcc
	v_cmp_ne_u64_e32 vcc, 0, v[16:17]
	v_cmp_ne_u32_e64 s[20:21], 0, v4
	s_or_b64 s[20:21], s[20:21], vcc
                                        ; implicit-def: $vgpr0
	s_and_saveexec_b64 s[94:95], s[20:21]
	s_xor_b64 s[20:21], exec, s[94:95]
; %bb.1633:                             ;   in Loop: Header=BB4_1483 Depth=2
	v_min_i32_e32 v0, 15, v4
	v_lshl_or_b32 v0, v0, 3, v1
	v_and_or_b32 v0, v16, 7, v0
                                        ; implicit-def: $vgpr1
; %bb.1634:                             ;   in Loop: Header=BB4_1483 Depth=2
	s_andn2_saveexec_b64 s[20:21], s[20:21]
; %bb.1635:                             ;   in Loop: Header=BB4_1483 Depth=2
	v_mov_b32_e32 v0, v1
; %bb.1636:                             ;   in Loop: Header=BB4_1483 Depth=2
	s_or_b64 exec, exec, s[20:21]
.LBB4_1637:                             ;   in Loop: Header=BB4_1483 Depth=2
	s_or_b64 exec, exec, s[92:93]
                                        ; implicit-def: $vgpr1
.LBB4_1638:                             ;   in Loop: Header=BB4_1483 Depth=2
	s_andn2_saveexec_b64 s[20:21], s[90:91]
; %bb.1639:                             ;   in Loop: Header=BB4_1483 Depth=2
	v_or_b32_e32 v0, 0x7e, v1
; %bb.1640:                             ;   in Loop: Header=BB4_1483 Depth=2
	s_or_b64 exec, exec, s[20:21]
                                        ; implicit-def: $vgpr4
.LBB4_1641:                             ;   in Loop: Header=BB4_1483 Depth=2
	s_andn2_saveexec_b64 s[20:21], s[88:89]
; %bb.1642:                             ;   in Loop: Header=BB4_1483 Depth=2
	v_or_b32_sdwa v0, v4, s53 dst_sel:DWORD dst_unused:UNUSED_PAD src0_sel:BYTE_3 src1_sel:DWORD
; %bb.1643:                             ;   in Loop: Header=BB4_1483 Depth=2
	s_or_b64 exec, exec, s[20:21]
	v_and_b32_e32 v16, 0xff, v51
	v_cmp_ne_u16_e32 vcc, 0, v16
	v_mov_b32_e32 v1, 0
	v_mov_b32_e32 v4, 0
	s_and_saveexec_b64 s[20:21], vcc
	s_cbranch_execz .LBB4_1649
; %bb.1644:                             ;   in Loop: Header=BB4_1483 Depth=2
	v_cmp_ne_u16_e32 vcc, s52, v16
	v_bfrev_b32_e32 v4, 1
	s_and_saveexec_b64 s[88:89], vcc
	s_cbranch_execz .LBB4_1648
; %bb.1645:                             ;   in Loop: Header=BB4_1483 Depth=2
	v_and_b32_e32 v5, 0x7f, v51
	v_cmp_ne_u32_e32 vcc, s53, v5
	v_mov_b32_e32 v4, 0x7f800001
	s_and_saveexec_b64 s[90:91], vcc
	s_cbranch_execz .LBB4_1647
; %bb.1646:                             ;   in Loop: Header=BB4_1483 Depth=2
	v_and_b32_e32 v17, 7, v16
	v_ffbh_u32_e32 v4, v17
	v_min_u32_e32 v19, 32, v4
	v_subrev_u32_e32 v4, 28, v19
	v_lshrrev_b32_e32 v18, 3, v5
	v_cmp_gt_u32_e32 vcc, 8, v5
	v_lshlrev_b64 v[4:5], v4, v[16:17]
	v_sub_u32_e32 v5, 29, v19
	v_and_b32_e32 v4, 7, v4
	v_cndmask_b32_e32 v5, v18, v5, vcc
	v_cndmask_b32_e32 v4, v17, v4, vcc
	v_lshlrev_b32_e32 v16, 24, v51
	v_lshlrev_b32_e32 v4, 20, v4
	v_and_b32_e32 v16, 0x80000000, v16
	v_lshl_add_u32 v5, v5, 23, v50
	v_or3_b32 v4, v16, v5, v4
.LBB4_1647:                             ;   in Loop: Header=BB4_1483 Depth=2
	s_or_b64 exec, exec, s[90:91]
.LBB4_1648:                             ;   in Loop: Header=BB4_1483 Depth=2
	s_or_b64 exec, exec, s[88:89]
.LBB4_1649:                             ;   in Loop: Header=BB4_1483 Depth=2
	s_or_b64 exec, exec, s[20:21]
	v_and_b32_e32 v16, 0xff, v31
	v_cmp_ne_u16_e32 vcc, 0, v16
	s_and_saveexec_b64 s[20:21], vcc
	s_cbranch_execz .LBB4_1655
; %bb.1650:                             ;   in Loop: Header=BB4_1483 Depth=2
	v_cmp_ne_u16_e32 vcc, s52, v16
	v_bfrev_b32_e32 v1, 1
	s_and_saveexec_b64 s[88:89], vcc
	s_cbranch_execz .LBB4_1654
; %bb.1651:                             ;   in Loop: Header=BB4_1483 Depth=2
	v_and_b32_e32 v5, 0x7f, v31
	v_cmp_ne_u32_e32 vcc, s53, v5
	v_mov_b32_e32 v1, 0x7f800001
	s_and_saveexec_b64 s[90:91], vcc
	s_cbranch_execz .LBB4_1653
; %bb.1652:                             ;   in Loop: Header=BB4_1483 Depth=2
	v_and_b32_e32 v1, 7, v16
	v_lshrrev_b32_e32 v18, 3, v5
	v_cmp_gt_u32_e32 vcc, 8, v5
	v_ffbh_u32_e32 v5, v1
	v_min_u32_e32 v5, 32, v5
	v_subrev_u32_e32 v17, 28, v5
	v_lshlrev_b64 v[16:17], v17, v[16:17]
	v_sub_u32_e32 v5, 29, v5
	v_and_b32_e32 v16, 7, v16
	v_cndmask_b32_e32 v5, v18, v5, vcc
	v_cndmask_b32_e32 v1, v1, v16, vcc
	v_lshlrev_b32_e32 v16, 24, v31
	v_lshlrev_b32_e32 v1, 20, v1
	v_and_b32_e32 v16, 0x80000000, v16
	v_lshl_add_u32 v5, v5, 23, v50
	v_or3_b32 v1, v16, v5, v1
.LBB4_1653:                             ;   in Loop: Header=BB4_1483 Depth=2
	s_or_b64 exec, exec, s[90:91]
.LBB4_1654:                             ;   in Loop: Header=BB4_1483 Depth=2
	s_or_b64 exec, exec, s[88:89]
.LBB4_1655:                             ;   in Loop: Header=BB4_1483 Depth=2
	s_or_b64 exec, exec, s[20:21]
	v_add_f32_e32 v4, v4, v1
	v_and_b32_e32 v52, 0x7f800000, v4
	v_cmp_ne_u64_e32 vcc, s[56:57], v[52:53]
                                        ; implicit-def: $vgpr31
	s_and_saveexec_b64 s[20:21], vcc
	s_xor_b64 s[88:89], exec, s[20:21]
	s_cbranch_execz .LBB4_1673
; %bb.1656:                             ;   in Loop: Header=BB4_1483 Depth=2
	v_and_b32_e32 v52, 0x7fffffff, v4
	v_cmp_gt_u64_e32 vcc, s[58:59], v[52:53]
	v_and_b32_sdwa v1, v4, s52 dst_sel:DWORD dst_unused:UNUSED_PAD src0_sel:BYTE_3 src1_sel:DWORD
                                        ; implicit-def: $vgpr31
	s_and_saveexec_b64 s[20:21], vcc
	s_xor_b64 s[90:91], exec, s[20:21]
	s_cbranch_execz .LBB4_1670
; %bb.1657:                             ;   in Loop: Header=BB4_1483 Depth=2
	v_cmp_ne_u32_e32 vcc, 0, v4
	v_mov_b32_e32 v31, 0
	s_and_saveexec_b64 s[92:93], vcc
	s_cbranch_execz .LBB4_1669
; %bb.1658:                             ;   in Loop: Header=BB4_1483 Depth=2
	v_and_b32_e32 v16, 0x7fffff, v4
	v_bfe_u32 v4, v4, 23, 8
	v_cmp_gt_u32_e64 s[20:21], s54, v4
	v_sub_u32_e32 v5, 0x79, v4
	v_cmp_eq_u32_e32 vcc, 0, v4
	v_cndmask_b32_e64 v5, 0, v5, s[20:21]
	v_mov_b32_e32 v18, 0x78
	v_or_b32_e32 v17, 0x800000, v16
	v_cndmask_b32_e32 v5, v5, v18, vcc
	v_cndmask_b32_e32 v52, v17, v16, vcc
	v_add_u32_e32 v16, 20, v5
	v_lshlrev_b64 v[16:17], v16, -1
	v_add_u32_e32 v18, 19, v5
	v_lshlrev_b64 v[18:19], v18, 1
	v_bfi_b32 v17, v17, 0, 0
	v_bfi_b32 v16, v16, 0, v52
	v_cmp_eq_u64_e64 s[20:21], v[16:17], v[18:19]
	v_lshrrev_b64 v[16:17], v5, v[52:53]
	v_mov_b32_e32 v18, v17
	v_mov_b32_e32 v17, v16
	s_and_saveexec_b64 s[94:95], s[20:21]
; %bb.1659:                             ;   in Loop: Header=BB4_1483 Depth=2
	v_bfe_u32 v17, v16, 20, 1
	v_add_co_u32_e64 v17, s[20:21], v16, v17
	v_add_co_u32_e64 v17, s[20:21], -1, v17
; %bb.1660:                             ;   in Loop: Header=BB4_1483 Depth=2
	s_or_b64 exec, exec, s[94:95]
	v_add_u32_e32 v4, 0xffffff81, v4
	v_mov_b32_e32 v18, 0xffffff82
	v_cndmask_b32_e32 v4, v4, v18, vcc
	v_lshrrev_b32_e32 v18, 23, v16
	v_add3_u32 v18, v5, v4, v18
	v_add_u32_e32 v5, 6, v18
	v_and_b32_e32 v4, 0xfffff, v17
	v_add_u32_e32 v52, v4, v16
	v_cmp_ne_u32_e32 vcc, 0, v5
                                        ; implicit-def: $vgpr16_vgpr17
                                        ; implicit-def: $vgpr4
	s_and_saveexec_b64 s[20:21], vcc
	s_xor_b64 s[20:21], exec, s[20:21]
; %bb.1661:                             ;   in Loop: Header=BB4_1483 Depth=2
	v_cmp_lt_u64_e32 vcc, s[60:61], v[52:53]
	v_add_u32_e32 v4, 7, v18
	v_cndmask_b32_e32 v4, v5, v4, vcc
	v_cndmask_b32_e64 v5, 0, 1, vcc
	v_lshrrev_b64 v[16:17], v5, v[52:53]
; %bb.1662:                             ;   in Loop: Header=BB4_1483 Depth=2
	s_andn2_saveexec_b64 s[20:21], s[20:21]
; %bb.1663:                             ;   in Loop: Header=BB4_1483 Depth=2
	v_mov_b32_e32 v16, v52
	v_bfe_u32 v4, v52, 23, 1
	v_mov_b32_e32 v17, v53
; %bb.1664:                             ;   in Loop: Header=BB4_1483 Depth=2
	s_or_b64 exec, exec, s[20:21]
	v_lshrrev_b64 v[16:17], 20, v[16:17]
	v_cmp_gt_i32_e32 vcc, 16, v4
	v_cndmask_b32_e32 v17, 0, v17, vcc
	v_cndmask_b32_e32 v16, 7, v16, vcc
	v_cmp_ne_u64_e32 vcc, 0, v[16:17]
	v_cmp_ne_u32_e64 s[20:21], 0, v4
	s_or_b64 s[20:21], s[20:21], vcc
                                        ; implicit-def: $vgpr31
	s_and_saveexec_b64 s[94:95], s[20:21]
	s_xor_b64 s[20:21], exec, s[94:95]
; %bb.1665:                             ;   in Loop: Header=BB4_1483 Depth=2
	v_min_i32_e32 v4, 15, v4
	v_lshl_or_b32 v1, v4, 3, v1
	v_and_or_b32 v31, v16, 7, v1
                                        ; implicit-def: $vgpr1
; %bb.1666:                             ;   in Loop: Header=BB4_1483 Depth=2
	s_andn2_saveexec_b64 s[20:21], s[20:21]
; %bb.1667:                             ;   in Loop: Header=BB4_1483 Depth=2
	v_mov_b32_e32 v31, v1
; %bb.1668:                             ;   in Loop: Header=BB4_1483 Depth=2
	s_or_b64 exec, exec, s[20:21]
.LBB4_1669:                             ;   in Loop: Header=BB4_1483 Depth=2
	s_or_b64 exec, exec, s[92:93]
                                        ; implicit-def: $vgpr1
.LBB4_1670:                             ;   in Loop: Header=BB4_1483 Depth=2
	s_andn2_saveexec_b64 s[20:21], s[90:91]
; %bb.1671:                             ;   in Loop: Header=BB4_1483 Depth=2
	v_or_b32_e32 v31, 0x7e, v1
; %bb.1672:                             ;   in Loop: Header=BB4_1483 Depth=2
	s_or_b64 exec, exec, s[20:21]
                                        ; implicit-def: $vgpr4
.LBB4_1673:                             ;   in Loop: Header=BB4_1483 Depth=2
	s_andn2_saveexec_b64 s[20:21], s[88:89]
; %bb.1674:                             ;   in Loop: Header=BB4_1483 Depth=2
	v_or_b32_sdwa v31, v4, s53 dst_sel:DWORD dst_unused:UNUSED_PAD src0_sel:BYTE_3 src1_sel:DWORD
; %bb.1675:                             ;   in Loop: Header=BB4_1483 Depth=2
	s_or_b64 exec, exec, s[20:21]
	v_and_b32_e32 v16, 0xff, v62
	v_cmp_ne_u16_e32 vcc, 0, v16
	v_mov_b32_e32 v1, 0
	v_mov_b32_e32 v4, 0
	s_and_saveexec_b64 s[20:21], vcc
	s_cbranch_execz .LBB4_1681
; %bb.1676:                             ;   in Loop: Header=BB4_1483 Depth=2
	v_cmp_ne_u16_e32 vcc, s52, v16
	v_bfrev_b32_e32 v4, 1
	s_and_saveexec_b64 s[88:89], vcc
	s_cbranch_execz .LBB4_1680
; %bb.1677:                             ;   in Loop: Header=BB4_1483 Depth=2
	v_and_b32_e32 v5, 0x7f, v62
	v_cmp_ne_u32_e32 vcc, s53, v5
	v_mov_b32_e32 v4, 0x7f800001
	s_and_saveexec_b64 s[90:91], vcc
	s_cbranch_execz .LBB4_1679
; %bb.1678:                             ;   in Loop: Header=BB4_1483 Depth=2
	v_and_b32_e32 v17, 7, v16
	v_ffbh_u32_e32 v4, v17
	v_min_u32_e32 v19, 32, v4
	v_subrev_u32_e32 v4, 28, v19
	v_lshrrev_b32_e32 v18, 3, v5
	v_cmp_gt_u32_e32 vcc, 8, v5
	v_lshlrev_b64 v[4:5], v4, v[16:17]
	v_sub_u32_e32 v5, 29, v19
	v_and_b32_e32 v4, 7, v4
	v_cndmask_b32_e32 v5, v18, v5, vcc
	v_cndmask_b32_e32 v4, v17, v4, vcc
	v_lshlrev_b32_e32 v16, 24, v62
	v_lshlrev_b32_e32 v4, 20, v4
	v_and_b32_e32 v16, 0x80000000, v16
	v_lshl_add_u32 v5, v5, 23, v50
	v_or3_b32 v4, v16, v5, v4
.LBB4_1679:                             ;   in Loop: Header=BB4_1483 Depth=2
	s_or_b64 exec, exec, s[90:91]
.LBB4_1680:                             ;   in Loop: Header=BB4_1483 Depth=2
	s_or_b64 exec, exec, s[88:89]
.LBB4_1681:                             ;   in Loop: Header=BB4_1483 Depth=2
	s_or_b64 exec, exec, s[20:21]
	v_and_b32_e32 v16, 0xff, v41
	v_cmp_ne_u16_e32 vcc, 0, v16
	s_and_saveexec_b64 s[20:21], vcc
	s_cbranch_execz .LBB4_1687
; %bb.1682:                             ;   in Loop: Header=BB4_1483 Depth=2
	v_cmp_ne_u16_e32 vcc, s52, v16
	v_bfrev_b32_e32 v1, 1
	s_and_saveexec_b64 s[88:89], vcc
	s_cbranch_execz .LBB4_1686
; %bb.1683:                             ;   in Loop: Header=BB4_1483 Depth=2
	v_and_b32_e32 v5, 0x7f, v41
	v_cmp_ne_u32_e32 vcc, s53, v5
	v_mov_b32_e32 v1, 0x7f800001
	s_and_saveexec_b64 s[90:91], vcc
	s_cbranch_execz .LBB4_1685
; %bb.1684:                             ;   in Loop: Header=BB4_1483 Depth=2
	v_and_b32_e32 v1, 7, v16
	v_lshrrev_b32_e32 v18, 3, v5
	v_cmp_gt_u32_e32 vcc, 8, v5
	v_ffbh_u32_e32 v5, v1
	v_min_u32_e32 v5, 32, v5
	v_subrev_u32_e32 v17, 28, v5
	v_lshlrev_b64 v[16:17], v17, v[16:17]
	v_sub_u32_e32 v5, 29, v5
	v_and_b32_e32 v16, 7, v16
	v_cndmask_b32_e32 v5, v18, v5, vcc
	v_cndmask_b32_e32 v1, v1, v16, vcc
	v_lshlrev_b32_e32 v16, 24, v41
	v_lshlrev_b32_e32 v1, 20, v1
	v_and_b32_e32 v16, 0x80000000, v16
	v_lshl_add_u32 v5, v5, 23, v50
	v_or3_b32 v1, v16, v5, v1
.LBB4_1685:                             ;   in Loop: Header=BB4_1483 Depth=2
	s_or_b64 exec, exec, s[90:91]
.LBB4_1686:                             ;   in Loop: Header=BB4_1483 Depth=2
	s_or_b64 exec, exec, s[88:89]
.LBB4_1687:                             ;   in Loop: Header=BB4_1483 Depth=2
	s_or_b64 exec, exec, s[20:21]
	v_add_f32_e32 v4, v4, v1
	v_and_b32_e32 v52, 0x7f800000, v4
	v_cmp_ne_u64_e32 vcc, s[56:57], v[52:53]
                                        ; implicit-def: $vgpr41
	s_and_saveexec_b64 s[20:21], vcc
	s_xor_b64 s[88:89], exec, s[20:21]
	s_cbranch_execz .LBB4_1705
; %bb.1688:                             ;   in Loop: Header=BB4_1483 Depth=2
	v_and_b32_e32 v52, 0x7fffffff, v4
	v_cmp_gt_u64_e32 vcc, s[58:59], v[52:53]
	v_and_b32_sdwa v1, v4, s52 dst_sel:DWORD dst_unused:UNUSED_PAD src0_sel:BYTE_3 src1_sel:DWORD
                                        ; implicit-def: $vgpr41
	s_and_saveexec_b64 s[20:21], vcc
	s_xor_b64 s[90:91], exec, s[20:21]
	s_cbranch_execz .LBB4_1702
; %bb.1689:                             ;   in Loop: Header=BB4_1483 Depth=2
	v_cmp_ne_u32_e32 vcc, 0, v4
	v_mov_b32_e32 v41, 0
	s_and_saveexec_b64 s[92:93], vcc
	s_cbranch_execz .LBB4_1701
; %bb.1690:                             ;   in Loop: Header=BB4_1483 Depth=2
	v_and_b32_e32 v16, 0x7fffff, v4
	v_bfe_u32 v4, v4, 23, 8
	v_cmp_gt_u32_e64 s[20:21], s54, v4
	v_sub_u32_e32 v5, 0x79, v4
	v_cmp_eq_u32_e32 vcc, 0, v4
	v_cndmask_b32_e64 v5, 0, v5, s[20:21]
	v_mov_b32_e32 v18, 0x78
	v_or_b32_e32 v17, 0x800000, v16
	v_cndmask_b32_e32 v5, v5, v18, vcc
	v_cndmask_b32_e32 v52, v17, v16, vcc
	v_add_u32_e32 v16, 20, v5
	v_lshlrev_b64 v[16:17], v16, -1
	v_add_u32_e32 v18, 19, v5
	v_lshlrev_b64 v[18:19], v18, 1
	v_bfi_b32 v17, v17, 0, 0
	v_bfi_b32 v16, v16, 0, v52
	v_cmp_eq_u64_e64 s[20:21], v[16:17], v[18:19]
	v_lshrrev_b64 v[16:17], v5, v[52:53]
	v_mov_b32_e32 v18, v17
	v_mov_b32_e32 v17, v16
	s_and_saveexec_b64 s[94:95], s[20:21]
; %bb.1691:                             ;   in Loop: Header=BB4_1483 Depth=2
	v_bfe_u32 v17, v16, 20, 1
	v_add_co_u32_e64 v17, s[20:21], v16, v17
	v_add_co_u32_e64 v17, s[20:21], -1, v17
; %bb.1692:                             ;   in Loop: Header=BB4_1483 Depth=2
	s_or_b64 exec, exec, s[94:95]
	v_add_u32_e32 v4, 0xffffff81, v4
	v_mov_b32_e32 v18, 0xffffff82
	v_cndmask_b32_e32 v4, v4, v18, vcc
	v_lshrrev_b32_e32 v18, 23, v16
	v_add3_u32 v18, v5, v4, v18
	v_add_u32_e32 v5, 6, v18
	v_and_b32_e32 v4, 0xfffff, v17
	v_add_u32_e32 v52, v4, v16
	v_cmp_ne_u32_e32 vcc, 0, v5
                                        ; implicit-def: $vgpr16_vgpr17
                                        ; implicit-def: $vgpr4
	s_and_saveexec_b64 s[20:21], vcc
	s_xor_b64 s[20:21], exec, s[20:21]
; %bb.1693:                             ;   in Loop: Header=BB4_1483 Depth=2
	v_cmp_lt_u64_e32 vcc, s[60:61], v[52:53]
	v_add_u32_e32 v4, 7, v18
	v_cndmask_b32_e32 v4, v5, v4, vcc
	v_cndmask_b32_e64 v5, 0, 1, vcc
	v_lshrrev_b64 v[16:17], v5, v[52:53]
; %bb.1694:                             ;   in Loop: Header=BB4_1483 Depth=2
	s_andn2_saveexec_b64 s[20:21], s[20:21]
; %bb.1695:                             ;   in Loop: Header=BB4_1483 Depth=2
	v_mov_b32_e32 v16, v52
	v_bfe_u32 v4, v52, 23, 1
	v_mov_b32_e32 v17, v53
; %bb.1696:                             ;   in Loop: Header=BB4_1483 Depth=2
	s_or_b64 exec, exec, s[20:21]
	v_lshrrev_b64 v[16:17], 20, v[16:17]
	v_cmp_gt_i32_e32 vcc, 16, v4
	v_cndmask_b32_e32 v17, 0, v17, vcc
	v_cndmask_b32_e32 v16, 7, v16, vcc
	v_cmp_ne_u64_e32 vcc, 0, v[16:17]
	v_cmp_ne_u32_e64 s[20:21], 0, v4
	s_or_b64 s[20:21], s[20:21], vcc
                                        ; implicit-def: $vgpr41
	s_and_saveexec_b64 s[94:95], s[20:21]
	s_xor_b64 s[20:21], exec, s[94:95]
; %bb.1697:                             ;   in Loop: Header=BB4_1483 Depth=2
	v_min_i32_e32 v4, 15, v4
	v_lshl_or_b32 v1, v4, 3, v1
	v_and_or_b32 v41, v16, 7, v1
                                        ; implicit-def: $vgpr1
; %bb.1698:                             ;   in Loop: Header=BB4_1483 Depth=2
	s_andn2_saveexec_b64 s[20:21], s[20:21]
; %bb.1699:                             ;   in Loop: Header=BB4_1483 Depth=2
	v_mov_b32_e32 v41, v1
; %bb.1700:                             ;   in Loop: Header=BB4_1483 Depth=2
	s_or_b64 exec, exec, s[20:21]
.LBB4_1701:                             ;   in Loop: Header=BB4_1483 Depth=2
	s_or_b64 exec, exec, s[92:93]
                                        ; implicit-def: $vgpr1
.LBB4_1702:                             ;   in Loop: Header=BB4_1483 Depth=2
	s_andn2_saveexec_b64 s[20:21], s[90:91]
; %bb.1703:                             ;   in Loop: Header=BB4_1483 Depth=2
	v_or_b32_e32 v41, 0x7e, v1
; %bb.1704:                             ;   in Loop: Header=BB4_1483 Depth=2
	s_or_b64 exec, exec, s[20:21]
                                        ; implicit-def: $vgpr4
.LBB4_1705:                             ;   in Loop: Header=BB4_1483 Depth=2
	s_andn2_saveexec_b64 s[20:21], s[88:89]
; %bb.1706:                             ;   in Loop: Header=BB4_1483 Depth=2
	v_or_b32_sdwa v41, v4, s53 dst_sel:DWORD dst_unused:UNUSED_PAD src0_sel:BYTE_3 src1_sel:DWORD
; %bb.1707:                             ;   in Loop: Header=BB4_1483 Depth=2
	s_or_b64 exec, exec, s[20:21]
	v_and_b32_e32 v16, 0xff, v61
	v_cmp_ne_u16_e32 vcc, 0, v16
	v_mov_b32_e32 v1, 0
	v_mov_b32_e32 v4, 0
	s_and_saveexec_b64 s[20:21], vcc
	s_cbranch_execz .LBB4_1713
; %bb.1708:                             ;   in Loop: Header=BB4_1483 Depth=2
	v_cmp_ne_u16_e32 vcc, s52, v16
	v_bfrev_b32_e32 v4, 1
	s_and_saveexec_b64 s[88:89], vcc
	s_cbranch_execz .LBB4_1712
; %bb.1709:                             ;   in Loop: Header=BB4_1483 Depth=2
	v_and_b32_e32 v5, 0x7f, v61
	v_cmp_ne_u32_e32 vcc, s53, v5
	v_mov_b32_e32 v4, 0x7f800001
	s_and_saveexec_b64 s[90:91], vcc
	s_cbranch_execz .LBB4_1711
; %bb.1710:                             ;   in Loop: Header=BB4_1483 Depth=2
	v_and_b32_e32 v17, 7, v16
	v_ffbh_u32_e32 v4, v17
	v_min_u32_e32 v19, 32, v4
	v_subrev_u32_e32 v4, 28, v19
	v_lshrrev_b32_e32 v18, 3, v5
	v_cmp_gt_u32_e32 vcc, 8, v5
	v_lshlrev_b64 v[4:5], v4, v[16:17]
	v_sub_u32_e32 v5, 29, v19
	v_and_b32_e32 v4, 7, v4
	v_cndmask_b32_e32 v5, v18, v5, vcc
	v_cndmask_b32_e32 v4, v17, v4, vcc
	v_lshlrev_b32_e32 v16, 24, v61
	v_lshlrev_b32_e32 v4, 20, v4
	v_and_b32_e32 v16, 0x80000000, v16
	v_lshl_add_u32 v5, v5, 23, v50
	v_or3_b32 v4, v16, v5, v4
.LBB4_1711:                             ;   in Loop: Header=BB4_1483 Depth=2
	s_or_b64 exec, exec, s[90:91]
.LBB4_1712:                             ;   in Loop: Header=BB4_1483 Depth=2
	s_or_b64 exec, exec, s[88:89]
.LBB4_1713:                             ;   in Loop: Header=BB4_1483 Depth=2
	s_or_b64 exec, exec, s[20:21]
	v_and_b32_e32 v16, 0xff, v58
	v_cmp_ne_u16_e32 vcc, 0, v16
	s_and_saveexec_b64 s[20:21], vcc
	s_cbranch_execz .LBB4_1719
; %bb.1714:                             ;   in Loop: Header=BB4_1483 Depth=2
	v_cmp_ne_u16_e32 vcc, s52, v16
	v_bfrev_b32_e32 v1, 1
	s_and_saveexec_b64 s[88:89], vcc
	s_cbranch_execz .LBB4_1718
; %bb.1715:                             ;   in Loop: Header=BB4_1483 Depth=2
	v_and_b32_e32 v5, 0x7f, v58
	v_cmp_ne_u32_e32 vcc, s53, v5
	v_mov_b32_e32 v1, 0x7f800001
	s_and_saveexec_b64 s[90:91], vcc
	s_cbranch_execz .LBB4_1717
; %bb.1716:                             ;   in Loop: Header=BB4_1483 Depth=2
	v_and_b32_e32 v1, 7, v16
	v_lshrrev_b32_e32 v18, 3, v5
	v_cmp_gt_u32_e32 vcc, 8, v5
	v_ffbh_u32_e32 v5, v1
	v_min_u32_e32 v5, 32, v5
	v_subrev_u32_e32 v17, 28, v5
	v_lshlrev_b64 v[16:17], v17, v[16:17]
	v_sub_u32_e32 v5, 29, v5
	v_and_b32_e32 v16, 7, v16
	v_cndmask_b32_e32 v5, v18, v5, vcc
	v_cndmask_b32_e32 v1, v1, v16, vcc
	v_lshlrev_b32_e32 v16, 24, v58
	v_lshlrev_b32_e32 v1, 20, v1
	v_and_b32_e32 v16, 0x80000000, v16
	v_lshl_add_u32 v5, v5, 23, v50
	v_or3_b32 v1, v16, v5, v1
.LBB4_1717:                             ;   in Loop: Header=BB4_1483 Depth=2
	s_or_b64 exec, exec, s[90:91]
.LBB4_1718:                             ;   in Loop: Header=BB4_1483 Depth=2
	s_or_b64 exec, exec, s[88:89]
.LBB4_1719:                             ;   in Loop: Header=BB4_1483 Depth=2
	s_or_b64 exec, exec, s[20:21]
	v_add_f32_e32 v4, v4, v1
	v_and_b32_e32 v52, 0x7f800000, v4
	v_cmp_ne_u64_e32 vcc, s[56:57], v[52:53]
                                        ; implicit-def: $vgpr58
	s_and_saveexec_b64 s[20:21], vcc
	s_xor_b64 s[88:89], exec, s[20:21]
	s_cbranch_execz .LBB4_1737
; %bb.1720:                             ;   in Loop: Header=BB4_1483 Depth=2
	v_and_b32_e32 v52, 0x7fffffff, v4
	v_cmp_gt_u64_e32 vcc, s[58:59], v[52:53]
	v_and_b32_sdwa v1, v4, s52 dst_sel:DWORD dst_unused:UNUSED_PAD src0_sel:BYTE_3 src1_sel:DWORD
                                        ; implicit-def: $vgpr58
	s_and_saveexec_b64 s[20:21], vcc
	s_xor_b64 s[90:91], exec, s[20:21]
	s_cbranch_execz .LBB4_1734
; %bb.1721:                             ;   in Loop: Header=BB4_1483 Depth=2
	v_cmp_ne_u32_e32 vcc, 0, v4
	v_mov_b32_e32 v58, 0
	s_and_saveexec_b64 s[92:93], vcc
	s_cbranch_execz .LBB4_1733
; %bb.1722:                             ;   in Loop: Header=BB4_1483 Depth=2
	v_and_b32_e32 v16, 0x7fffff, v4
	v_bfe_u32 v4, v4, 23, 8
	v_cmp_gt_u32_e64 s[20:21], s54, v4
	v_sub_u32_e32 v5, 0x79, v4
	v_cmp_eq_u32_e32 vcc, 0, v4
	v_cndmask_b32_e64 v5, 0, v5, s[20:21]
	v_mov_b32_e32 v18, 0x78
	v_or_b32_e32 v17, 0x800000, v16
	v_cndmask_b32_e32 v5, v5, v18, vcc
	v_cndmask_b32_e32 v52, v17, v16, vcc
	v_add_u32_e32 v16, 20, v5
	v_lshlrev_b64 v[16:17], v16, -1
	v_add_u32_e32 v18, 19, v5
	v_lshlrev_b64 v[18:19], v18, 1
	v_bfi_b32 v17, v17, 0, 0
	v_bfi_b32 v16, v16, 0, v52
	v_cmp_eq_u64_e64 s[20:21], v[16:17], v[18:19]
	v_lshrrev_b64 v[16:17], v5, v[52:53]
	v_mov_b32_e32 v18, v17
	v_mov_b32_e32 v17, v16
	s_and_saveexec_b64 s[94:95], s[20:21]
; %bb.1723:                             ;   in Loop: Header=BB4_1483 Depth=2
	v_bfe_u32 v17, v16, 20, 1
	v_add_co_u32_e64 v17, s[20:21], v16, v17
	v_add_co_u32_e64 v17, s[20:21], -1, v17
; %bb.1724:                             ;   in Loop: Header=BB4_1483 Depth=2
	s_or_b64 exec, exec, s[94:95]
	v_add_u32_e32 v4, 0xffffff81, v4
	v_mov_b32_e32 v18, 0xffffff82
	v_cndmask_b32_e32 v4, v4, v18, vcc
	v_lshrrev_b32_e32 v18, 23, v16
	v_add3_u32 v18, v5, v4, v18
	v_add_u32_e32 v5, 6, v18
	v_and_b32_e32 v4, 0xfffff, v17
	v_add_u32_e32 v52, v4, v16
	v_cmp_ne_u32_e32 vcc, 0, v5
                                        ; implicit-def: $vgpr16_vgpr17
                                        ; implicit-def: $vgpr4
	s_and_saveexec_b64 s[20:21], vcc
	s_xor_b64 s[20:21], exec, s[20:21]
; %bb.1725:                             ;   in Loop: Header=BB4_1483 Depth=2
	v_cmp_lt_u64_e32 vcc, s[60:61], v[52:53]
	v_add_u32_e32 v4, 7, v18
	v_cndmask_b32_e32 v4, v5, v4, vcc
	v_cndmask_b32_e64 v5, 0, 1, vcc
	v_lshrrev_b64 v[16:17], v5, v[52:53]
; %bb.1726:                             ;   in Loop: Header=BB4_1483 Depth=2
	s_andn2_saveexec_b64 s[20:21], s[20:21]
; %bb.1727:                             ;   in Loop: Header=BB4_1483 Depth=2
	v_mov_b32_e32 v16, v52
	v_bfe_u32 v4, v52, 23, 1
	v_mov_b32_e32 v17, v53
; %bb.1728:                             ;   in Loop: Header=BB4_1483 Depth=2
	s_or_b64 exec, exec, s[20:21]
	v_lshrrev_b64 v[16:17], 20, v[16:17]
	v_cmp_gt_i32_e32 vcc, 16, v4
	v_cndmask_b32_e32 v17, 0, v17, vcc
	v_cndmask_b32_e32 v16, 7, v16, vcc
	v_cmp_ne_u64_e32 vcc, 0, v[16:17]
	v_cmp_ne_u32_e64 s[20:21], 0, v4
	s_or_b64 s[20:21], s[20:21], vcc
                                        ; implicit-def: $vgpr58
	s_and_saveexec_b64 s[94:95], s[20:21]
	s_xor_b64 s[20:21], exec, s[94:95]
; %bb.1729:                             ;   in Loop: Header=BB4_1483 Depth=2
	v_min_i32_e32 v4, 15, v4
	v_lshl_or_b32 v1, v4, 3, v1
	v_and_or_b32 v58, v16, 7, v1
                                        ; implicit-def: $vgpr1
; %bb.1730:                             ;   in Loop: Header=BB4_1483 Depth=2
	s_andn2_saveexec_b64 s[20:21], s[20:21]
; %bb.1731:                             ;   in Loop: Header=BB4_1483 Depth=2
	v_mov_b32_e32 v58, v1
; %bb.1732:                             ;   in Loop: Header=BB4_1483 Depth=2
	s_or_b64 exec, exec, s[20:21]
.LBB4_1733:                             ;   in Loop: Header=BB4_1483 Depth=2
	s_or_b64 exec, exec, s[92:93]
                                        ; implicit-def: $vgpr1
.LBB4_1734:                             ;   in Loop: Header=BB4_1483 Depth=2
	s_andn2_saveexec_b64 s[20:21], s[90:91]
; %bb.1735:                             ;   in Loop: Header=BB4_1483 Depth=2
	v_or_b32_e32 v58, 0x7e, v1
; %bb.1736:                             ;   in Loop: Header=BB4_1483 Depth=2
	s_or_b64 exec, exec, s[20:21]
                                        ; implicit-def: $vgpr4
.LBB4_1737:                             ;   in Loop: Header=BB4_1483 Depth=2
	s_andn2_saveexec_b64 s[20:21], s[88:89]
; %bb.1738:                             ;   in Loop: Header=BB4_1483 Depth=2
	v_or_b32_sdwa v58, v4, s53 dst_sel:DWORD dst_unused:UNUSED_PAD src0_sel:BYTE_3 src1_sel:DWORD
; %bb.1739:                             ;   in Loop: Header=BB4_1483 Depth=2
	s_or_b64 exec, exec, s[20:21]
	v_and_b32_e32 v16, 0xff, v60
	v_cmp_ne_u16_e32 vcc, 0, v16
	v_mov_b32_e32 v1, 0
	v_mov_b32_e32 v4, 0
	s_and_saveexec_b64 s[20:21], vcc
	s_cbranch_execz .LBB4_1745
; %bb.1740:                             ;   in Loop: Header=BB4_1483 Depth=2
	v_cmp_ne_u16_e32 vcc, s52, v16
	v_bfrev_b32_e32 v4, 1
	s_and_saveexec_b64 s[88:89], vcc
	s_cbranch_execz .LBB4_1744
; %bb.1741:                             ;   in Loop: Header=BB4_1483 Depth=2
	v_and_b32_e32 v5, 0x7f, v60
	v_cmp_ne_u32_e32 vcc, s53, v5
	v_mov_b32_e32 v4, 0x7f800001
	s_and_saveexec_b64 s[90:91], vcc
	s_cbranch_execz .LBB4_1743
; %bb.1742:                             ;   in Loop: Header=BB4_1483 Depth=2
	v_and_b32_e32 v17, 7, v16
	v_ffbh_u32_e32 v4, v17
	v_min_u32_e32 v19, 32, v4
	v_subrev_u32_e32 v4, 28, v19
	v_lshrrev_b32_e32 v18, 3, v5
	v_cmp_gt_u32_e32 vcc, 8, v5
	v_lshlrev_b64 v[4:5], v4, v[16:17]
	v_sub_u32_e32 v5, 29, v19
	v_and_b32_e32 v4, 7, v4
	v_cndmask_b32_e32 v5, v18, v5, vcc
	v_cndmask_b32_e32 v4, v17, v4, vcc
	v_lshlrev_b32_e32 v16, 24, v60
	v_lshlrev_b32_e32 v4, 20, v4
	v_and_b32_e32 v16, 0x80000000, v16
	v_lshl_add_u32 v5, v5, 23, v50
	v_or3_b32 v4, v16, v5, v4
.LBB4_1743:                             ;   in Loop: Header=BB4_1483 Depth=2
	s_or_b64 exec, exec, s[90:91]
.LBB4_1744:                             ;   in Loop: Header=BB4_1483 Depth=2
	s_or_b64 exec, exec, s[88:89]
.LBB4_1745:                             ;   in Loop: Header=BB4_1483 Depth=2
	s_or_b64 exec, exec, s[20:21]
	v_and_b32_e32 v16, 0xff, v59
	v_cmp_ne_u16_e32 vcc, 0, v16
	s_and_saveexec_b64 s[20:21], vcc
	s_cbranch_execz .LBB4_1751
; %bb.1746:                             ;   in Loop: Header=BB4_1483 Depth=2
	v_cmp_ne_u16_e32 vcc, s52, v16
	v_bfrev_b32_e32 v1, 1
	s_and_saveexec_b64 s[88:89], vcc
	s_cbranch_execz .LBB4_1750
; %bb.1747:                             ;   in Loop: Header=BB4_1483 Depth=2
	v_and_b32_e32 v5, 0x7f, v59
	v_cmp_ne_u32_e32 vcc, s53, v5
	v_mov_b32_e32 v1, 0x7f800001
	s_and_saveexec_b64 s[90:91], vcc
	s_cbranch_execz .LBB4_1749
; %bb.1748:                             ;   in Loop: Header=BB4_1483 Depth=2
	v_and_b32_e32 v1, 7, v16
	v_lshrrev_b32_e32 v18, 3, v5
	v_cmp_gt_u32_e32 vcc, 8, v5
	v_ffbh_u32_e32 v5, v1
	v_min_u32_e32 v5, 32, v5
	v_subrev_u32_e32 v17, 28, v5
	v_lshlrev_b64 v[16:17], v17, v[16:17]
	v_sub_u32_e32 v5, 29, v5
	v_and_b32_e32 v16, 7, v16
	v_cndmask_b32_e32 v5, v18, v5, vcc
	v_cndmask_b32_e32 v1, v1, v16, vcc
	v_lshlrev_b32_e32 v16, 24, v59
	v_lshlrev_b32_e32 v1, 20, v1
	v_and_b32_e32 v16, 0x80000000, v16
	v_lshl_add_u32 v5, v5, 23, v50
	v_or3_b32 v1, v16, v5, v1
.LBB4_1749:                             ;   in Loop: Header=BB4_1483 Depth=2
	s_or_b64 exec, exec, s[90:91]
.LBB4_1750:                             ;   in Loop: Header=BB4_1483 Depth=2
	s_or_b64 exec, exec, s[88:89]
.LBB4_1751:                             ;   in Loop: Header=BB4_1483 Depth=2
	s_or_b64 exec, exec, s[20:21]
	v_add_f32_e32 v4, v4, v1
	v_and_b32_e32 v52, 0x7f800000, v4
	v_cmp_ne_u64_e32 vcc, s[56:57], v[52:53]
                                        ; implicit-def: $vgpr59
	s_and_saveexec_b64 s[20:21], vcc
	s_xor_b64 s[88:89], exec, s[20:21]
	s_cbranch_execz .LBB4_1769
; %bb.1752:                             ;   in Loop: Header=BB4_1483 Depth=2
	v_and_b32_e32 v52, 0x7fffffff, v4
	v_cmp_gt_u64_e32 vcc, s[58:59], v[52:53]
	v_and_b32_sdwa v1, v4, s52 dst_sel:DWORD dst_unused:UNUSED_PAD src0_sel:BYTE_3 src1_sel:DWORD
                                        ; implicit-def: $vgpr59
	s_and_saveexec_b64 s[20:21], vcc
	s_xor_b64 s[90:91], exec, s[20:21]
	s_cbranch_execz .LBB4_1766
; %bb.1753:                             ;   in Loop: Header=BB4_1483 Depth=2
	v_cmp_ne_u32_e32 vcc, 0, v4
	v_mov_b32_e32 v59, 0
	s_and_saveexec_b64 s[92:93], vcc
	s_cbranch_execz .LBB4_1765
; %bb.1754:                             ;   in Loop: Header=BB4_1483 Depth=2
	v_and_b32_e32 v16, 0x7fffff, v4
	v_bfe_u32 v4, v4, 23, 8
	v_cmp_gt_u32_e64 s[20:21], s54, v4
	v_sub_u32_e32 v5, 0x79, v4
	v_cmp_eq_u32_e32 vcc, 0, v4
	v_cndmask_b32_e64 v5, 0, v5, s[20:21]
	v_mov_b32_e32 v18, 0x78
	v_or_b32_e32 v17, 0x800000, v16
	v_cndmask_b32_e32 v5, v5, v18, vcc
	v_cndmask_b32_e32 v52, v17, v16, vcc
	v_add_u32_e32 v16, 20, v5
	v_lshlrev_b64 v[16:17], v16, -1
	v_add_u32_e32 v18, 19, v5
	v_lshlrev_b64 v[18:19], v18, 1
	v_bfi_b32 v17, v17, 0, 0
	v_bfi_b32 v16, v16, 0, v52
	v_cmp_eq_u64_e64 s[20:21], v[16:17], v[18:19]
	v_lshrrev_b64 v[16:17], v5, v[52:53]
	v_mov_b32_e32 v18, v17
	v_mov_b32_e32 v17, v16
	s_and_saveexec_b64 s[94:95], s[20:21]
; %bb.1755:                             ;   in Loop: Header=BB4_1483 Depth=2
	v_bfe_u32 v17, v16, 20, 1
	v_add_co_u32_e64 v17, s[20:21], v16, v17
	v_add_co_u32_e64 v17, s[20:21], -1, v17
; %bb.1756:                             ;   in Loop: Header=BB4_1483 Depth=2
	s_or_b64 exec, exec, s[94:95]
	v_add_u32_e32 v4, 0xffffff81, v4
	v_mov_b32_e32 v18, 0xffffff82
	v_cndmask_b32_e32 v4, v4, v18, vcc
	v_lshrrev_b32_e32 v18, 23, v16
	v_add3_u32 v18, v5, v4, v18
	v_add_u32_e32 v5, 6, v18
	v_and_b32_e32 v4, 0xfffff, v17
	v_add_u32_e32 v52, v4, v16
	v_cmp_ne_u32_e32 vcc, 0, v5
                                        ; implicit-def: $vgpr16_vgpr17
                                        ; implicit-def: $vgpr4
	s_and_saveexec_b64 s[20:21], vcc
	s_xor_b64 s[20:21], exec, s[20:21]
; %bb.1757:                             ;   in Loop: Header=BB4_1483 Depth=2
	v_cmp_lt_u64_e32 vcc, s[60:61], v[52:53]
	v_add_u32_e32 v4, 7, v18
	v_cndmask_b32_e32 v4, v5, v4, vcc
	v_cndmask_b32_e64 v5, 0, 1, vcc
	v_lshrrev_b64 v[16:17], v5, v[52:53]
; %bb.1758:                             ;   in Loop: Header=BB4_1483 Depth=2
	s_andn2_saveexec_b64 s[20:21], s[20:21]
; %bb.1759:                             ;   in Loop: Header=BB4_1483 Depth=2
	v_mov_b32_e32 v16, v52
	v_bfe_u32 v4, v52, 23, 1
	v_mov_b32_e32 v17, v53
; %bb.1760:                             ;   in Loop: Header=BB4_1483 Depth=2
	s_or_b64 exec, exec, s[20:21]
	v_lshrrev_b64 v[16:17], 20, v[16:17]
	v_cmp_gt_i32_e32 vcc, 16, v4
	v_cndmask_b32_e32 v17, 0, v17, vcc
	v_cndmask_b32_e32 v16, 7, v16, vcc
	v_cmp_ne_u64_e32 vcc, 0, v[16:17]
	v_cmp_ne_u32_e64 s[20:21], 0, v4
	s_or_b64 s[20:21], s[20:21], vcc
                                        ; implicit-def: $vgpr59
	s_and_saveexec_b64 s[94:95], s[20:21]
	s_xor_b64 s[20:21], exec, s[94:95]
; %bb.1761:                             ;   in Loop: Header=BB4_1483 Depth=2
	v_min_i32_e32 v4, 15, v4
	v_lshl_or_b32 v1, v4, 3, v1
	v_and_or_b32 v59, v16, 7, v1
                                        ; implicit-def: $vgpr1
; %bb.1762:                             ;   in Loop: Header=BB4_1483 Depth=2
	s_andn2_saveexec_b64 s[20:21], s[20:21]
; %bb.1763:                             ;   in Loop: Header=BB4_1483 Depth=2
	v_mov_b32_e32 v59, v1
; %bb.1764:                             ;   in Loop: Header=BB4_1483 Depth=2
	s_or_b64 exec, exec, s[20:21]
.LBB4_1765:                             ;   in Loop: Header=BB4_1483 Depth=2
	s_or_b64 exec, exec, s[92:93]
                                        ; implicit-def: $vgpr1
.LBB4_1766:                             ;   in Loop: Header=BB4_1483 Depth=2
	s_andn2_saveexec_b64 s[20:21], s[90:91]
; %bb.1767:                             ;   in Loop: Header=BB4_1483 Depth=2
	v_or_b32_e32 v59, 0x7e, v1
; %bb.1768:                             ;   in Loop: Header=BB4_1483 Depth=2
	s_or_b64 exec, exec, s[20:21]
                                        ; implicit-def: $vgpr4
.LBB4_1769:                             ;   in Loop: Header=BB4_1483 Depth=2
	s_andn2_saveexec_b64 s[20:21], s[88:89]
; %bb.1770:                             ;   in Loop: Header=BB4_1483 Depth=2
	v_or_b32_sdwa v59, v4, s53 dst_sel:DWORD dst_unused:UNUSED_PAD src0_sel:BYTE_3 src1_sel:DWORD
; %bb.1771:                             ;   in Loop: Header=BB4_1483 Depth=2
	s_or_b64 exec, exec, s[20:21]
	v_and_b32_e32 v16, 0xff, v57
	v_cmp_ne_u16_e32 vcc, 0, v16
	v_mov_b32_e32 v1, 0
	v_mov_b32_e32 v4, 0
	s_and_saveexec_b64 s[20:21], vcc
	s_cbranch_execz .LBB4_1777
; %bb.1772:                             ;   in Loop: Header=BB4_1483 Depth=2
	v_cmp_ne_u16_e32 vcc, s52, v16
	v_bfrev_b32_e32 v4, 1
	s_and_saveexec_b64 s[88:89], vcc
	s_cbranch_execz .LBB4_1776
; %bb.1773:                             ;   in Loop: Header=BB4_1483 Depth=2
	v_and_b32_e32 v5, 0x7f, v57
	v_cmp_ne_u32_e32 vcc, s53, v5
	v_mov_b32_e32 v4, 0x7f800001
	s_and_saveexec_b64 s[90:91], vcc
	s_cbranch_execz .LBB4_1775
; %bb.1774:                             ;   in Loop: Header=BB4_1483 Depth=2
	v_and_b32_e32 v17, 7, v16
	v_ffbh_u32_e32 v4, v17
	v_min_u32_e32 v19, 32, v4
	v_subrev_u32_e32 v4, 28, v19
	v_lshrrev_b32_e32 v18, 3, v5
	v_cmp_gt_u32_e32 vcc, 8, v5
	v_lshlrev_b64 v[4:5], v4, v[16:17]
	v_sub_u32_e32 v5, 29, v19
	v_and_b32_e32 v4, 7, v4
	v_cndmask_b32_e32 v5, v18, v5, vcc
	v_cndmask_b32_e32 v4, v17, v4, vcc
	v_lshlrev_b32_e32 v16, 24, v57
	v_lshlrev_b32_e32 v4, 20, v4
	v_and_b32_e32 v16, 0x80000000, v16
	v_lshl_add_u32 v5, v5, 23, v50
	v_or3_b32 v4, v16, v5, v4
.LBB4_1775:                             ;   in Loop: Header=BB4_1483 Depth=2
	s_or_b64 exec, exec, s[90:91]
.LBB4_1776:                             ;   in Loop: Header=BB4_1483 Depth=2
	s_or_b64 exec, exec, s[88:89]
.LBB4_1777:                             ;   in Loop: Header=BB4_1483 Depth=2
	s_or_b64 exec, exec, s[20:21]
	v_and_b32_e32 v16, 0xff, v56
	v_cmp_ne_u16_e32 vcc, 0, v16
	s_and_saveexec_b64 s[20:21], vcc
	s_cbranch_execz .LBB4_1783
; %bb.1778:                             ;   in Loop: Header=BB4_1483 Depth=2
	v_cmp_ne_u16_e32 vcc, s52, v16
	v_bfrev_b32_e32 v1, 1
	s_and_saveexec_b64 s[88:89], vcc
	s_cbranch_execz .LBB4_1782
; %bb.1779:                             ;   in Loop: Header=BB4_1483 Depth=2
	v_and_b32_e32 v5, 0x7f, v56
	v_cmp_ne_u32_e32 vcc, s53, v5
	v_mov_b32_e32 v1, 0x7f800001
	s_and_saveexec_b64 s[90:91], vcc
	s_cbranch_execz .LBB4_1781
; %bb.1780:                             ;   in Loop: Header=BB4_1483 Depth=2
	v_and_b32_e32 v1, 7, v16
	v_lshrrev_b32_e32 v18, 3, v5
	v_cmp_gt_u32_e32 vcc, 8, v5
	v_ffbh_u32_e32 v5, v1
	v_min_u32_e32 v5, 32, v5
	v_subrev_u32_e32 v17, 28, v5
	v_lshlrev_b64 v[16:17], v17, v[16:17]
	v_sub_u32_e32 v5, 29, v5
	v_and_b32_e32 v16, 7, v16
	v_cndmask_b32_e32 v5, v18, v5, vcc
	v_cndmask_b32_e32 v1, v1, v16, vcc
	v_lshlrev_b32_e32 v16, 24, v56
	v_lshlrev_b32_e32 v1, 20, v1
	v_and_b32_e32 v16, 0x80000000, v16
	v_lshl_add_u32 v5, v5, 23, v50
	v_or3_b32 v1, v16, v5, v1
.LBB4_1781:                             ;   in Loop: Header=BB4_1483 Depth=2
	s_or_b64 exec, exec, s[90:91]
.LBB4_1782:                             ;   in Loop: Header=BB4_1483 Depth=2
	s_or_b64 exec, exec, s[88:89]
.LBB4_1783:                             ;   in Loop: Header=BB4_1483 Depth=2
	s_or_b64 exec, exec, s[20:21]
	v_add_f32_e32 v4, v4, v1
	v_and_b32_e32 v52, 0x7f800000, v4
	v_cmp_ne_u64_e32 vcc, s[56:57], v[52:53]
                                        ; implicit-def: $vgpr56
	s_and_saveexec_b64 s[20:21], vcc
	s_xor_b64 s[88:89], exec, s[20:21]
	s_cbranch_execz .LBB4_1801
; %bb.1784:                             ;   in Loop: Header=BB4_1483 Depth=2
	v_and_b32_e32 v52, 0x7fffffff, v4
	v_cmp_gt_u64_e32 vcc, s[58:59], v[52:53]
	v_and_b32_sdwa v1, v4, s52 dst_sel:DWORD dst_unused:UNUSED_PAD src0_sel:BYTE_3 src1_sel:DWORD
                                        ; implicit-def: $vgpr56
	s_and_saveexec_b64 s[20:21], vcc
	s_xor_b64 s[90:91], exec, s[20:21]
	s_cbranch_execz .LBB4_1798
; %bb.1785:                             ;   in Loop: Header=BB4_1483 Depth=2
	v_cmp_ne_u32_e32 vcc, 0, v4
	v_mov_b32_e32 v56, 0
	s_and_saveexec_b64 s[92:93], vcc
	s_cbranch_execz .LBB4_1797
; %bb.1786:                             ;   in Loop: Header=BB4_1483 Depth=2
	v_and_b32_e32 v16, 0x7fffff, v4
	v_bfe_u32 v4, v4, 23, 8
	v_cmp_gt_u32_e64 s[20:21], s54, v4
	v_sub_u32_e32 v5, 0x79, v4
	v_cmp_eq_u32_e32 vcc, 0, v4
	v_cndmask_b32_e64 v5, 0, v5, s[20:21]
	v_mov_b32_e32 v18, 0x78
	v_or_b32_e32 v17, 0x800000, v16
	v_cndmask_b32_e32 v5, v5, v18, vcc
	v_cndmask_b32_e32 v52, v17, v16, vcc
	v_add_u32_e32 v16, 20, v5
	v_lshlrev_b64 v[16:17], v16, -1
	v_add_u32_e32 v18, 19, v5
	v_lshlrev_b64 v[18:19], v18, 1
	v_bfi_b32 v17, v17, 0, 0
	v_bfi_b32 v16, v16, 0, v52
	v_cmp_eq_u64_e64 s[20:21], v[16:17], v[18:19]
	v_lshrrev_b64 v[16:17], v5, v[52:53]
	v_mov_b32_e32 v18, v17
	v_mov_b32_e32 v17, v16
	s_and_saveexec_b64 s[94:95], s[20:21]
; %bb.1787:                             ;   in Loop: Header=BB4_1483 Depth=2
	v_bfe_u32 v17, v16, 20, 1
	v_add_co_u32_e64 v17, s[20:21], v16, v17
	v_add_co_u32_e64 v17, s[20:21], -1, v17
; %bb.1788:                             ;   in Loop: Header=BB4_1483 Depth=2
	s_or_b64 exec, exec, s[94:95]
	v_add_u32_e32 v4, 0xffffff81, v4
	v_mov_b32_e32 v18, 0xffffff82
	v_cndmask_b32_e32 v4, v4, v18, vcc
	v_lshrrev_b32_e32 v18, 23, v16
	v_add3_u32 v18, v5, v4, v18
	v_add_u32_e32 v5, 6, v18
	v_and_b32_e32 v4, 0xfffff, v17
	v_add_u32_e32 v52, v4, v16
	v_cmp_ne_u32_e32 vcc, 0, v5
                                        ; implicit-def: $vgpr16_vgpr17
                                        ; implicit-def: $vgpr4
	s_and_saveexec_b64 s[20:21], vcc
	s_xor_b64 s[20:21], exec, s[20:21]
; %bb.1789:                             ;   in Loop: Header=BB4_1483 Depth=2
	v_cmp_lt_u64_e32 vcc, s[60:61], v[52:53]
	v_add_u32_e32 v4, 7, v18
	v_cndmask_b32_e32 v4, v5, v4, vcc
	v_cndmask_b32_e64 v5, 0, 1, vcc
	v_lshrrev_b64 v[16:17], v5, v[52:53]
; %bb.1790:                             ;   in Loop: Header=BB4_1483 Depth=2
	s_andn2_saveexec_b64 s[20:21], s[20:21]
; %bb.1791:                             ;   in Loop: Header=BB4_1483 Depth=2
	v_mov_b32_e32 v16, v52
	v_bfe_u32 v4, v52, 23, 1
	v_mov_b32_e32 v17, v53
; %bb.1792:                             ;   in Loop: Header=BB4_1483 Depth=2
	s_or_b64 exec, exec, s[20:21]
	v_lshrrev_b64 v[16:17], 20, v[16:17]
	v_cmp_gt_i32_e32 vcc, 16, v4
	v_cndmask_b32_e32 v17, 0, v17, vcc
	v_cndmask_b32_e32 v16, 7, v16, vcc
	v_cmp_ne_u64_e32 vcc, 0, v[16:17]
	v_cmp_ne_u32_e64 s[20:21], 0, v4
	s_or_b64 s[20:21], s[20:21], vcc
                                        ; implicit-def: $vgpr56
	s_and_saveexec_b64 s[94:95], s[20:21]
	s_xor_b64 s[20:21], exec, s[94:95]
; %bb.1793:                             ;   in Loop: Header=BB4_1483 Depth=2
	v_min_i32_e32 v4, 15, v4
	v_lshl_or_b32 v1, v4, 3, v1
	v_and_or_b32 v56, v16, 7, v1
                                        ; implicit-def: $vgpr1
; %bb.1794:                             ;   in Loop: Header=BB4_1483 Depth=2
	s_andn2_saveexec_b64 s[20:21], s[20:21]
; %bb.1795:                             ;   in Loop: Header=BB4_1483 Depth=2
	v_mov_b32_e32 v56, v1
; %bb.1796:                             ;   in Loop: Header=BB4_1483 Depth=2
	s_or_b64 exec, exec, s[20:21]
.LBB4_1797:                             ;   in Loop: Header=BB4_1483 Depth=2
	s_or_b64 exec, exec, s[92:93]
                                        ; implicit-def: $vgpr1
.LBB4_1798:                             ;   in Loop: Header=BB4_1483 Depth=2
	s_andn2_saveexec_b64 s[20:21], s[90:91]
; %bb.1799:                             ;   in Loop: Header=BB4_1483 Depth=2
	v_or_b32_e32 v56, 0x7e, v1
; %bb.1800:                             ;   in Loop: Header=BB4_1483 Depth=2
	s_or_b64 exec, exec, s[20:21]
                                        ; implicit-def: $vgpr4
.LBB4_1801:                             ;   in Loop: Header=BB4_1483 Depth=2
	s_andn2_saveexec_b64 s[20:21], s[88:89]
; %bb.1802:                             ;   in Loop: Header=BB4_1483 Depth=2
	v_or_b32_sdwa v56, v4, s53 dst_sel:DWORD dst_unused:UNUSED_PAD src0_sel:BYTE_3 src1_sel:DWORD
; %bb.1803:                             ;   in Loop: Header=BB4_1483 Depth=2
	s_or_b64 exec, exec, s[20:21]
	v_and_b32_e32 v16, 0xff, v47
	v_cmp_ne_u16_e32 vcc, 0, v16
	v_mov_b32_e32 v1, 0
	v_mov_b32_e32 v4, 0
	s_and_saveexec_b64 s[20:21], vcc
	s_cbranch_execz .LBB4_1809
; %bb.1804:                             ;   in Loop: Header=BB4_1483 Depth=2
	v_cmp_ne_u16_e32 vcc, s52, v16
	v_bfrev_b32_e32 v4, 1
	s_and_saveexec_b64 s[88:89], vcc
	s_cbranch_execz .LBB4_1808
; %bb.1805:                             ;   in Loop: Header=BB4_1483 Depth=2
	v_and_b32_e32 v5, 0x7f, v47
	v_cmp_ne_u32_e32 vcc, s53, v5
	v_mov_b32_e32 v4, 0x7f800001
	s_and_saveexec_b64 s[90:91], vcc
	s_cbranch_execz .LBB4_1807
; %bb.1806:                             ;   in Loop: Header=BB4_1483 Depth=2
	v_and_b32_e32 v17, 7, v16
	v_ffbh_u32_e32 v4, v17
	v_min_u32_e32 v19, 32, v4
	v_subrev_u32_e32 v4, 28, v19
	v_lshrrev_b32_e32 v18, 3, v5
	v_cmp_gt_u32_e32 vcc, 8, v5
	v_lshlrev_b64 v[4:5], v4, v[16:17]
	v_sub_u32_e32 v5, 29, v19
	v_and_b32_e32 v4, 7, v4
	v_cndmask_b32_e32 v5, v18, v5, vcc
	v_cndmask_b32_e32 v4, v17, v4, vcc
	v_lshlrev_b32_e32 v16, 24, v47
	v_lshlrev_b32_e32 v4, 20, v4
	v_and_b32_e32 v16, 0x80000000, v16
	v_lshl_add_u32 v5, v5, 23, v50
	v_or3_b32 v4, v16, v5, v4
.LBB4_1807:                             ;   in Loop: Header=BB4_1483 Depth=2
	s_or_b64 exec, exec, s[90:91]
.LBB4_1808:                             ;   in Loop: Header=BB4_1483 Depth=2
	s_or_b64 exec, exec, s[88:89]
.LBB4_1809:                             ;   in Loop: Header=BB4_1483 Depth=2
	s_or_b64 exec, exec, s[20:21]
	v_and_b32_e32 v16, 0xff, v46
	v_cmp_ne_u16_e32 vcc, 0, v16
	s_and_saveexec_b64 s[20:21], vcc
	s_cbranch_execz .LBB4_1815
; %bb.1810:                             ;   in Loop: Header=BB4_1483 Depth=2
	v_cmp_ne_u16_e32 vcc, s52, v16
	v_bfrev_b32_e32 v1, 1
	s_and_saveexec_b64 s[88:89], vcc
	s_cbranch_execz .LBB4_1814
; %bb.1811:                             ;   in Loop: Header=BB4_1483 Depth=2
	v_and_b32_e32 v5, 0x7f, v46
	v_cmp_ne_u32_e32 vcc, s53, v5
	v_mov_b32_e32 v1, 0x7f800001
	s_and_saveexec_b64 s[90:91], vcc
	s_cbranch_execz .LBB4_1813
; %bb.1812:                             ;   in Loop: Header=BB4_1483 Depth=2
	v_and_b32_e32 v1, 7, v16
	v_lshrrev_b32_e32 v18, 3, v5
	v_cmp_gt_u32_e32 vcc, 8, v5
	v_ffbh_u32_e32 v5, v1
	v_min_u32_e32 v5, 32, v5
	v_subrev_u32_e32 v17, 28, v5
	v_lshlrev_b64 v[16:17], v17, v[16:17]
	v_sub_u32_e32 v5, 29, v5
	v_and_b32_e32 v16, 7, v16
	v_cndmask_b32_e32 v5, v18, v5, vcc
	v_cndmask_b32_e32 v1, v1, v16, vcc
	v_lshlrev_b32_e32 v16, 24, v46
	v_lshlrev_b32_e32 v1, 20, v1
	v_and_b32_e32 v16, 0x80000000, v16
	v_lshl_add_u32 v5, v5, 23, v50
	v_or3_b32 v1, v16, v5, v1
.LBB4_1813:                             ;   in Loop: Header=BB4_1483 Depth=2
	s_or_b64 exec, exec, s[90:91]
.LBB4_1814:                             ;   in Loop: Header=BB4_1483 Depth=2
	s_or_b64 exec, exec, s[88:89]
.LBB4_1815:                             ;   in Loop: Header=BB4_1483 Depth=2
	s_or_b64 exec, exec, s[20:21]
	v_add_f32_e32 v4, v4, v1
	v_and_b32_e32 v52, 0x7f800000, v4
	v_cmp_ne_u64_e32 vcc, s[56:57], v[52:53]
                                        ; implicit-def: $vgpr51
	s_and_saveexec_b64 s[20:21], vcc
	s_xor_b64 s[88:89], exec, s[20:21]
	s_cbranch_execz .LBB4_1833
; %bb.1816:                             ;   in Loop: Header=BB4_1483 Depth=2
	v_and_b32_e32 v52, 0x7fffffff, v4
	v_cmp_gt_u64_e32 vcc, s[58:59], v[52:53]
	v_and_b32_sdwa v1, v4, s52 dst_sel:DWORD dst_unused:UNUSED_PAD src0_sel:BYTE_3 src1_sel:DWORD
                                        ; implicit-def: $vgpr51
	s_and_saveexec_b64 s[20:21], vcc
	s_xor_b64 s[90:91], exec, s[20:21]
	s_cbranch_execz .LBB4_1830
; %bb.1817:                             ;   in Loop: Header=BB4_1483 Depth=2
	v_cmp_ne_u32_e32 vcc, 0, v4
	v_mov_b32_e32 v51, 0
	s_and_saveexec_b64 s[92:93], vcc
	s_cbranch_execz .LBB4_1829
; %bb.1818:                             ;   in Loop: Header=BB4_1483 Depth=2
	v_and_b32_e32 v16, 0x7fffff, v4
	v_bfe_u32 v4, v4, 23, 8
	v_cmp_gt_u32_e64 s[20:21], s54, v4
	v_sub_u32_e32 v5, 0x79, v4
	v_cmp_eq_u32_e32 vcc, 0, v4
	v_cndmask_b32_e64 v5, 0, v5, s[20:21]
	v_mov_b32_e32 v18, 0x78
	v_or_b32_e32 v17, 0x800000, v16
	v_cndmask_b32_e32 v5, v5, v18, vcc
	v_cndmask_b32_e32 v52, v17, v16, vcc
	v_add_u32_e32 v16, 20, v5
	v_lshlrev_b64 v[16:17], v16, -1
	v_add_u32_e32 v18, 19, v5
	v_lshlrev_b64 v[18:19], v18, 1
	v_bfi_b32 v17, v17, 0, 0
	v_bfi_b32 v16, v16, 0, v52
	v_cmp_eq_u64_e64 s[20:21], v[16:17], v[18:19]
	v_lshrrev_b64 v[16:17], v5, v[52:53]
	v_mov_b32_e32 v18, v17
	v_mov_b32_e32 v17, v16
	s_and_saveexec_b64 s[94:95], s[20:21]
; %bb.1819:                             ;   in Loop: Header=BB4_1483 Depth=2
	v_bfe_u32 v17, v16, 20, 1
	v_add_co_u32_e64 v17, s[20:21], v16, v17
	v_add_co_u32_e64 v17, s[20:21], -1, v17
; %bb.1820:                             ;   in Loop: Header=BB4_1483 Depth=2
	s_or_b64 exec, exec, s[94:95]
	v_add_u32_e32 v4, 0xffffff81, v4
	v_mov_b32_e32 v18, 0xffffff82
	v_cndmask_b32_e32 v4, v4, v18, vcc
	v_lshrrev_b32_e32 v18, 23, v16
	v_add3_u32 v18, v5, v4, v18
	v_add_u32_e32 v5, 6, v18
	v_and_b32_e32 v4, 0xfffff, v17
	v_add_u32_e32 v52, v4, v16
	v_cmp_ne_u32_e32 vcc, 0, v5
                                        ; implicit-def: $vgpr16_vgpr17
                                        ; implicit-def: $vgpr4
	s_and_saveexec_b64 s[20:21], vcc
	s_xor_b64 s[20:21], exec, s[20:21]
; %bb.1821:                             ;   in Loop: Header=BB4_1483 Depth=2
	v_cmp_lt_u64_e32 vcc, s[60:61], v[52:53]
	v_add_u32_e32 v4, 7, v18
	v_cndmask_b32_e32 v4, v5, v4, vcc
	v_cndmask_b32_e64 v5, 0, 1, vcc
	v_lshrrev_b64 v[16:17], v5, v[52:53]
; %bb.1822:                             ;   in Loop: Header=BB4_1483 Depth=2
	s_andn2_saveexec_b64 s[20:21], s[20:21]
; %bb.1823:                             ;   in Loop: Header=BB4_1483 Depth=2
	v_mov_b32_e32 v16, v52
	v_bfe_u32 v4, v52, 23, 1
	v_mov_b32_e32 v17, v53
; %bb.1824:                             ;   in Loop: Header=BB4_1483 Depth=2
	s_or_b64 exec, exec, s[20:21]
	v_lshrrev_b64 v[16:17], 20, v[16:17]
	v_cmp_gt_i32_e32 vcc, 16, v4
	v_cndmask_b32_e32 v17, 0, v17, vcc
	v_cndmask_b32_e32 v16, 7, v16, vcc
	v_cmp_ne_u64_e32 vcc, 0, v[16:17]
	v_cmp_ne_u32_e64 s[20:21], 0, v4
	s_or_b64 s[20:21], s[20:21], vcc
                                        ; implicit-def: $vgpr51
	s_and_saveexec_b64 s[94:95], s[20:21]
	s_xor_b64 s[20:21], exec, s[94:95]
; %bb.1825:                             ;   in Loop: Header=BB4_1483 Depth=2
	v_min_i32_e32 v4, 15, v4
	v_lshl_or_b32 v1, v4, 3, v1
	v_and_or_b32 v51, v16, 7, v1
                                        ; implicit-def: $vgpr1
; %bb.1826:                             ;   in Loop: Header=BB4_1483 Depth=2
	s_andn2_saveexec_b64 s[20:21], s[20:21]
; %bb.1827:                             ;   in Loop: Header=BB4_1483 Depth=2
	v_mov_b32_e32 v51, v1
; %bb.1828:                             ;   in Loop: Header=BB4_1483 Depth=2
	s_or_b64 exec, exec, s[20:21]
.LBB4_1829:                             ;   in Loop: Header=BB4_1483 Depth=2
	s_or_b64 exec, exec, s[92:93]
                                        ; implicit-def: $vgpr1
.LBB4_1830:                             ;   in Loop: Header=BB4_1483 Depth=2
	s_andn2_saveexec_b64 s[20:21], s[90:91]
; %bb.1831:                             ;   in Loop: Header=BB4_1483 Depth=2
	v_or_b32_e32 v51, 0x7e, v1
; %bb.1832:                             ;   in Loop: Header=BB4_1483 Depth=2
	s_or_b64 exec, exec, s[20:21]
                                        ; implicit-def: $vgpr4
.LBB4_1833:                             ;   in Loop: Header=BB4_1483 Depth=2
	s_andn2_saveexec_b64 s[20:21], s[88:89]
; %bb.1834:                             ;   in Loop: Header=BB4_1483 Depth=2
	v_or_b32_sdwa v51, v4, s53 dst_sel:DWORD dst_unused:UNUSED_PAD src0_sel:BYTE_3 src1_sel:DWORD
; %bb.1835:                             ;   in Loop: Header=BB4_1483 Depth=2
	s_or_b64 exec, exec, s[20:21]
	v_and_b32_e32 v16, 0xff, v45
	v_cmp_ne_u16_e32 vcc, 0, v16
	v_mov_b32_e32 v1, 0
	v_mov_b32_e32 v4, 0
	s_and_saveexec_b64 s[20:21], vcc
	s_cbranch_execz .LBB4_1841
; %bb.1836:                             ;   in Loop: Header=BB4_1483 Depth=2
	v_cmp_ne_u16_e32 vcc, s52, v16
	v_bfrev_b32_e32 v4, 1
	s_and_saveexec_b64 s[88:89], vcc
	s_cbranch_execz .LBB4_1840
; %bb.1837:                             ;   in Loop: Header=BB4_1483 Depth=2
	v_and_b32_e32 v5, 0x7f, v45
	v_cmp_ne_u32_e32 vcc, s53, v5
	v_mov_b32_e32 v4, 0x7f800001
	s_and_saveexec_b64 s[90:91], vcc
	s_cbranch_execz .LBB4_1839
; %bb.1838:                             ;   in Loop: Header=BB4_1483 Depth=2
	v_and_b32_e32 v17, 7, v16
	v_ffbh_u32_e32 v4, v17
	v_min_u32_e32 v19, 32, v4
	v_subrev_u32_e32 v4, 28, v19
	v_lshrrev_b32_e32 v18, 3, v5
	v_cmp_gt_u32_e32 vcc, 8, v5
	v_lshlrev_b64 v[4:5], v4, v[16:17]
	v_sub_u32_e32 v5, 29, v19
	v_and_b32_e32 v4, 7, v4
	v_cndmask_b32_e32 v5, v18, v5, vcc
	v_cndmask_b32_e32 v4, v17, v4, vcc
	v_lshlrev_b32_e32 v16, 24, v45
	v_lshlrev_b32_e32 v4, 20, v4
	v_and_b32_e32 v16, 0x80000000, v16
	v_lshl_add_u32 v5, v5, 23, v50
	v_or3_b32 v4, v16, v5, v4
.LBB4_1839:                             ;   in Loop: Header=BB4_1483 Depth=2
	s_or_b64 exec, exec, s[90:91]
.LBB4_1840:                             ;   in Loop: Header=BB4_1483 Depth=2
	s_or_b64 exec, exec, s[88:89]
.LBB4_1841:                             ;   in Loop: Header=BB4_1483 Depth=2
	s_or_b64 exec, exec, s[20:21]
	v_and_b32_e32 v16, 0xff, v44
	v_cmp_ne_u16_e32 vcc, 0, v16
	s_and_saveexec_b64 s[20:21], vcc
	s_cbranch_execz .LBB4_1847
; %bb.1842:                             ;   in Loop: Header=BB4_1483 Depth=2
	v_cmp_ne_u16_e32 vcc, s52, v16
	v_bfrev_b32_e32 v1, 1
	s_and_saveexec_b64 s[88:89], vcc
	s_cbranch_execz .LBB4_1846
; %bb.1843:                             ;   in Loop: Header=BB4_1483 Depth=2
	v_and_b32_e32 v5, 0x7f, v44
	v_cmp_ne_u32_e32 vcc, s53, v5
	v_mov_b32_e32 v1, 0x7f800001
	s_and_saveexec_b64 s[90:91], vcc
	s_cbranch_execz .LBB4_1845
; %bb.1844:                             ;   in Loop: Header=BB4_1483 Depth=2
	v_and_b32_e32 v1, 7, v16
	v_lshrrev_b32_e32 v18, 3, v5
	v_cmp_gt_u32_e32 vcc, 8, v5
	v_ffbh_u32_e32 v5, v1
	v_min_u32_e32 v5, 32, v5
	v_subrev_u32_e32 v17, 28, v5
	v_lshlrev_b64 v[16:17], v17, v[16:17]
	v_sub_u32_e32 v5, 29, v5
	v_and_b32_e32 v16, 7, v16
	v_cndmask_b32_e32 v5, v18, v5, vcc
	v_cndmask_b32_e32 v1, v1, v16, vcc
	v_lshlrev_b32_e32 v16, 24, v44
	v_lshlrev_b32_e32 v1, 20, v1
	v_and_b32_e32 v16, 0x80000000, v16
	v_lshl_add_u32 v5, v5, 23, v50
	v_or3_b32 v1, v16, v5, v1
.LBB4_1845:                             ;   in Loop: Header=BB4_1483 Depth=2
	s_or_b64 exec, exec, s[90:91]
.LBB4_1846:                             ;   in Loop: Header=BB4_1483 Depth=2
	s_or_b64 exec, exec, s[88:89]
.LBB4_1847:                             ;   in Loop: Header=BB4_1483 Depth=2
	s_or_b64 exec, exec, s[20:21]
	v_add_f32_e32 v4, v4, v1
	v_and_b32_e32 v52, 0x7f800000, v4
	v_cmp_ne_u64_e32 vcc, s[56:57], v[52:53]
                                        ; implicit-def: $vgpr43
	s_and_saveexec_b64 s[20:21], vcc
	s_xor_b64 s[88:89], exec, s[20:21]
	s_cbranch_execz .LBB4_1865
; %bb.1848:                             ;   in Loop: Header=BB4_1483 Depth=2
	v_and_b32_e32 v52, 0x7fffffff, v4
	v_cmp_gt_u64_e32 vcc, s[58:59], v[52:53]
	v_and_b32_sdwa v1, v4, s52 dst_sel:DWORD dst_unused:UNUSED_PAD src0_sel:BYTE_3 src1_sel:DWORD
                                        ; implicit-def: $vgpr43
	s_and_saveexec_b64 s[20:21], vcc
	s_xor_b64 s[90:91], exec, s[20:21]
	s_cbranch_execz .LBB4_1862
; %bb.1849:                             ;   in Loop: Header=BB4_1483 Depth=2
	v_cmp_ne_u32_e32 vcc, 0, v4
	v_mov_b32_e32 v43, 0
	s_and_saveexec_b64 s[92:93], vcc
	s_cbranch_execz .LBB4_1861
; %bb.1850:                             ;   in Loop: Header=BB4_1483 Depth=2
	v_and_b32_e32 v16, 0x7fffff, v4
	v_bfe_u32 v4, v4, 23, 8
	v_cmp_gt_u32_e64 s[20:21], s54, v4
	v_sub_u32_e32 v5, 0x79, v4
	v_cmp_eq_u32_e32 vcc, 0, v4
	v_cndmask_b32_e64 v5, 0, v5, s[20:21]
	v_mov_b32_e32 v18, 0x78
	v_or_b32_e32 v17, 0x800000, v16
	v_cndmask_b32_e32 v5, v5, v18, vcc
	v_cndmask_b32_e32 v52, v17, v16, vcc
	v_add_u32_e32 v16, 20, v5
	v_lshlrev_b64 v[16:17], v16, -1
	v_add_u32_e32 v18, 19, v5
	v_lshlrev_b64 v[18:19], v18, 1
	v_bfi_b32 v17, v17, 0, 0
	v_bfi_b32 v16, v16, 0, v52
	v_cmp_eq_u64_e64 s[20:21], v[16:17], v[18:19]
	v_lshrrev_b64 v[16:17], v5, v[52:53]
	v_mov_b32_e32 v18, v17
	v_mov_b32_e32 v17, v16
	s_and_saveexec_b64 s[94:95], s[20:21]
; %bb.1851:                             ;   in Loop: Header=BB4_1483 Depth=2
	v_bfe_u32 v17, v16, 20, 1
	v_add_co_u32_e64 v17, s[20:21], v16, v17
	v_add_co_u32_e64 v17, s[20:21], -1, v17
; %bb.1852:                             ;   in Loop: Header=BB4_1483 Depth=2
	s_or_b64 exec, exec, s[94:95]
	v_add_u32_e32 v4, 0xffffff81, v4
	v_mov_b32_e32 v18, 0xffffff82
	v_cndmask_b32_e32 v4, v4, v18, vcc
	v_lshrrev_b32_e32 v18, 23, v16
	v_add3_u32 v18, v5, v4, v18
	v_add_u32_e32 v5, 6, v18
	v_and_b32_e32 v4, 0xfffff, v17
	v_add_u32_e32 v52, v4, v16
	v_cmp_ne_u32_e32 vcc, 0, v5
                                        ; implicit-def: $vgpr16_vgpr17
                                        ; implicit-def: $vgpr4
	s_and_saveexec_b64 s[20:21], vcc
	s_xor_b64 s[20:21], exec, s[20:21]
; %bb.1853:                             ;   in Loop: Header=BB4_1483 Depth=2
	v_cmp_lt_u64_e32 vcc, s[60:61], v[52:53]
	v_add_u32_e32 v4, 7, v18
	v_cndmask_b32_e32 v4, v5, v4, vcc
	v_cndmask_b32_e64 v5, 0, 1, vcc
	v_lshrrev_b64 v[16:17], v5, v[52:53]
; %bb.1854:                             ;   in Loop: Header=BB4_1483 Depth=2
	s_andn2_saveexec_b64 s[20:21], s[20:21]
; %bb.1855:                             ;   in Loop: Header=BB4_1483 Depth=2
	v_mov_b32_e32 v16, v52
	v_bfe_u32 v4, v52, 23, 1
	v_mov_b32_e32 v17, v53
; %bb.1856:                             ;   in Loop: Header=BB4_1483 Depth=2
	s_or_b64 exec, exec, s[20:21]
	v_lshrrev_b64 v[16:17], 20, v[16:17]
	v_cmp_gt_i32_e32 vcc, 16, v4
	v_cndmask_b32_e32 v17, 0, v17, vcc
	v_cndmask_b32_e32 v16, 7, v16, vcc
	v_cmp_ne_u64_e32 vcc, 0, v[16:17]
	v_cmp_ne_u32_e64 s[20:21], 0, v4
	s_or_b64 s[20:21], s[20:21], vcc
                                        ; implicit-def: $vgpr43
	s_and_saveexec_b64 s[94:95], s[20:21]
	s_xor_b64 s[20:21], exec, s[94:95]
; %bb.1857:                             ;   in Loop: Header=BB4_1483 Depth=2
	v_min_i32_e32 v4, 15, v4
	v_lshl_or_b32 v1, v4, 3, v1
	v_and_or_b32 v43, v16, 7, v1
                                        ; implicit-def: $vgpr1
; %bb.1858:                             ;   in Loop: Header=BB4_1483 Depth=2
	s_andn2_saveexec_b64 s[20:21], s[20:21]
; %bb.1859:                             ;   in Loop: Header=BB4_1483 Depth=2
	v_mov_b32_e32 v43, v1
; %bb.1860:                             ;   in Loop: Header=BB4_1483 Depth=2
	s_or_b64 exec, exec, s[20:21]
.LBB4_1861:                             ;   in Loop: Header=BB4_1483 Depth=2
	s_or_b64 exec, exec, s[92:93]
                                        ; implicit-def: $vgpr1
.LBB4_1862:                             ;   in Loop: Header=BB4_1483 Depth=2
	s_andn2_saveexec_b64 s[20:21], s[90:91]
; %bb.1863:                             ;   in Loop: Header=BB4_1483 Depth=2
	v_or_b32_e32 v43, 0x7e, v1
; %bb.1864:                             ;   in Loop: Header=BB4_1483 Depth=2
	s_or_b64 exec, exec, s[20:21]
                                        ; implicit-def: $vgpr4
.LBB4_1865:                             ;   in Loop: Header=BB4_1483 Depth=2
	s_andn2_saveexec_b64 s[20:21], s[88:89]
; %bb.1866:                             ;   in Loop: Header=BB4_1483 Depth=2
	v_or_b32_sdwa v43, v4, s53 dst_sel:DWORD dst_unused:UNUSED_PAD src0_sel:BYTE_3 src1_sel:DWORD
; %bb.1867:                             ;   in Loop: Header=BB4_1483 Depth=2
	s_or_b64 exec, exec, s[20:21]
	v_and_b32_e32 v16, 0xff, v42
	v_cmp_ne_u16_e32 vcc, 0, v16
	v_mov_b32_e32 v1, 0
	v_mov_b32_e32 v4, 0
	s_and_saveexec_b64 s[20:21], vcc
	s_cbranch_execz .LBB4_1873
; %bb.1868:                             ;   in Loop: Header=BB4_1483 Depth=2
	v_cmp_ne_u16_e32 vcc, s52, v16
	v_bfrev_b32_e32 v4, 1
	s_and_saveexec_b64 s[88:89], vcc
	s_cbranch_execz .LBB4_1872
; %bb.1869:                             ;   in Loop: Header=BB4_1483 Depth=2
	v_and_b32_e32 v5, 0x7f, v42
	v_cmp_ne_u32_e32 vcc, s53, v5
	v_mov_b32_e32 v4, 0x7f800001
	s_and_saveexec_b64 s[90:91], vcc
	s_cbranch_execz .LBB4_1871
; %bb.1870:                             ;   in Loop: Header=BB4_1483 Depth=2
	v_and_b32_e32 v17, 7, v16
	v_ffbh_u32_e32 v4, v17
	v_min_u32_e32 v19, 32, v4
	v_subrev_u32_e32 v4, 28, v19
	v_lshrrev_b32_e32 v18, 3, v5
	v_cmp_gt_u32_e32 vcc, 8, v5
	v_lshlrev_b64 v[4:5], v4, v[16:17]
	v_sub_u32_e32 v5, 29, v19
	v_and_b32_e32 v4, 7, v4
	v_cndmask_b32_e32 v5, v18, v5, vcc
	v_cndmask_b32_e32 v4, v17, v4, vcc
	v_lshlrev_b32_e32 v16, 24, v42
	v_lshlrev_b32_e32 v4, 20, v4
	v_and_b32_e32 v16, 0x80000000, v16
	v_lshl_add_u32 v5, v5, 23, v50
	v_or3_b32 v4, v16, v5, v4
.LBB4_1871:                             ;   in Loop: Header=BB4_1483 Depth=2
	s_or_b64 exec, exec, s[90:91]
.LBB4_1872:                             ;   in Loop: Header=BB4_1483 Depth=2
	s_or_b64 exec, exec, s[88:89]
.LBB4_1873:                             ;   in Loop: Header=BB4_1483 Depth=2
	s_or_b64 exec, exec, s[20:21]
	v_and_b32_e32 v16, 0xff, v35
	v_cmp_ne_u16_e32 vcc, 0, v16
	s_and_saveexec_b64 s[20:21], vcc
	s_cbranch_execz .LBB4_1879
; %bb.1874:                             ;   in Loop: Header=BB4_1483 Depth=2
	v_cmp_ne_u16_e32 vcc, s52, v16
	v_bfrev_b32_e32 v1, 1
	s_and_saveexec_b64 s[88:89], vcc
	s_cbranch_execz .LBB4_1878
; %bb.1875:                             ;   in Loop: Header=BB4_1483 Depth=2
	v_and_b32_e32 v5, 0x7f, v35
	v_cmp_ne_u32_e32 vcc, s53, v5
	v_mov_b32_e32 v1, 0x7f800001
	s_and_saveexec_b64 s[90:91], vcc
	s_cbranch_execz .LBB4_1877
; %bb.1876:                             ;   in Loop: Header=BB4_1483 Depth=2
	v_and_b32_e32 v1, 7, v16
	v_lshrrev_b32_e32 v18, 3, v5
	v_cmp_gt_u32_e32 vcc, 8, v5
	v_ffbh_u32_e32 v5, v1
	v_min_u32_e32 v5, 32, v5
	v_subrev_u32_e32 v17, 28, v5
	v_lshlrev_b64 v[16:17], v17, v[16:17]
	v_sub_u32_e32 v5, 29, v5
	v_and_b32_e32 v16, 7, v16
	v_cndmask_b32_e32 v5, v18, v5, vcc
	v_cndmask_b32_e32 v1, v1, v16, vcc
	v_lshlrev_b32_e32 v16, 24, v35
	v_lshlrev_b32_e32 v1, 20, v1
	v_and_b32_e32 v16, 0x80000000, v16
	v_lshl_add_u32 v5, v5, 23, v50
	v_or3_b32 v1, v16, v5, v1
.LBB4_1877:                             ;   in Loop: Header=BB4_1483 Depth=2
	s_or_b64 exec, exec, s[90:91]
.LBB4_1878:                             ;   in Loop: Header=BB4_1483 Depth=2
	s_or_b64 exec, exec, s[88:89]
.LBB4_1879:                             ;   in Loop: Header=BB4_1483 Depth=2
	s_or_b64 exec, exec, s[20:21]
	v_add_f32_e32 v4, v4, v1
	v_and_b32_e32 v52, 0x7f800000, v4
	v_cmp_ne_u64_e32 vcc, s[56:57], v[52:53]
                                        ; implicit-def: $vgpr35
	s_and_saveexec_b64 s[20:21], vcc
	s_xor_b64 s[88:89], exec, s[20:21]
	s_cbranch_execz .LBB4_1897
; %bb.1880:                             ;   in Loop: Header=BB4_1483 Depth=2
	v_and_b32_e32 v52, 0x7fffffff, v4
	v_cmp_gt_u64_e32 vcc, s[58:59], v[52:53]
	v_and_b32_sdwa v1, v4, s52 dst_sel:DWORD dst_unused:UNUSED_PAD src0_sel:BYTE_3 src1_sel:DWORD
                                        ; implicit-def: $vgpr35
	s_and_saveexec_b64 s[20:21], vcc
	s_xor_b64 s[90:91], exec, s[20:21]
	s_cbranch_execz .LBB4_1894
; %bb.1881:                             ;   in Loop: Header=BB4_1483 Depth=2
	v_cmp_ne_u32_e32 vcc, 0, v4
	v_mov_b32_e32 v35, 0
	s_and_saveexec_b64 s[92:93], vcc
	s_cbranch_execz .LBB4_1893
; %bb.1882:                             ;   in Loop: Header=BB4_1483 Depth=2
	v_and_b32_e32 v16, 0x7fffff, v4
	v_bfe_u32 v4, v4, 23, 8
	v_cmp_gt_u32_e64 s[20:21], s54, v4
	v_sub_u32_e32 v5, 0x79, v4
	v_cmp_eq_u32_e32 vcc, 0, v4
	v_cndmask_b32_e64 v5, 0, v5, s[20:21]
	v_mov_b32_e32 v18, 0x78
	v_or_b32_e32 v17, 0x800000, v16
	v_cndmask_b32_e32 v5, v5, v18, vcc
	v_cndmask_b32_e32 v52, v17, v16, vcc
	v_add_u32_e32 v16, 20, v5
	v_lshlrev_b64 v[16:17], v16, -1
	v_add_u32_e32 v18, 19, v5
	v_lshlrev_b64 v[18:19], v18, 1
	v_bfi_b32 v17, v17, 0, 0
	v_bfi_b32 v16, v16, 0, v52
	v_cmp_eq_u64_e64 s[20:21], v[16:17], v[18:19]
	v_lshrrev_b64 v[16:17], v5, v[52:53]
	v_mov_b32_e32 v18, v17
	v_mov_b32_e32 v17, v16
	s_and_saveexec_b64 s[94:95], s[20:21]
; %bb.1883:                             ;   in Loop: Header=BB4_1483 Depth=2
	v_bfe_u32 v17, v16, 20, 1
	v_add_co_u32_e64 v17, s[20:21], v16, v17
	v_add_co_u32_e64 v17, s[20:21], -1, v17
; %bb.1884:                             ;   in Loop: Header=BB4_1483 Depth=2
	s_or_b64 exec, exec, s[94:95]
	v_add_u32_e32 v4, 0xffffff81, v4
	v_mov_b32_e32 v18, 0xffffff82
	v_cndmask_b32_e32 v4, v4, v18, vcc
	v_lshrrev_b32_e32 v18, 23, v16
	v_add3_u32 v18, v5, v4, v18
	v_add_u32_e32 v5, 6, v18
	v_and_b32_e32 v4, 0xfffff, v17
	v_add_u32_e32 v52, v4, v16
	v_cmp_ne_u32_e32 vcc, 0, v5
                                        ; implicit-def: $vgpr16_vgpr17
                                        ; implicit-def: $vgpr4
	s_and_saveexec_b64 s[20:21], vcc
	s_xor_b64 s[20:21], exec, s[20:21]
; %bb.1885:                             ;   in Loop: Header=BB4_1483 Depth=2
	v_cmp_lt_u64_e32 vcc, s[60:61], v[52:53]
	v_add_u32_e32 v4, 7, v18
	v_cndmask_b32_e32 v4, v5, v4, vcc
	v_cndmask_b32_e64 v5, 0, 1, vcc
	v_lshrrev_b64 v[16:17], v5, v[52:53]
; %bb.1886:                             ;   in Loop: Header=BB4_1483 Depth=2
	s_andn2_saveexec_b64 s[20:21], s[20:21]
; %bb.1887:                             ;   in Loop: Header=BB4_1483 Depth=2
	v_mov_b32_e32 v16, v52
	v_bfe_u32 v4, v52, 23, 1
	v_mov_b32_e32 v17, v53
; %bb.1888:                             ;   in Loop: Header=BB4_1483 Depth=2
	s_or_b64 exec, exec, s[20:21]
	v_lshrrev_b64 v[16:17], 20, v[16:17]
	v_cmp_gt_i32_e32 vcc, 16, v4
	v_cndmask_b32_e32 v17, 0, v17, vcc
	v_cndmask_b32_e32 v16, 7, v16, vcc
	v_cmp_ne_u64_e32 vcc, 0, v[16:17]
	v_cmp_ne_u32_e64 s[20:21], 0, v4
	s_or_b64 s[20:21], s[20:21], vcc
                                        ; implicit-def: $vgpr35
	s_and_saveexec_b64 s[94:95], s[20:21]
	s_xor_b64 s[20:21], exec, s[94:95]
; %bb.1889:                             ;   in Loop: Header=BB4_1483 Depth=2
	v_min_i32_e32 v4, 15, v4
	v_lshl_or_b32 v1, v4, 3, v1
	v_and_or_b32 v35, v16, 7, v1
                                        ; implicit-def: $vgpr1
; %bb.1890:                             ;   in Loop: Header=BB4_1483 Depth=2
	s_andn2_saveexec_b64 s[20:21], s[20:21]
; %bb.1891:                             ;   in Loop: Header=BB4_1483 Depth=2
	v_mov_b32_e32 v35, v1
; %bb.1892:                             ;   in Loop: Header=BB4_1483 Depth=2
	s_or_b64 exec, exec, s[20:21]
.LBB4_1893:                             ;   in Loop: Header=BB4_1483 Depth=2
	s_or_b64 exec, exec, s[92:93]
                                        ; implicit-def: $vgpr1
.LBB4_1894:                             ;   in Loop: Header=BB4_1483 Depth=2
	s_andn2_saveexec_b64 s[20:21], s[90:91]
; %bb.1895:                             ;   in Loop: Header=BB4_1483 Depth=2
	v_or_b32_e32 v35, 0x7e, v1
; %bb.1896:                             ;   in Loop: Header=BB4_1483 Depth=2
	s_or_b64 exec, exec, s[20:21]
                                        ; implicit-def: $vgpr4
.LBB4_1897:                             ;   in Loop: Header=BB4_1483 Depth=2
	s_andn2_saveexec_b64 s[20:21], s[88:89]
; %bb.1898:                             ;   in Loop: Header=BB4_1483 Depth=2
	v_or_b32_sdwa v35, v4, s53 dst_sel:DWORD dst_unused:UNUSED_PAD src0_sel:BYTE_3 src1_sel:DWORD
; %bb.1899:                             ;   in Loop: Header=BB4_1483 Depth=2
	s_or_b64 exec, exec, s[20:21]
	v_and_b32_e32 v16, 0xff, v30
	v_cmp_ne_u16_e32 vcc, 0, v16
	v_mov_b32_e32 v1, 0
	v_mov_b32_e32 v4, 0
	s_and_saveexec_b64 s[20:21], vcc
	s_cbranch_execz .LBB4_1905
; %bb.1900:                             ;   in Loop: Header=BB4_1483 Depth=2
	v_cmp_ne_u16_e32 vcc, s52, v16
	v_bfrev_b32_e32 v4, 1
	s_and_saveexec_b64 s[88:89], vcc
	s_cbranch_execz .LBB4_1904
; %bb.1901:                             ;   in Loop: Header=BB4_1483 Depth=2
	v_and_b32_e32 v5, 0x7f, v30
	v_cmp_ne_u32_e32 vcc, s53, v5
	v_mov_b32_e32 v4, 0x7f800001
	s_and_saveexec_b64 s[90:91], vcc
	s_cbranch_execz .LBB4_1903
; %bb.1902:                             ;   in Loop: Header=BB4_1483 Depth=2
	v_and_b32_e32 v17, 7, v16
	v_ffbh_u32_e32 v4, v17
	v_min_u32_e32 v19, 32, v4
	v_subrev_u32_e32 v4, 28, v19
	v_lshrrev_b32_e32 v18, 3, v5
	v_cmp_gt_u32_e32 vcc, 8, v5
	v_lshlrev_b64 v[4:5], v4, v[16:17]
	v_sub_u32_e32 v5, 29, v19
	v_and_b32_e32 v4, 7, v4
	v_cndmask_b32_e32 v5, v18, v5, vcc
	v_cndmask_b32_e32 v4, v17, v4, vcc
	v_lshlrev_b32_e32 v16, 24, v30
	v_lshlrev_b32_e32 v4, 20, v4
	v_and_b32_e32 v16, 0x80000000, v16
	v_lshl_add_u32 v5, v5, 23, v50
	v_or3_b32 v4, v16, v5, v4
.LBB4_1903:                             ;   in Loop: Header=BB4_1483 Depth=2
	s_or_b64 exec, exec, s[90:91]
.LBB4_1904:                             ;   in Loop: Header=BB4_1483 Depth=2
	s_or_b64 exec, exec, s[88:89]
.LBB4_1905:                             ;   in Loop: Header=BB4_1483 Depth=2
	s_or_b64 exec, exec, s[20:21]
	v_and_b32_e32 v16, 0xff, v28
	v_cmp_ne_u16_e32 vcc, 0, v16
	s_and_saveexec_b64 s[20:21], vcc
	s_cbranch_execz .LBB4_1911
; %bb.1906:                             ;   in Loop: Header=BB4_1483 Depth=2
	v_cmp_ne_u16_e32 vcc, s52, v16
	v_bfrev_b32_e32 v1, 1
	s_and_saveexec_b64 s[88:89], vcc
	s_cbranch_execz .LBB4_1910
; %bb.1907:                             ;   in Loop: Header=BB4_1483 Depth=2
	v_and_b32_e32 v5, 0x7f, v28
	v_cmp_ne_u32_e32 vcc, s53, v5
	v_mov_b32_e32 v1, 0x7f800001
	s_and_saveexec_b64 s[90:91], vcc
	s_cbranch_execz .LBB4_1909
; %bb.1908:                             ;   in Loop: Header=BB4_1483 Depth=2
	v_and_b32_e32 v1, 7, v16
	v_lshrrev_b32_e32 v18, 3, v5
	v_cmp_gt_u32_e32 vcc, 8, v5
	v_ffbh_u32_e32 v5, v1
	v_min_u32_e32 v5, 32, v5
	v_subrev_u32_e32 v17, 28, v5
	v_lshlrev_b64 v[16:17], v17, v[16:17]
	v_sub_u32_e32 v5, 29, v5
	v_and_b32_e32 v16, 7, v16
	v_cndmask_b32_e32 v5, v18, v5, vcc
	v_cndmask_b32_e32 v1, v1, v16, vcc
	v_lshlrev_b32_e32 v16, 24, v28
	v_lshlrev_b32_e32 v1, 20, v1
	v_and_b32_e32 v16, 0x80000000, v16
	v_lshl_add_u32 v5, v5, 23, v50
	v_or3_b32 v1, v16, v5, v1
.LBB4_1909:                             ;   in Loop: Header=BB4_1483 Depth=2
	s_or_b64 exec, exec, s[90:91]
.LBB4_1910:                             ;   in Loop: Header=BB4_1483 Depth=2
	s_or_b64 exec, exec, s[88:89]
.LBB4_1911:                             ;   in Loop: Header=BB4_1483 Depth=2
	s_or_b64 exec, exec, s[20:21]
	v_add_f32_e32 v4, v4, v1
	v_and_b32_e32 v52, 0x7f800000, v4
	v_cmp_ne_u64_e32 vcc, s[56:57], v[52:53]
                                        ; implicit-def: $vgpr21
	s_and_saveexec_b64 s[20:21], vcc
	s_xor_b64 s[88:89], exec, s[20:21]
	s_cbranch_execz .LBB4_1929
; %bb.1912:                             ;   in Loop: Header=BB4_1483 Depth=2
	v_and_b32_e32 v52, 0x7fffffff, v4
	v_cmp_gt_u64_e32 vcc, s[58:59], v[52:53]
	v_and_b32_sdwa v1, v4, s52 dst_sel:DWORD dst_unused:UNUSED_PAD src0_sel:BYTE_3 src1_sel:DWORD
                                        ; implicit-def: $vgpr21
	s_and_saveexec_b64 s[20:21], vcc
	s_xor_b64 s[90:91], exec, s[20:21]
	s_cbranch_execz .LBB4_1926
; %bb.1913:                             ;   in Loop: Header=BB4_1483 Depth=2
	v_cmp_ne_u32_e32 vcc, 0, v4
	v_mov_b32_e32 v21, 0
	s_and_saveexec_b64 s[92:93], vcc
	s_cbranch_execz .LBB4_1925
; %bb.1914:                             ;   in Loop: Header=BB4_1483 Depth=2
	v_and_b32_e32 v16, 0x7fffff, v4
	v_bfe_u32 v4, v4, 23, 8
	v_cmp_gt_u32_e64 s[20:21], s54, v4
	v_sub_u32_e32 v5, 0x79, v4
	v_cmp_eq_u32_e32 vcc, 0, v4
	v_cndmask_b32_e64 v5, 0, v5, s[20:21]
	v_mov_b32_e32 v18, 0x78
	v_or_b32_e32 v17, 0x800000, v16
	v_cndmask_b32_e32 v5, v5, v18, vcc
	v_cndmask_b32_e32 v52, v17, v16, vcc
	v_add_u32_e32 v16, 20, v5
	v_lshlrev_b64 v[16:17], v16, -1
	v_add_u32_e32 v18, 19, v5
	v_lshlrev_b64 v[18:19], v18, 1
	v_bfi_b32 v17, v17, 0, 0
	v_bfi_b32 v16, v16, 0, v52
	v_cmp_eq_u64_e64 s[20:21], v[16:17], v[18:19]
	v_lshrrev_b64 v[16:17], v5, v[52:53]
	v_mov_b32_e32 v18, v17
	v_mov_b32_e32 v17, v16
	s_and_saveexec_b64 s[94:95], s[20:21]
; %bb.1915:                             ;   in Loop: Header=BB4_1483 Depth=2
	v_bfe_u32 v17, v16, 20, 1
	v_add_co_u32_e64 v17, s[20:21], v16, v17
	v_add_co_u32_e64 v17, s[20:21], -1, v17
; %bb.1916:                             ;   in Loop: Header=BB4_1483 Depth=2
	s_or_b64 exec, exec, s[94:95]
	v_add_u32_e32 v4, 0xffffff81, v4
	v_mov_b32_e32 v18, 0xffffff82
	v_cndmask_b32_e32 v4, v4, v18, vcc
	v_lshrrev_b32_e32 v18, 23, v16
	v_add3_u32 v18, v5, v4, v18
	v_add_u32_e32 v5, 6, v18
	v_and_b32_e32 v4, 0xfffff, v17
	v_add_u32_e32 v52, v4, v16
	v_cmp_ne_u32_e32 vcc, 0, v5
                                        ; implicit-def: $vgpr16_vgpr17
                                        ; implicit-def: $vgpr4
	s_and_saveexec_b64 s[20:21], vcc
	s_xor_b64 s[20:21], exec, s[20:21]
; %bb.1917:                             ;   in Loop: Header=BB4_1483 Depth=2
	v_cmp_lt_u64_e32 vcc, s[60:61], v[52:53]
	v_add_u32_e32 v4, 7, v18
	v_cndmask_b32_e32 v4, v5, v4, vcc
	v_cndmask_b32_e64 v5, 0, 1, vcc
	v_lshrrev_b64 v[16:17], v5, v[52:53]
; %bb.1918:                             ;   in Loop: Header=BB4_1483 Depth=2
	s_andn2_saveexec_b64 s[20:21], s[20:21]
; %bb.1919:                             ;   in Loop: Header=BB4_1483 Depth=2
	v_mov_b32_e32 v16, v52
	v_bfe_u32 v4, v52, 23, 1
	v_mov_b32_e32 v17, v53
; %bb.1920:                             ;   in Loop: Header=BB4_1483 Depth=2
	s_or_b64 exec, exec, s[20:21]
	v_lshrrev_b64 v[16:17], 20, v[16:17]
	v_cmp_gt_i32_e32 vcc, 16, v4
	v_cndmask_b32_e32 v17, 0, v17, vcc
	v_cndmask_b32_e32 v16, 7, v16, vcc
	v_cmp_ne_u64_e32 vcc, 0, v[16:17]
	v_cmp_ne_u32_e64 s[20:21], 0, v4
	s_or_b64 s[20:21], s[20:21], vcc
                                        ; implicit-def: $vgpr21
	s_and_saveexec_b64 s[94:95], s[20:21]
	s_xor_b64 s[20:21], exec, s[94:95]
; %bb.1921:                             ;   in Loop: Header=BB4_1483 Depth=2
	v_min_i32_e32 v4, 15, v4
	v_lshl_or_b32 v1, v4, 3, v1
	v_and_or_b32 v21, v16, 7, v1
                                        ; implicit-def: $vgpr1
; %bb.1922:                             ;   in Loop: Header=BB4_1483 Depth=2
	s_andn2_saveexec_b64 s[20:21], s[20:21]
; %bb.1923:                             ;   in Loop: Header=BB4_1483 Depth=2
	v_mov_b32_e32 v21, v1
; %bb.1924:                             ;   in Loop: Header=BB4_1483 Depth=2
	s_or_b64 exec, exec, s[20:21]
.LBB4_1925:                             ;   in Loop: Header=BB4_1483 Depth=2
	s_or_b64 exec, exec, s[92:93]
                                        ; implicit-def: $vgpr1
.LBB4_1926:                             ;   in Loop: Header=BB4_1483 Depth=2
	s_andn2_saveexec_b64 s[20:21], s[90:91]
; %bb.1927:                             ;   in Loop: Header=BB4_1483 Depth=2
	v_or_b32_e32 v21, 0x7e, v1
; %bb.1928:                             ;   in Loop: Header=BB4_1483 Depth=2
	s_or_b64 exec, exec, s[20:21]
                                        ; implicit-def: $vgpr4
.LBB4_1929:                             ;   in Loop: Header=BB4_1483 Depth=2
	s_andn2_saveexec_b64 s[20:21], s[88:89]
; %bb.1930:                             ;   in Loop: Header=BB4_1483 Depth=2
	v_or_b32_sdwa v21, v4, s53 dst_sel:DWORD dst_unused:UNUSED_PAD src0_sel:BYTE_3 src1_sel:DWORD
; %bb.1931:                             ;   in Loop: Header=BB4_1483 Depth=2
	s_or_b64 exec, exec, s[20:21]
	v_and_b32_e32 v16, 0xff, v27
	v_cmp_ne_u16_e32 vcc, 0, v16
	v_mov_b32_e32 v1, 0
	v_mov_b32_e32 v4, 0
	s_and_saveexec_b64 s[20:21], vcc
	s_cbranch_execz .LBB4_1937
; %bb.1932:                             ;   in Loop: Header=BB4_1483 Depth=2
	v_cmp_ne_u16_e32 vcc, s52, v16
	v_bfrev_b32_e32 v4, 1
	s_and_saveexec_b64 s[88:89], vcc
	s_cbranch_execz .LBB4_1936
; %bb.1933:                             ;   in Loop: Header=BB4_1483 Depth=2
	v_and_b32_e32 v5, 0x7f, v27
	v_cmp_ne_u32_e32 vcc, s53, v5
	v_mov_b32_e32 v4, 0x7f800001
	s_and_saveexec_b64 s[90:91], vcc
	s_cbranch_execz .LBB4_1935
; %bb.1934:                             ;   in Loop: Header=BB4_1483 Depth=2
	v_and_b32_e32 v17, 7, v16
	v_ffbh_u32_e32 v4, v17
	v_min_u32_e32 v19, 32, v4
	v_subrev_u32_e32 v4, 28, v19
	v_lshrrev_b32_e32 v18, 3, v5
	v_cmp_gt_u32_e32 vcc, 8, v5
	v_lshlrev_b64 v[4:5], v4, v[16:17]
	v_sub_u32_e32 v5, 29, v19
	v_and_b32_e32 v4, 7, v4
	v_cndmask_b32_e32 v5, v18, v5, vcc
	v_cndmask_b32_e32 v4, v17, v4, vcc
	v_lshlrev_b32_e32 v16, 24, v27
	v_lshlrev_b32_e32 v4, 20, v4
	v_and_b32_e32 v16, 0x80000000, v16
	v_lshl_add_u32 v5, v5, 23, v50
	v_or3_b32 v4, v16, v5, v4
.LBB4_1935:                             ;   in Loop: Header=BB4_1483 Depth=2
	s_or_b64 exec, exec, s[90:91]
.LBB4_1936:                             ;   in Loop: Header=BB4_1483 Depth=2
	s_or_b64 exec, exec, s[88:89]
.LBB4_1937:                             ;   in Loop: Header=BB4_1483 Depth=2
	s_or_b64 exec, exec, s[20:21]
	v_and_b32_e32 v16, 0xff, v25
	v_cmp_ne_u16_e32 vcc, 0, v16
	s_and_saveexec_b64 s[20:21], vcc
	s_cbranch_execz .LBB4_1943
; %bb.1938:                             ;   in Loop: Header=BB4_1483 Depth=2
	v_cmp_ne_u16_e32 vcc, s52, v16
	v_bfrev_b32_e32 v1, 1
	s_and_saveexec_b64 s[88:89], vcc
	s_cbranch_execz .LBB4_1942
; %bb.1939:                             ;   in Loop: Header=BB4_1483 Depth=2
	v_and_b32_e32 v5, 0x7f, v25
	v_cmp_ne_u32_e32 vcc, s53, v5
	v_mov_b32_e32 v1, 0x7f800001
	s_and_saveexec_b64 s[90:91], vcc
	s_cbranch_execz .LBB4_1941
; %bb.1940:                             ;   in Loop: Header=BB4_1483 Depth=2
	v_and_b32_e32 v1, 7, v16
	v_lshrrev_b32_e32 v18, 3, v5
	v_cmp_gt_u32_e32 vcc, 8, v5
	v_ffbh_u32_e32 v5, v1
	v_min_u32_e32 v5, 32, v5
	v_subrev_u32_e32 v17, 28, v5
	v_lshlrev_b64 v[16:17], v17, v[16:17]
	v_sub_u32_e32 v5, 29, v5
	v_and_b32_e32 v16, 7, v16
	v_cndmask_b32_e32 v5, v18, v5, vcc
	v_cndmask_b32_e32 v1, v1, v16, vcc
	v_lshlrev_b32_e32 v16, 24, v25
	v_lshlrev_b32_e32 v1, 20, v1
	v_and_b32_e32 v16, 0x80000000, v16
	v_lshl_add_u32 v5, v5, 23, v50
	v_or3_b32 v1, v16, v5, v1
.LBB4_1941:                             ;   in Loop: Header=BB4_1483 Depth=2
	s_or_b64 exec, exec, s[90:91]
.LBB4_1942:                             ;   in Loop: Header=BB4_1483 Depth=2
	s_or_b64 exec, exec, s[88:89]
.LBB4_1943:                             ;   in Loop: Header=BB4_1483 Depth=2
	s_or_b64 exec, exec, s[20:21]
	v_add_f32_e32 v5, v4, v1
	v_and_b32_e32 v52, 0x7f800000, v5
	v_cmp_ne_u64_e32 vcc, s[56:57], v[52:53]
                                        ; implicit-def: $vgpr1
	s_and_saveexec_b64 s[20:21], vcc
	s_xor_b64 s[88:89], exec, s[20:21]
	s_cbranch_execz .LBB4_1961
; %bb.1944:                             ;   in Loop: Header=BB4_1483 Depth=2
	v_and_b32_e32 v52, 0x7fffffff, v5
	v_cmp_gt_u64_e32 vcc, s[58:59], v[52:53]
	v_and_b32_sdwa v4, v5, s52 dst_sel:DWORD dst_unused:UNUSED_PAD src0_sel:BYTE_3 src1_sel:DWORD
                                        ; implicit-def: $vgpr1
	s_and_saveexec_b64 s[20:21], vcc
	s_xor_b64 s[90:91], exec, s[20:21]
	s_cbranch_execz .LBB4_1958
; %bb.1945:                             ;   in Loop: Header=BB4_1483 Depth=2
	v_cmp_ne_u32_e32 vcc, 0, v5
	v_mov_b32_e32 v1, 0
	s_and_saveexec_b64 s[92:93], vcc
	s_cbranch_execz .LBB4_1957
; %bb.1946:                             ;   in Loop: Header=BB4_1483 Depth=2
	v_bfe_u32 v1, v5, 23, 8
	v_and_b32_e32 v16, 0x7fffff, v5
	v_cmp_gt_u32_e64 s[20:21], s54, v1
	v_sub_u32_e32 v5, 0x79, v1
	v_cmp_eq_u32_e32 vcc, 0, v1
	v_cndmask_b32_e64 v5, 0, v5, s[20:21]
	v_mov_b32_e32 v18, 0x78
	v_or_b32_e32 v17, 0x800000, v16
	v_cndmask_b32_e32 v5, v5, v18, vcc
	v_cndmask_b32_e32 v52, v17, v16, vcc
	v_add_u32_e32 v16, 20, v5
	v_lshlrev_b64 v[16:17], v16, -1
	v_add_u32_e32 v18, 19, v5
	v_lshlrev_b64 v[18:19], v18, 1
	v_bfi_b32 v17, v17, 0, 0
	v_bfi_b32 v16, v16, 0, v52
	v_cmp_eq_u64_e64 s[20:21], v[16:17], v[18:19]
	v_lshrrev_b64 v[16:17], v5, v[52:53]
	v_mov_b32_e32 v18, v17
	v_mov_b32_e32 v17, v16
	s_and_saveexec_b64 s[94:95], s[20:21]
; %bb.1947:                             ;   in Loop: Header=BB4_1483 Depth=2
	v_bfe_u32 v17, v16, 20, 1
	v_add_co_u32_e64 v17, s[20:21], v16, v17
	v_add_co_u32_e64 v17, s[20:21], -1, v17
; %bb.1948:                             ;   in Loop: Header=BB4_1483 Depth=2
	s_or_b64 exec, exec, s[94:95]
	v_add_u32_e32 v1, 0xffffff81, v1
	v_mov_b32_e32 v18, 0xffffff82
	v_cndmask_b32_e32 v1, v1, v18, vcc
	v_lshrrev_b32_e32 v18, 23, v16
	v_add3_u32 v18, v5, v1, v18
	v_add_u32_e32 v1, 6, v18
	v_and_b32_e32 v5, 0xfffff, v17
	v_add_u32_e32 v52, v5, v16
	v_cmp_ne_u32_e32 vcc, 0, v1
                                        ; implicit-def: $vgpr16_vgpr17
                                        ; implicit-def: $vgpr5
	s_and_saveexec_b64 s[20:21], vcc
	s_xor_b64 s[20:21], exec, s[20:21]
; %bb.1949:                             ;   in Loop: Header=BB4_1483 Depth=2
	v_cmp_lt_u64_e32 vcc, s[60:61], v[52:53]
	v_add_u32_e32 v5, 7, v18
	v_cndmask_b32_e32 v5, v1, v5, vcc
	v_cndmask_b32_e64 v1, 0, 1, vcc
	v_lshrrev_b64 v[16:17], v1, v[52:53]
; %bb.1950:                             ;   in Loop: Header=BB4_1483 Depth=2
	s_andn2_saveexec_b64 s[20:21], s[20:21]
; %bb.1951:                             ;   in Loop: Header=BB4_1483 Depth=2
	v_mov_b32_e32 v16, v52
	v_bfe_u32 v5, v52, 23, 1
	v_mov_b32_e32 v17, v53
; %bb.1952:                             ;   in Loop: Header=BB4_1483 Depth=2
	s_or_b64 exec, exec, s[20:21]
	v_lshrrev_b64 v[16:17], 20, v[16:17]
	v_cmp_gt_i32_e32 vcc, 16, v5
	v_cndmask_b32_e32 v17, 0, v17, vcc
	v_cndmask_b32_e32 v16, 7, v16, vcc
	v_cmp_ne_u64_e32 vcc, 0, v[16:17]
	v_cmp_ne_u32_e64 s[20:21], 0, v5
	s_or_b64 s[20:21], s[20:21], vcc
                                        ; implicit-def: $vgpr1
	s_and_saveexec_b64 s[94:95], s[20:21]
	s_xor_b64 s[20:21], exec, s[94:95]
; %bb.1953:                             ;   in Loop: Header=BB4_1483 Depth=2
	v_min_i32_e32 v1, 15, v5
	v_lshl_or_b32 v1, v1, 3, v4
	v_and_or_b32 v1, v16, 7, v1
                                        ; implicit-def: $vgpr4
; %bb.1954:                             ;   in Loop: Header=BB4_1483 Depth=2
	s_andn2_saveexec_b64 s[20:21], s[20:21]
; %bb.1955:                             ;   in Loop: Header=BB4_1483 Depth=2
	v_mov_b32_e32 v1, v4
; %bb.1956:                             ;   in Loop: Header=BB4_1483 Depth=2
	s_or_b64 exec, exec, s[20:21]
.LBB4_1957:                             ;   in Loop: Header=BB4_1483 Depth=2
	s_or_b64 exec, exec, s[92:93]
                                        ; implicit-def: $vgpr4
.LBB4_1958:                             ;   in Loop: Header=BB4_1483 Depth=2
	s_andn2_saveexec_b64 s[20:21], s[90:91]
; %bb.1959:                             ;   in Loop: Header=BB4_1483 Depth=2
	v_or_b32_e32 v1, 0x7e, v4
; %bb.1960:                             ;   in Loop: Header=BB4_1483 Depth=2
	s_or_b64 exec, exec, s[20:21]
                                        ; implicit-def: $vgpr5
.LBB4_1961:                             ;   in Loop: Header=BB4_1483 Depth=2
	s_andn2_saveexec_b64 s[20:21], s[88:89]
; %bb.1962:                             ;   in Loop: Header=BB4_1483 Depth=2
	v_or_b32_sdwa v1, v5, s53 dst_sel:DWORD dst_unused:UNUSED_PAD src0_sel:BYTE_3 src1_sel:DWORD
; %bb.1963:                             ;   in Loop: Header=BB4_1483 Depth=2
	s_or_b64 exec, exec, s[20:21]
	v_and_b32_e32 v16, 0xff, v24
	v_cmp_ne_u16_e32 vcc, 0, v16
	v_mov_b32_e32 v4, 0
	v_mov_b32_e32 v5, 0
	s_and_saveexec_b64 s[20:21], vcc
	s_cbranch_execz .LBB4_1969
; %bb.1964:                             ;   in Loop: Header=BB4_1483 Depth=2
	v_cmp_ne_u16_e32 vcc, s52, v16
	v_bfrev_b32_e32 v5, 1
	s_and_saveexec_b64 s[88:89], vcc
	s_cbranch_execz .LBB4_1968
; %bb.1965:                             ;   in Loop: Header=BB4_1483 Depth=2
	v_and_b32_e32 v17, 0x7f, v24
	v_cmp_ne_u32_e32 vcc, s53, v17
	v_mov_b32_e32 v5, 0x7f800001
	s_and_saveexec_b64 s[90:91], vcc
	s_cbranch_execz .LBB4_1967
; %bb.1966:                             ;   in Loop: Header=BB4_1483 Depth=2
	v_and_b32_e32 v5, 7, v16
	v_lshrrev_b32_e32 v18, 3, v17
	v_cmp_gt_u32_e32 vcc, 8, v17
	v_ffbh_u32_e32 v17, v5
	v_min_u32_e32 v19, 32, v17
	v_subrev_u32_e32 v17, 28, v19
	v_lshlrev_b64 v[16:17], v17, v[16:17]
	v_sub_u32_e32 v17, 29, v19
	v_and_b32_e32 v16, 7, v16
	v_cndmask_b32_e32 v17, v18, v17, vcc
	v_cndmask_b32_e32 v5, v5, v16, vcc
	v_lshlrev_b32_e32 v16, 24, v24
	v_lshlrev_b32_e32 v5, 20, v5
	v_and_b32_e32 v16, 0x80000000, v16
	v_lshl_add_u32 v17, v17, 23, v50
	v_or3_b32 v5, v16, v17, v5
.LBB4_1967:                             ;   in Loop: Header=BB4_1483 Depth=2
	s_or_b64 exec, exec, s[90:91]
.LBB4_1968:                             ;   in Loop: Header=BB4_1483 Depth=2
	s_or_b64 exec, exec, s[88:89]
.LBB4_1969:                             ;   in Loop: Header=BB4_1483 Depth=2
	s_or_b64 exec, exec, s[20:21]
	v_and_b32_e32 v16, 0xff, v22
	v_cmp_ne_u16_e32 vcc, 0, v16
	s_and_saveexec_b64 s[20:21], vcc
	s_cbranch_execz .LBB4_1975
; %bb.1970:                             ;   in Loop: Header=BB4_1483 Depth=2
	v_cmp_ne_u16_e32 vcc, s52, v16
	v_bfrev_b32_e32 v4, 1
	s_and_saveexec_b64 s[88:89], vcc
	s_cbranch_execz .LBB4_1974
; %bb.1971:                             ;   in Loop: Header=BB4_1483 Depth=2
	v_and_b32_e32 v17, 0x7f, v22
	v_cmp_ne_u32_e32 vcc, s53, v17
	v_mov_b32_e32 v4, 0x7f800001
	s_and_saveexec_b64 s[90:91], vcc
	s_cbranch_execz .LBB4_1973
; %bb.1972:                             ;   in Loop: Header=BB4_1483 Depth=2
	v_and_b32_e32 v4, 7, v16
	v_lshrrev_b32_e32 v18, 3, v17
	v_cmp_gt_u32_e32 vcc, 8, v17
	v_ffbh_u32_e32 v17, v4
	v_min_u32_e32 v19, 32, v17
	v_subrev_u32_e32 v17, 28, v19
	v_lshlrev_b64 v[16:17], v17, v[16:17]
	v_sub_u32_e32 v17, 29, v19
	v_and_b32_e32 v16, 7, v16
	v_cndmask_b32_e32 v17, v18, v17, vcc
	v_cndmask_b32_e32 v4, v4, v16, vcc
	v_lshlrev_b32_e32 v16, 24, v22
	v_lshlrev_b32_e32 v4, 20, v4
	v_and_b32_e32 v16, 0x80000000, v16
	v_lshl_add_u32 v17, v17, 23, v50
	v_or3_b32 v4, v16, v17, v4
.LBB4_1973:                             ;   in Loop: Header=BB4_1483 Depth=2
	s_or_b64 exec, exec, s[90:91]
.LBB4_1974:                             ;   in Loop: Header=BB4_1483 Depth=2
	s_or_b64 exec, exec, s[88:89]
.LBB4_1975:                             ;   in Loop: Header=BB4_1483 Depth=2
	s_or_b64 exec, exec, s[20:21]
	v_add_f32_e32 v16, v5, v4
	v_and_b32_e32 v52, 0x7f800000, v16
	v_cmp_ne_u64_e32 vcc, s[56:57], v[52:53]
                                        ; implicit-def: $vgpr4
	s_and_saveexec_b64 s[20:21], vcc
	s_xor_b64 s[88:89], exec, s[20:21]
	s_cbranch_execz .LBB4_1993
; %bb.1976:                             ;   in Loop: Header=BB4_1483 Depth=2
	v_and_b32_e32 v52, 0x7fffffff, v16
	v_cmp_gt_u64_e32 vcc, s[58:59], v[52:53]
	v_and_b32_sdwa v5, v16, s52 dst_sel:DWORD dst_unused:UNUSED_PAD src0_sel:BYTE_3 src1_sel:DWORD
                                        ; implicit-def: $vgpr4
	s_and_saveexec_b64 s[20:21], vcc
	s_xor_b64 s[90:91], exec, s[20:21]
	s_cbranch_execz .LBB4_1990
; %bb.1977:                             ;   in Loop: Header=BB4_1483 Depth=2
	v_cmp_ne_u32_e32 vcc, 0, v16
	v_mov_b32_e32 v4, 0
	s_and_saveexec_b64 s[92:93], vcc
	s_cbranch_execz .LBB4_1989
; %bb.1978:                             ;   in Loop: Header=BB4_1483 Depth=2
	v_bfe_u32 v4, v16, 23, 8
	v_and_b32_e32 v17, 0x7fffff, v16
	v_cmp_gt_u32_e64 s[20:21], s54, v4
	v_sub_u32_e32 v16, 0x79, v4
	v_cmp_eq_u32_e32 vcc, 0, v4
	v_cndmask_b32_e64 v16, 0, v16, s[20:21]
	v_mov_b32_e32 v19, 0x78
	v_cndmask_b32_e32 v22, v16, v19, vcc
	v_or_b32_e32 v18, 0x800000, v17
	v_add_u32_e32 v16, 20, v22
	v_cndmask_b32_e32 v52, v18, v17, vcc
	v_lshlrev_b64 v[16:17], v16, -1
	v_add_u32_e32 v18, 19, v22
	v_lshlrev_b64 v[18:19], v18, 1
	v_bfi_b32 v17, v17, 0, 0
	v_bfi_b32 v16, v16, 0, v52
	v_cmp_eq_u64_e64 s[20:21], v[16:17], v[18:19]
	v_lshrrev_b64 v[16:17], v22, v[52:53]
	v_mov_b32_e32 v18, v17
	v_mov_b32_e32 v17, v16
	s_and_saveexec_b64 s[94:95], s[20:21]
; %bb.1979:                             ;   in Loop: Header=BB4_1483 Depth=2
	v_bfe_u32 v17, v16, 20, 1
	v_add_co_u32_e64 v17, s[20:21], v16, v17
	v_add_co_u32_e64 v17, s[20:21], -1, v17
; %bb.1980:                             ;   in Loop: Header=BB4_1483 Depth=2
	s_or_b64 exec, exec, s[94:95]
	v_add_u32_e32 v4, 0xffffff81, v4
	v_mov_b32_e32 v18, 0xffffff82
	v_cndmask_b32_e32 v4, v4, v18, vcc
	v_lshrrev_b32_e32 v18, 23, v16
	v_add3_u32 v22, v22, v4, v18
	v_add_u32_e32 v4, 6, v22
	v_and_b32_e32 v17, 0xfffff, v17
	v_add_u32_e32 v52, v17, v16
	v_cmp_ne_u32_e32 vcc, 0, v4
                                        ; implicit-def: $vgpr16_vgpr17
                                        ; implicit-def: $vgpr18
	s_and_saveexec_b64 s[20:21], vcc
	s_xor_b64 s[20:21], exec, s[20:21]
; %bb.1981:                             ;   in Loop: Header=BB4_1483 Depth=2
	v_cmp_lt_u64_e32 vcc, s[60:61], v[52:53]
	v_add_u32_e32 v16, 7, v22
	v_cndmask_b32_e32 v18, v4, v16, vcc
	v_cndmask_b32_e64 v4, 0, 1, vcc
	v_lshrrev_b64 v[16:17], v4, v[52:53]
; %bb.1982:                             ;   in Loop: Header=BB4_1483 Depth=2
	s_andn2_saveexec_b64 s[20:21], s[20:21]
; %bb.1983:                             ;   in Loop: Header=BB4_1483 Depth=2
	v_mov_b32_e32 v16, v52
	v_bfe_u32 v18, v52, 23, 1
	v_mov_b32_e32 v17, v53
; %bb.1984:                             ;   in Loop: Header=BB4_1483 Depth=2
	s_or_b64 exec, exec, s[20:21]
	v_lshrrev_b64 v[16:17], 20, v[16:17]
	v_cmp_gt_i32_e32 vcc, 16, v18
	v_cndmask_b32_e32 v17, 0, v17, vcc
	v_cndmask_b32_e32 v16, 7, v16, vcc
	v_cmp_ne_u64_e32 vcc, 0, v[16:17]
	v_cmp_ne_u32_e64 s[20:21], 0, v18
	s_or_b64 s[20:21], s[20:21], vcc
                                        ; implicit-def: $vgpr4
	s_and_saveexec_b64 s[94:95], s[20:21]
	s_xor_b64 s[20:21], exec, s[94:95]
; %bb.1985:                             ;   in Loop: Header=BB4_1483 Depth=2
	v_min_i32_e32 v4, 15, v18
	v_lshl_or_b32 v4, v4, 3, v5
	v_and_or_b32 v4, v16, 7, v4
                                        ; implicit-def: $vgpr5
; %bb.1986:                             ;   in Loop: Header=BB4_1483 Depth=2
	s_andn2_saveexec_b64 s[20:21], s[20:21]
; %bb.1987:                             ;   in Loop: Header=BB4_1483 Depth=2
	v_mov_b32_e32 v4, v5
; %bb.1988:                             ;   in Loop: Header=BB4_1483 Depth=2
	s_or_b64 exec, exec, s[20:21]
.LBB4_1989:                             ;   in Loop: Header=BB4_1483 Depth=2
	s_or_b64 exec, exec, s[92:93]
                                        ; implicit-def: $vgpr5
.LBB4_1990:                             ;   in Loop: Header=BB4_1483 Depth=2
	s_andn2_saveexec_b64 s[20:21], s[90:91]
; %bb.1991:                             ;   in Loop: Header=BB4_1483 Depth=2
	v_or_b32_e32 v4, 0x7e, v5
; %bb.1992:                             ;   in Loop: Header=BB4_1483 Depth=2
	s_or_b64 exec, exec, s[20:21]
                                        ; implicit-def: $vgpr16
.LBB4_1993:                             ;   in Loop: Header=BB4_1483 Depth=2
	s_andn2_saveexec_b64 s[20:21], s[88:89]
	s_cbranch_execz .LBB4_1482
; %bb.1994:                             ;   in Loop: Header=BB4_1483 Depth=2
	v_or_b32_sdwa v4, v16, s53 dst_sel:DWORD dst_unused:UNUSED_PAD src0_sel:BYTE_3 src1_sel:DWORD
	s_branch .LBB4_1482
.LBB4_1995:                             ;   in Loop: Header=BB4_49 Depth=1
	s_or_b64 exec, exec, s[78:79]
	buffer_load_dword v21, off, s[0:3], s33 offset:180 ; 4-byte Folded Reload
	buffer_load_dword v22, off, s[0:3], s33 offset:184 ; 4-byte Folded Reload
	;; [unrolled: 1-line block ×6, first 2 shown]
	v_mov_b32_e32 v24, 1
	v_mov_b32_e32 v25, 0xc8
	;; [unrolled: 1-line block ×4, first 2 shown]
	v_bfrev_b32_e32 v56, 1
.LBB4_1996:                             ;   in Loop: Header=BB4_49 Depth=1
	s_or_b64 exec, exec, s[76:77]
	v_and_b32_e32 v1, 0xfffffc00, v2
	v_cmp_ne_u32_e32 vcc, v2, v1
	s_and_b64 exec, exec, vcc
	s_cbranch_execz .LBB4_2032
; %bb.1997:                             ;   in Loop: Header=BB4_49 Depth=1
	s_waitcnt vmcnt(0)
	v_add_u32_e32 v0, v40, v10
	v_and_b32_e32 v0, 0xffffffc0, v0
	v_sub_u32_e32 v0, v40, v0
	v_lshlrev_b32_e32 v4, 6, v20
	v_sub_u32_e32 v4, v0, v4
	v_and_b32_e32 v0, 0x3ff, v2
	v_sub_u32_e32 v0, v0, v4
	v_cmp_lt_i32_e32 vcc, 0, v0
	s_and_b64 exec, exec, vcc
	s_cbranch_execz .LBB4_2032
; %bb.1998:                             ;   in Loop: Header=BB4_49 Depth=1
	s_trap 2
	ds_read_b128 v[10:13], v0
	v_add3_u32 v4, v1, v14, v4
	ds_read_b64 v[1:2], v0
	v_ashrrev_i32_e32 v5, 31, v4
	s_mov_b64 s[76:77], 0
	s_waitcnt lgkmcnt(0)
	v_add_co_u32_e32 v10, vcc, v10, v4
	v_addc_co_u32_e32 v11, vcc, v11, v5, vcc
	v_add_co_u32_e32 v12, vcc, v12, v4
	v_addc_co_u32_e32 v13, vcc, v13, v5, vcc
	;; [unrolled: 2-line block ×3, first 2 shown]
	s_branch .LBB4_2000
.LBB4_1999:                             ;   in Loop: Header=BB4_2000 Depth=2
	s_or_b64 exec, exec, s[20:21]
	v_add_co_u32_e32 v10, vcc, v10, v23
	v_addc_co_u32_e32 v11, vcc, 0, v11, vcc
	v_add_co_u32_e32 v12, vcc, v12, v23
	v_addc_co_u32_e32 v13, vcc, 0, v13, vcc
	v_sub_u32_e32 v0, v0, v23
	v_cmp_gt_i32_e32 vcc, 1, v0
	flat_store_byte v[14:15], v2 glc slc
	s_or_b64 s[76:77], vcc, s[76:77]
	v_add_co_u32_e32 v14, vcc, v14, v23
	v_addc_co_u32_e32 v15, vcc, 0, v15, vcc
	s_andn2_b64 exec, exec, s[76:77]
	s_cbranch_execz .LBB4_2032
.LBB4_2000:                             ;   Parent Loop BB4_49 Depth=1
                                        ; =>  This Inner Loop Header: Depth=2
	flat_load_ubyte v5, v[10:11] glc slc
	flat_load_ubyte v2, v[12:13] glc slc
	v_mov_b32_e32 v1, 0
	v_mov_b32_e32 v4, 0
	s_waitcnt vmcnt(0) lgkmcnt(0)
	v_cmp_ne_u16_e32 vcc, 0, v5
	s_and_saveexec_b64 s[20:21], vcc
	s_cbranch_execz .LBB4_2006
; %bb.2001:                             ;   in Loop: Header=BB4_2000 Depth=2
	v_cmp_ne_u16_e32 vcc, s52, v5
	v_bfrev_b32_e32 v4, 1
	s_and_saveexec_b64 s[78:79], vcc
	s_cbranch_execz .LBB4_2005
; %bb.2002:                             ;   in Loop: Header=BB4_2000 Depth=2
	v_and_b32_e32 v16, 0xffff, v5
	v_and_b32_e32 v17, 0x7f, v16
	v_cmp_ne_u32_e32 vcc, s53, v17
	v_mov_b32_e32 v4, 0x7f800001
	s_and_saveexec_b64 s[88:89], vcc
	s_cbranch_execz .LBB4_2004
; %bb.2003:                             ;   in Loop: Header=BB4_2000 Depth=2
	v_and_b32_e32 v4, 7, v16
	v_lshrrev_b32_e32 v18, 3, v17
	v_cmp_gt_u32_e32 vcc, 8, v17
	v_ffbh_u32_e32 v17, v4
	v_min_u32_e32 v19, 32, v17
	v_subrev_u32_e32 v17, 28, v19
	v_lshlrev_b64 v[16:17], v17, v[16:17]
	v_sub_u32_e32 v17, 29, v19
	v_and_b32_e32 v16, 7, v16
	v_cndmask_b32_e32 v17, v18, v17, vcc
	v_cndmask_b32_e32 v4, v4, v16, vcc
	v_lshlrev_b32_e32 v5, 24, v5
	v_lshlrev_b32_e32 v4, 20, v4
	v_and_b32_e32 v5, 0x80000000, v5
	v_lshl_add_u32 v16, v17, 23, v50
	v_or3_b32 v4, v5, v16, v4
.LBB4_2004:                             ;   in Loop: Header=BB4_2000 Depth=2
	s_or_b64 exec, exec, s[88:89]
.LBB4_2005:                             ;   in Loop: Header=BB4_2000 Depth=2
	s_or_b64 exec, exec, s[78:79]
.LBB4_2006:                             ;   in Loop: Header=BB4_2000 Depth=2
	s_or_b64 exec, exec, s[20:21]
	v_and_b32_e32 v16, 0xff, v2
	v_cmp_ne_u16_e32 vcc, 0, v16
	s_and_saveexec_b64 s[20:21], vcc
	s_cbranch_execz .LBB4_2012
; %bb.2007:                             ;   in Loop: Header=BB4_2000 Depth=2
	v_cmp_ne_u16_e32 vcc, s52, v16
	v_bfrev_b32_e32 v1, 1
	s_and_saveexec_b64 s[78:79], vcc
	s_cbranch_execz .LBB4_2011
; %bb.2008:                             ;   in Loop: Header=BB4_2000 Depth=2
	v_and_b32_e32 v5, 0x7f, v2
	v_cmp_ne_u32_e32 vcc, s53, v5
	v_mov_b32_e32 v1, 0x7f800001
	s_and_saveexec_b64 s[88:89], vcc
	s_cbranch_execz .LBB4_2010
; %bb.2009:                             ;   in Loop: Header=BB4_2000 Depth=2
	v_and_b32_e32 v17, 7, v16
	v_lshlrev_b32_e32 v1, 24, v2
	v_and_b32_e32 v19, 0x80000000, v1
	v_ffbh_u32_e32 v1, v17
	v_lshrrev_b32_e32 v18, 3, v5
	v_cmp_gt_u32_e32 vcc, 8, v5
	v_min_u32_e32 v5, 32, v1
	v_subrev_u32_e32 v1, 28, v5
	v_lshlrev_b64 v[1:2], v1, v[16:17]
	v_sub_u32_e32 v2, 29, v5
	v_and_b32_e32 v1, 7, v1
	v_cndmask_b32_e32 v2, v18, v2, vcc
	v_cndmask_b32_e32 v1, v17, v1, vcc
	v_lshlrev_b32_e32 v1, 20, v1
	v_lshl_add_u32 v2, v2, 23, v50
	v_or3_b32 v1, v19, v2, v1
.LBB4_2010:                             ;   in Loop: Header=BB4_2000 Depth=2
	s_or_b64 exec, exec, s[88:89]
.LBB4_2011:                             ;   in Loop: Header=BB4_2000 Depth=2
	s_or_b64 exec, exec, s[78:79]
.LBB4_2012:                             ;   in Loop: Header=BB4_2000 Depth=2
	s_or_b64 exec, exec, s[20:21]
	v_add_f32_e32 v4, v4, v1
	v_and_b32_e32 v52, 0x7f800000, v4
	v_cmp_ne_u64_e32 vcc, s[56:57], v[52:53]
                                        ; implicit-def: $vgpr2
	s_and_saveexec_b64 s[20:21], vcc
	s_xor_b64 s[78:79], exec, s[20:21]
	s_cbranch_execz .LBB4_2030
; %bb.2013:                             ;   in Loop: Header=BB4_2000 Depth=2
	v_and_b32_e32 v52, 0x7fffffff, v4
	v_cmp_gt_u64_e32 vcc, s[58:59], v[52:53]
	v_and_b32_sdwa v1, v4, s52 dst_sel:DWORD dst_unused:UNUSED_PAD src0_sel:BYTE_3 src1_sel:DWORD
                                        ; implicit-def: $vgpr2
	s_and_saveexec_b64 s[20:21], vcc
	s_xor_b64 s[88:89], exec, s[20:21]
	s_cbranch_execz .LBB4_2027
; %bb.2014:                             ;   in Loop: Header=BB4_2000 Depth=2
	v_cmp_ne_u32_e32 vcc, 0, v4
	v_mov_b32_e32 v2, 0
	s_and_saveexec_b64 s[90:91], vcc
	s_cbranch_execz .LBB4_2026
; %bb.2015:                             ;   in Loop: Header=BB4_2000 Depth=2
	v_bfe_u32 v2, v4, 23, 8
	v_and_b32_e32 v5, 0x7fffff, v4
	v_cmp_gt_u32_e64 s[20:21], s54, v2
	v_sub_u32_e32 v4, 0x79, v2
	v_cmp_eq_u32_e32 vcc, 0, v2
	v_cndmask_b32_e64 v4, 0, v4, s[20:21]
	v_mov_b32_e32 v17, 0x78
	v_or_b32_e32 v16, 0x800000, v5
	v_cndmask_b32_e32 v4, v4, v17, vcc
	v_cndmask_b32_e32 v52, v16, v5, vcc
	v_add_u32_e32 v5, 20, v4
	v_lshlrev_b64 v[16:17], v5, -1
	v_add_u32_e32 v5, 19, v4
	v_lshlrev_b64 v[18:19], v5, 1
	v_bfi_b32 v17, v17, 0, 0
	v_bfi_b32 v16, v16, 0, v52
	v_cmp_eq_u64_e64 s[20:21], v[16:17], v[18:19]
	v_lshrrev_b64 v[16:17], v4, v[52:53]
	v_mov_b32_e32 v18, v17
	v_mov_b32_e32 v17, v16
	s_and_saveexec_b64 s[92:93], s[20:21]
; %bb.2016:                             ;   in Loop: Header=BB4_2000 Depth=2
	v_bfe_u32 v5, v16, 20, 1
	v_add_co_u32_e64 v5, s[20:21], v16, v5
	v_add_co_u32_e64 v17, s[20:21], -1, v5
; %bb.2017:                             ;   in Loop: Header=BB4_2000 Depth=2
	s_or_b64 exec, exec, s[92:93]
	v_add_u32_e32 v2, 0xffffff81, v2
	v_mov_b32_e32 v5, 0xffffff82
	v_cndmask_b32_e32 v2, v2, v5, vcc
	v_lshrrev_b32_e32 v5, 23, v16
	v_add3_u32 v5, v4, v2, v5
	v_add_u32_e32 v2, 6, v5
	v_and_b32_e32 v4, 0xfffff, v17
	v_add_u32_e32 v52, v4, v16
	v_cmp_ne_u32_e32 vcc, 0, v2
                                        ; implicit-def: $vgpr16_vgpr17
                                        ; implicit-def: $vgpr4
	s_and_saveexec_b64 s[20:21], vcc
	s_xor_b64 s[20:21], exec, s[20:21]
; %bb.2018:                             ;   in Loop: Header=BB4_2000 Depth=2
	v_cmp_lt_u64_e32 vcc, s[60:61], v[52:53]
	v_add_u32_e32 v4, 7, v5
	v_cndmask_b32_e32 v4, v2, v4, vcc
	v_cndmask_b32_e64 v2, 0, 1, vcc
	v_lshrrev_b64 v[16:17], v2, v[52:53]
; %bb.2019:                             ;   in Loop: Header=BB4_2000 Depth=2
	s_andn2_saveexec_b64 s[20:21], s[20:21]
; %bb.2020:                             ;   in Loop: Header=BB4_2000 Depth=2
	v_mov_b32_e32 v16, v52
	v_bfe_u32 v4, v52, 23, 1
	v_mov_b32_e32 v17, v53
; %bb.2021:                             ;   in Loop: Header=BB4_2000 Depth=2
	s_or_b64 exec, exec, s[20:21]
	v_lshrrev_b64 v[16:17], 20, v[16:17]
	v_cmp_gt_i32_e32 vcc, 16, v4
	v_cndmask_b32_e32 v17, 0, v17, vcc
	v_cndmask_b32_e32 v16, 7, v16, vcc
	v_cmp_ne_u64_e32 vcc, 0, v[16:17]
	v_cmp_ne_u32_e64 s[20:21], 0, v4
	s_or_b64 s[20:21], s[20:21], vcc
                                        ; implicit-def: $vgpr2
	s_and_saveexec_b64 s[92:93], s[20:21]
	s_xor_b64 s[20:21], exec, s[92:93]
; %bb.2022:                             ;   in Loop: Header=BB4_2000 Depth=2
	v_min_i32_e32 v2, 15, v4
	v_lshl_or_b32 v1, v2, 3, v1
	v_and_or_b32 v2, v16, 7, v1
                                        ; implicit-def: $vgpr1
; %bb.2023:                             ;   in Loop: Header=BB4_2000 Depth=2
	s_andn2_saveexec_b64 s[20:21], s[20:21]
; %bb.2024:                             ;   in Loop: Header=BB4_2000 Depth=2
	v_mov_b32_e32 v2, v1
; %bb.2025:                             ;   in Loop: Header=BB4_2000 Depth=2
	s_or_b64 exec, exec, s[20:21]
.LBB4_2026:                             ;   in Loop: Header=BB4_2000 Depth=2
	s_or_b64 exec, exec, s[90:91]
                                        ; implicit-def: $vgpr1
.LBB4_2027:                             ;   in Loop: Header=BB4_2000 Depth=2
	s_andn2_saveexec_b64 s[20:21], s[88:89]
; %bb.2028:                             ;   in Loop: Header=BB4_2000 Depth=2
	v_or_b32_e32 v2, 0x7e, v1
; %bb.2029:                             ;   in Loop: Header=BB4_2000 Depth=2
	s_or_b64 exec, exec, s[20:21]
                                        ; implicit-def: $vgpr4
.LBB4_2030:                             ;   in Loop: Header=BB4_2000 Depth=2
	s_andn2_saveexec_b64 s[20:21], s[78:79]
	s_cbranch_execz .LBB4_1999
; %bb.2031:                             ;   in Loop: Header=BB4_2000 Depth=2
	v_or_b32_sdwa v2, v4, s53 dst_sel:DWORD dst_unused:UNUSED_PAD src0_sel:BYTE_3 src1_sel:DWORD
	s_branch .LBB4_1999
.LBB4_2032:                             ;   in Loop: Header=BB4_49 Depth=1
	s_or_b64 exec, exec, s[22:23]
	buffer_load_dword v14, off, s[0:3], s33 offset:140 ; 4-byte Folded Reload
	buffer_load_dword v15, off, s[0:3], s33 offset:144 ; 4-byte Folded Reload
	s_waitcnt vmcnt(0)
	v_cmp_ne_u32_e64 s[20:21], 0, v57
	s_and_saveexec_b64 s[22:23], s[10:11]
	s_cbranch_execz .LBB4_2051
.LBB4_2033:                             ;   in Loop: Header=BB4_49 Depth=1
	s_and_saveexec_b64 s[76:77], s[42:43]
	s_xor_b64 s[76:77], exec, s[76:77]
	s_cbranch_execz .LBB4_2048
; %bb.2034:                             ;   in Loop: Header=BB4_49 Depth=1
	s_and_saveexec_b64 s[78:79], s[12:13]
	s_cbranch_execz .LBB4_2047
; %bb.2035:                             ;   in Loop: Header=BB4_49 Depth=1
	s_mov_b64 s[90:91], exec
	v_mbcnt_lo_u32_b32 v0, s90, 0
	v_mbcnt_hi_u32_b32 v0, s91, v0
	v_cmp_eq_u32_e32 vcc, 0, v0
	s_waitcnt lgkmcnt(0)
	buffer_wbinvl1_vol
	s_and_saveexec_b64 s[88:89], vcc
	s_cbranch_execz .LBB4_2037
; %bb.2036:                             ;   in Loop: Header=BB4_49 Depth=1
	s_bcnt1_i32_b64 s90, s[90:91]
	v_mov_b32_e32 v52, s90
	ds_add_u64 v0, v[52:53]
	s_trap 2
.LBB4_2037:                             ;   in Loop: Header=BB4_49 Depth=1
	s_or_b64 exec, exec, s[88:89]
	s_trap 2
	ds_read_b64 v[0:1], v0
	s_waitcnt lgkmcnt(0)
	buffer_load_dword v2, off, s[0:3], s33 offset:68 ; 4-byte Folded Reload
	s_waitcnt vmcnt(0)
	v_add_co_u32_e32 v36, vcc, v36, v2
	v_addc_co_u32_e32 v37, vcc, 0, v37, vcc
	v_cmp_lt_u64_e32 vcc, v[0:1], v[36:37]
	s_and_saveexec_b64 s[88:89], vcc
	s_cbranch_execz .LBB4_2046
; %bb.2038:                             ;   in Loop: Header=BB4_49 Depth=1
	s_mov_b32 s36, 0
	s_mov_b64 s[90:91], 0
                                        ; implicit-def: $sgpr92_sgpr93
                                        ; implicit-def: $sgpr94_sgpr95
	s_branch .LBB4_2040
.LBB4_2039:                             ;   in Loop: Header=BB4_2040 Depth=2
	s_or_b64 exec, exec, s[34:35]
	s_and_b64 vcc, exec, vcc
	s_or_b64 s[90:91], vcc, s[90:91]
	s_andn2_b64 s[92:93], s[92:93], exec
	s_and_b64 vcc, s[94:95], exec
	s_or_b64 s[92:93], s[92:93], vcc
	s_andn2_b64 exec, exec, s[90:91]
	s_cbranch_execz .LBB4_2044
.LBB4_2040:                             ;   Parent Loop BB4_49 Depth=1
                                        ; =>  This Inner Loop Header: Depth=2
	s_add_i32 s36, s36, 1
	s_cmpk_lg_i32 s36, 0x2710
	s_cselect_b64 s[30:31], -1, 0
	s_and_b64 vcc, exec, s[30:31]
	s_cbranch_vccz .LBB4_2042
; %bb.2041:                             ;   in Loop: Header=BB4_2040 Depth=2
	s_mov_b64 vcc, -1
	s_or_b64 s[94:95], s[94:95], exec
	s_and_saveexec_b64 s[34:35], s[30:31]
	s_cbranch_execz .LBB4_2039
	s_branch .LBB4_2043
.LBB4_2042:                             ;   in Loop: Header=BB4_2040 Depth=2
	s_trap 2
	ds_read_b64 v[0:1], v0
	s_andn2_b64 s[30:31], s[30:31], exec
	s_mov_b32 s36, 0
	s_waitcnt lgkmcnt(0)
	flat_load_dword v0, v[0:1] glc
	s_waitcnt vmcnt(0) lgkmcnt(0)
	buffer_wbinvl1_vol
	v_cmp_eq_u32_e32 vcc, 0, v0
	s_and_b64 vcc, vcc, exec
	s_or_b64 s[30:31], s[30:31], vcc
	s_mov_b64 vcc, -1
	s_or_b64 s[94:95], s[94:95], exec
	s_and_saveexec_b64 s[34:35], s[30:31]
	s_cbranch_execz .LBB4_2039
.LBB4_2043:                             ;   in Loop: Header=BB4_2040 Depth=2
	s_sleep 1
	s_trap 2
	ds_read_b64 v[0:1], v0
	s_waitcnt lgkmcnt(0)
	s_andn2_b64 s[94:95], s[94:95], exec
	v_cmp_ge_u64_e32 vcc, v[0:1], v[36:37]
	s_orn2_b64 vcc, vcc, exec
	s_branch .LBB4_2039
.LBB4_2044:                             ;   in Loop: Header=BB4_49 Depth=1
	s_or_b64 exec, exec, s[90:91]
	s_and_saveexec_b64 s[90:91], s[92:93]
	s_xor_b64 s[90:91], exec, s[90:91]
	s_cbranch_execz .LBB4_2046
; %bb.2045:                             ;   in Loop: Header=BB4_49 Depth=1
	ds_write_b32 v0, v24
	s_trap 2
.LBB4_2046:                             ;   in Loop: Header=BB4_49 Depth=1
	s_or_b64 exec, exec, s[88:89]
	;;#ASMSTART
	s_wakeup
	;;#ASMEND
.LBB4_2047:                             ;   in Loop: Header=BB4_49 Depth=1
	s_or_b64 exec, exec, s[78:79]
.LBB4_2048:                             ;   in Loop: Header=BB4_49 Depth=1
	s_andn2_saveexec_b64 s[76:77], s[76:77]
	s_cbranch_execz .LBB4_2050
; %bb.2049:                             ;   in Loop: Header=BB4_49 Depth=1
	s_waitcnt lgkmcnt(0)
	buffer_wbinvl1_vol
	s_barrier
.LBB4_2050:                             ;   in Loop: Header=BB4_49 Depth=1
	s_or_b64 exec, exec, s[76:77]
.LBB4_2051:                             ;   in Loop: Header=BB4_49 Depth=1
	s_or_b64 exec, exec, s[22:23]
	v_and_b32_e32 v0, 16, v3
	v_cmp_ne_u32_e32 vcc, 0, v0
	s_and_b64 s[22:23], vcc, s[20:21]
	s_and_saveexec_b64 s[20:21], s[22:23]
	s_cbranch_execz .LBB4_2053
; %bb.2052:                             ;   in Loop: Header=BB4_49 Depth=1
	s_waitcnt lgkmcnt(0)
	buffer_wbinvl1_vol
.LBB4_2053:                             ;   in Loop: Header=BB4_49 Depth=1
	s_or_b64 exec, exec, s[20:21]
	v_cmp_ne_u32_e32 vcc, 0, v0
	s_xor_b64 s[20:21], s[18:19], -1
	s_and_b64 s[22:23], vcc, s[20:21]
	s_and_saveexec_b64 s[20:21], s[22:23]
	s_cbranch_execz .LBB4_2055
; %bb.2054:                             ;   in Loop: Header=BB4_49 Depth=1
	buffer_load_dword v0, off, s[0:3], s33 offset:120 ; 4-byte Folded Reload
	buffer_load_dword v1, off, s[0:3], s33 offset:124 ; 4-byte Folded Reload
	s_waitcnt vmcnt(0)
	flat_store_dword v[0:1], v24
.LBB4_2055:                             ;   in Loop: Header=BB4_49 Depth=1
	s_or_b64 exec, exec, s[20:21]
	v_and_b32_e32 v0, 48, v3
	v_cmp_ne_u32_e32 vcc, 0, v0
	s_and_saveexec_b64 s[20:21], vcc
	s_cbranch_execz .LBB4_2057
; %bb.2056:                             ;   in Loop: Header=BB4_49 Depth=1
	v_add_co_u32_e32 v8, vcc, 1, v8
	v_addc_co_u32_e32 v9, vcc, 0, v9, vcc
	flat_store_dwordx2 v[32:33], v[8:9]
.LBB4_2057:                             ;   in Loop: Header=BB4_49 Depth=1
	s_or_b64 exec, exec, s[20:21]
	v_mov_b32_e32 v0, v14
.LBB4_2058:                             ;   in Loop: Header=BB4_49 Depth=1
	s_or_b64 exec, exec, s[74:75]
	s_and_saveexec_b64 s[22:23], s[72:73]
	s_cbranch_execz .LBB4_48
; %bb.2059:                             ;   in Loop: Header=BB4_49 Depth=1
	buffer_load_dword v1, off, s[0:3], s33 offset:88 ; 4-byte Folded Reload
	buffer_load_dword v2, off, s[0:3], s33 offset:92 ; 4-byte Folded Reload
	s_waitcnt vmcnt(0)
	v_sub_u32_e32 v0, v1, v0
	v_min_i32_e32 v10, v14, v0
	v_and_b32_e32 v0, 12, v3
	v_cmp_ne_u32_e32 vcc, 0, v0
	s_and_saveexec_b64 s[72:73], vcc
	s_cbranch_execz .LBB4_2083
; %bb.2060:                             ;   in Loop: Header=BB4_49 Depth=1
	v_and_b32_e32 v0, 8, v3
	v_add_co_u32_e32 v1, vcc, v38, v0
	v_addc_co_u32_e32 v2, vcc, 0, v39, vcc
	s_waitcnt lgkmcnt(0)
	v_add_co_u32_e32 v12, vcc, 1, v8
	v_addc_co_u32_e32 v13, vcc, 0, v9, vcc
	v_cmp_lt_u64_e32 vcc, v[1:2], v[12:13]
	s_and_saveexec_b64 s[74:75], vcc
	s_cbranch_execz .LBB4_2072
; %bb.2061:                             ;   in Loop: Header=BB4_49 Depth=1
	v_and_b32_e32 v1, 64, v3
	s_mov_b32 s38, 0
	v_cmp_eq_u32_e32 vcc, 0, v1
	s_mov_b64 s[76:77], 0
                                        ; implicit-def: $sgpr78_sgpr79
                                        ; implicit-def: $sgpr88_sgpr89
                                        ; implicit-def: $sgpr90_sgpr91
	s_branch .LBB4_2065
.LBB4_2062:                             ;   in Loop: Header=BB4_2065 Depth=2
	s_waitcnt vmcnt(0) lgkmcnt(0)
	v_add_co_u32_e64 v4, s[20:21], v38, v0
	v_addc_co_u32_e64 v5, s[20:21], 0, v39, s[20:21]
	v_cmp_ge_u64_e64 s[20:21], v[4:5], v[12:13]
	s_or_b64 s[30:31], s[30:31], exec
	s_orn2_b64 s[94:95], s[20:21], exec
.LBB4_2063:                             ;   in Loop: Header=BB4_2065 Depth=2
	s_or_b64 exec, exec, s[36:37]
	s_andn2_b64 s[20:21], s[90:91], exec
	s_and_b64 s[90:91], s[30:31], exec
	s_or_b64 s[90:91], s[20:21], s[90:91]
	s_andn2_b64 s[20:21], s[88:89], exec
	s_and_b64 s[88:89], s[94:95], exec
	s_or_b64 s[88:89], s[20:21], s[88:89]
.LBB4_2064:                             ;   in Loop: Header=BB4_2065 Depth=2
	s_or_b64 exec, exec, s[92:93]
	s_and_b64 s[20:21], exec, s[88:89]
	s_or_b64 s[76:77], s[20:21], s[76:77]
	s_andn2_b64 s[20:21], s[78:79], exec
	s_and_b64 s[78:79], s[90:91], exec
	s_or_b64 s[78:79], s[20:21], s[78:79]
	s_andn2_b64 exec, exec, s[76:77]
	s_cbranch_execz .LBB4_2069
.LBB4_2065:                             ;   Parent Loop BB4_49 Depth=1
                                        ; =>  This Inner Loop Header: Depth=2
	s_sleep 1
	s_waitcnt vmcnt(0) lgkmcnt(0)
	flat_load_dwordx2 v[38:39], v[32:33] glc
	s_or_b64 s[90:91], s[90:91], exec
	s_or_b64 s[88:89], s[88:89], exec
                                        ; implicit-def: $vgpr1
	s_and_saveexec_b64 s[92:93], vcc
	s_cbranch_execz .LBB4_2064
; %bb.2066:                             ;   in Loop: Header=BB4_2065 Depth=2
	s_cmpk_lt_i32 s38, 0x270f
	s_cselect_b64 s[34:35], -1, 0
	s_cmpk_gt_i32 s38, 0x270e
	s_mov_b64 s[94:95], -1
	s_cbranch_scc0 .LBB4_2068
; %bb.2067:                             ;   in Loop: Header=BB4_2065 Depth=2
	s_trap 2
	ds_read_b64 v[1:2], v0
	s_andn2_b64 s[34:35], s[34:35], exec
	s_mov_b32 s38, 0
	s_mov_b64 s[30:31], 0
	s_waitcnt vmcnt(0) lgkmcnt(0)
	flat_load_dword v1, v[1:2] glc
	s_waitcnt vmcnt(0) lgkmcnt(0)
	buffer_wbinvl1_vol
	v_cmp_eq_u32_e64 s[20:21], 0, v1
	s_and_b64 s[20:21], s[20:21], exec
	s_or_b64 s[34:35], s[34:35], s[20:21]
	s_and_saveexec_b64 s[36:37], s[34:35]
	s_cbranch_execz .LBB4_2063
	s_branch .LBB4_2062
.LBB4_2068:                             ;   in Loop: Header=BB4_2065 Depth=2
	s_add_i32 s38, s38, 1
	s_mov_b64 s[30:31], -1
                                        ; implicit-def: $vgpr1
	s_and_saveexec_b64 s[36:37], s[34:35]
	s_cbranch_execz .LBB4_2063
	s_branch .LBB4_2062
.LBB4_2069:                             ;   in Loop: Header=BB4_49 Depth=1
	s_or_b64 exec, exec, s[76:77]
	s_xor_b64 s[20:21], s[78:79], -1
	s_and_saveexec_b64 s[76:77], s[20:21]
	s_xor_b64 s[20:21], exec, s[76:77]
	s_cbranch_execz .LBB4_2071
; %bb.2070:                             ;   in Loop: Header=BB4_49 Depth=1
	v_or_b32_e32 v3, 64, v3
	s_waitcnt lgkmcnt(0)
	ds_write_b32 v0, v1
	s_trap 2
.LBB4_2071:                             ;   in Loop: Header=BB4_49 Depth=1
	s_or_b64 exec, exec, s[20:21]
.LBB4_2072:                             ;   in Loop: Header=BB4_49 Depth=1
	s_or_b64 exec, exec, s[74:75]
	v_and_b32_e32 v1, 0x108, v3
	v_cmp_ne_u32_e32 vcc, s51, v1
	v_and_b32_e32 v1, 7, v8
	;;#ASMSTART
	s_wakeup
	;;#ASMEND
	s_and_saveexec_b64 s[20:21], vcc
	s_xor_b64 s[20:21], exec, s[20:21]
	s_andn2_saveexec_b64 s[20:21], s[20:21]
	s_cbranch_execz .LBB4_2074
; %bb.2073:                             ;   in Loop: Header=BB4_49 Depth=1
	v_mad_u64_u32 v[4:5], s[74:75], v1, 24, v[6:7]
	v_ashrrev_i32_e32 v11, 31, v10
	flat_store_dwordx2 v[4:5], v[10:11] offset:8
.LBB4_2074:                             ;   in Loop: Header=BB4_49 Depth=1
	s_or_b64 exec, exec, s[20:21]
	v_and_b32_e32 v2, 0x100, v3
	v_cmp_ne_u32_e32 vcc, 0, v2
	s_mov_b64 s[20:21], -1
                                        ; implicit-def: $vgpr8_vgpr9
	s_and_saveexec_b64 s[74:75], vcc
	s_cbranch_execz .LBB4_2078
; %bb.2075:                             ;   in Loop: Header=BB4_49 Depth=1
	v_mad_u64_u32 v[14:15], s[20:21], v1, 24, v[6:7]
                                        ; implicit-def: $vgpr8_vgpr9
	v_mov_b32_e32 v2, v15
	v_mad_u64_u32 v[4:5], s[20:21], v53, 24, v[2:3]
	v_mov_b32_e32 v15, v4
	flat_load_dword v2, v[14:15]
	s_waitcnt vmcnt(0) lgkmcnt(0)
	v_cmp_ne_u32_e32 vcc, 1, v2
	v_cmp_eq_u32_e64 s[20:21], 1, v2
	s_and_saveexec_b64 s[76:77], s[20:21]
	s_cbranch_execz .LBB4_2077
; %bb.2076:                             ;   in Loop: Header=BB4_49 Depth=1
	flat_load_dword v8, v[14:15] offset:4 glc
	s_waitcnt vmcnt(0) lgkmcnt(0)
	v_ashrrev_i32_e32 v9, 31, v8
.LBB4_2077:                             ;   in Loop: Header=BB4_49 Depth=1
	s_or_b64 exec, exec, s[76:77]
	s_orn2_b64 s[20:21], vcc, exec
.LBB4_2078:                             ;   in Loop: Header=BB4_49 Depth=1
	s_or_b64 exec, exec, s[74:75]
	s_and_saveexec_b64 s[74:75], s[20:21]
	s_cbranch_execz .LBB4_2080
; %bb.2079:                             ;   in Loop: Header=BB4_49 Depth=1
	buffer_load_dword v5, off, s[0:3], s33 offset:128 ; 4-byte Folded Reload
	v_mul_lo_u32 v4, v1, v21
	s_waitcnt vmcnt(0)
	v_mul_lo_u32 v2, v53, v5
	v_mad_u64_u32 v[8:9], s[20:21], v1, v5, 0
	v_add3_u32 v9, v9, v4, v2
.LBB4_2080:                             ;   in Loop: Header=BB4_49 Depth=1
	s_or_b64 exec, exec, s[74:75]
	v_cmp_eq_u32_e32 vcc, 0, v0
	buffer_load_dword v0, off, s[0:3], s33 offset:80 ; 4-byte Folded Reload
	buffer_load_dword v1, off, s[0:3], s33 offset:84 ; 4-byte Folded Reload
	v_cndmask_b32_e32 v2, v25, v26, vcc
	s_waitcnt vmcnt(0)
	v_add_co_u32_e32 v0, vcc, v0, v8
	v_addc_co_u32_e32 v1, vcc, v1, v9, vcc
	v_add_u32_e32 v2, v0, v2
	ds_write_b64 v2, v[0:1] offset:584
	v_and_b32_e32 v0, 0x2000, v3
	v_cmp_ne_u32_e32 vcc, 0, v0
	s_and_saveexec_b64 s[20:21], vcc
	s_cbranch_execz .LBB4_2082
; %bb.2081:                             ;   in Loop: Header=BB4_49 Depth=1
	ds_read_b64 v[0:1], v0 offset:872
	s_waitcnt lgkmcnt(0)
	v_add_co_u32_e32 v0, vcc, 1, v0
	v_addc_co_u32_e32 v1, vcc, 0, v1, vcc
	ds_write_b64 v0, v[0:1] offset:872
.LBB4_2082:                             ;   in Loop: Header=BB4_49 Depth=1
	s_or_b64 exec, exec, s[20:21]
	v_mov_b32_e32 v8, v12
	v_mov_b32_e32 v9, v13
.LBB4_2083:                             ;   in Loop: Header=BB4_49 Depth=1
	s_or_b64 exec, exec, s[72:73]
	s_and_saveexec_b64 s[20:21], s[10:11]
	s_cbranch_execz .LBB4_2102
; %bb.2084:                             ;   in Loop: Header=BB4_49 Depth=1
	s_and_saveexec_b64 s[72:73], s[42:43]
	s_xor_b64 s[72:73], exec, s[72:73]
	s_cbranch_execz .LBB4_2099
; %bb.2085:                             ;   in Loop: Header=BB4_49 Depth=1
	s_and_saveexec_b64 s[74:75], s[12:13]
	s_cbranch_execz .LBB4_2098
; %bb.2086:                             ;   in Loop: Header=BB4_49 Depth=1
	s_mov_b64 s[78:79], exec
	v_mbcnt_lo_u32_b32 v0, s78, 0
	v_mbcnt_hi_u32_b32 v0, s79, v0
	v_cmp_eq_u32_e32 vcc, 0, v0
	s_waitcnt lgkmcnt(0)
	buffer_wbinvl1_vol
	s_and_saveexec_b64 s[76:77], vcc
	s_cbranch_execz .LBB4_2088
; %bb.2087:                             ;   in Loop: Header=BB4_49 Depth=1
	s_bcnt1_i32_b64 s78, s[78:79]
	v_mov_b32_e32 v52, s78
	ds_add_u64 v0, v[52:53]
	s_trap 2
.LBB4_2088:                             ;   in Loop: Header=BB4_49 Depth=1
	s_or_b64 exec, exec, s[76:77]
	s_trap 2
	ds_read_b64 v[0:1], v0
	s_waitcnt lgkmcnt(0)
	buffer_load_dword v2, off, s[0:3], s33 offset:68 ; 4-byte Folded Reload
	s_waitcnt vmcnt(0)
	v_add_co_u32_e32 v36, vcc, v36, v2
	v_addc_co_u32_e32 v37, vcc, 0, v37, vcc
	v_cmp_lt_u64_e32 vcc, v[0:1], v[36:37]
	s_and_saveexec_b64 s[76:77], vcc
	s_cbranch_execz .LBB4_2097
; %bb.2089:                             ;   in Loop: Header=BB4_49 Depth=1
	s_mov_b32 s30, 0
	s_mov_b64 s[78:79], 0
                                        ; implicit-def: $sgpr88_sgpr89
                                        ; implicit-def: $sgpr90_sgpr91
	s_branch .LBB4_2091
.LBB4_2090:                             ;   in Loop: Header=BB4_2091 Depth=2
	s_or_b64 exec, exec, s[94:95]
	s_and_b64 s[92:93], exec, vcc
	s_or_b64 s[78:79], s[92:93], s[78:79]
	s_andn2_b64 s[88:89], s[88:89], exec
	s_and_b64 s[92:93], s[90:91], exec
	s_or_b64 s[88:89], s[88:89], s[92:93]
	s_andn2_b64 exec, exec, s[78:79]
	s_cbranch_execz .LBB4_2095
.LBB4_2091:                             ;   Parent Loop BB4_49 Depth=1
                                        ; =>  This Inner Loop Header: Depth=2
	s_add_i32 s30, s30, 1
	s_cmpk_lg_i32 s30, 0x2710
	s_cselect_b64 s[92:93], -1, 0
	s_and_b64 vcc, exec, s[92:93]
	s_cbranch_vccz .LBB4_2093
; %bb.2092:                             ;   in Loop: Header=BB4_2091 Depth=2
	s_mov_b64 vcc, -1
	s_or_b64 s[90:91], s[90:91], exec
	s_and_saveexec_b64 s[94:95], s[92:93]
	s_cbranch_execz .LBB4_2090
	s_branch .LBB4_2094
.LBB4_2093:                             ;   in Loop: Header=BB4_2091 Depth=2
	s_trap 2
	ds_read_b64 v[0:1], v0
	s_andn2_b64 s[92:93], s[92:93], exec
	s_mov_b32 s30, 0
	s_waitcnt lgkmcnt(0)
	flat_load_dword v0, v[0:1] glc
	s_waitcnt vmcnt(0) lgkmcnt(0)
	buffer_wbinvl1_vol
	v_cmp_eq_u32_e32 vcc, 0, v0
	s_and_b64 s[94:95], vcc, exec
	s_or_b64 s[92:93], s[92:93], s[94:95]
	s_mov_b64 vcc, -1
	s_or_b64 s[90:91], s[90:91], exec
	s_and_saveexec_b64 s[94:95], s[92:93]
	s_cbranch_execz .LBB4_2090
.LBB4_2094:                             ;   in Loop: Header=BB4_2091 Depth=2
	s_sleep 1
	s_trap 2
	ds_read_b64 v[0:1], v0
	s_waitcnt lgkmcnt(0)
	s_andn2_b64 s[90:91], s[90:91], exec
	v_cmp_ge_u64_e32 vcc, v[0:1], v[36:37]
	s_orn2_b64 vcc, vcc, exec
	s_branch .LBB4_2090
.LBB4_2095:                             ;   in Loop: Header=BB4_49 Depth=1
	s_or_b64 exec, exec, s[78:79]
	s_and_saveexec_b64 s[78:79], s[88:89]
	s_xor_b64 s[78:79], exec, s[78:79]
	s_cbranch_execz .LBB4_2097
; %bb.2096:                             ;   in Loop: Header=BB4_49 Depth=1
	ds_write_b32 v0, v24
	s_trap 2
.LBB4_2097:                             ;   in Loop: Header=BB4_49 Depth=1
	s_or_b64 exec, exec, s[76:77]
	;;#ASMSTART
	s_wakeup
	;;#ASMEND
.LBB4_2098:                             ;   in Loop: Header=BB4_49 Depth=1
	s_or_b64 exec, exec, s[74:75]
.LBB4_2099:                             ;   in Loop: Header=BB4_49 Depth=1
	s_andn2_saveexec_b64 s[72:73], s[72:73]
	s_cbranch_execz .LBB4_2101
; %bb.2100:                             ;   in Loop: Header=BB4_49 Depth=1
	s_waitcnt lgkmcnt(0)
	buffer_wbinvl1_vol
	s_barrier
.LBB4_2101:                             ;   in Loop: Header=BB4_49 Depth=1
	s_or_b64 exec, exec, s[72:73]
.LBB4_2102:                             ;   in Loop: Header=BB4_49 Depth=1
	s_or_b64 exec, exec, s[20:21]
	s_trap 2
	ds_read_b32 v1, v0
	v_cmp_lt_i32_e32 vcc, 0, v10
	v_and_b32_e32 v0, 16, v3
	s_waitcnt lgkmcnt(0)
	v_readfirstlane_b32 s20, v1
	s_cmp_eq_u32 s20, 0
	s_cselect_b64 s[20:21], -1, 0
	s_and_b64 s[20:21], vcc, s[20:21]
	v_cmp_ne_u32_e32 vcc, 0, v0
	s_and_b64 s[72:73], vcc, s[20:21]
	s_and_saveexec_b64 s[20:21], s[72:73]
	s_cbranch_execz .LBB4_2104
; %bb.2103:                             ;   in Loop: Header=BB4_49 Depth=1
	buffer_wbinvl1_vol
.LBB4_2104:                             ;   in Loop: Header=BB4_49 Depth=1
	s_or_b64 exec, exec, s[20:21]
	v_cmp_ne_u32_e32 vcc, 0, v0
	s_xor_b64 s[20:21], s[18:19], -1
	s_and_b64 s[72:73], vcc, s[20:21]
	s_and_saveexec_b64 s[20:21], s[72:73]
	s_cbranch_execz .LBB4_2106
; %bb.2105:                             ;   in Loop: Header=BB4_49 Depth=1
	buffer_load_dword v0, off, s[0:3], s33 offset:120 ; 4-byte Folded Reload
	buffer_load_dword v1, off, s[0:3], s33 offset:124 ; 4-byte Folded Reload
	s_waitcnt vmcnt(0)
	flat_store_dword v[0:1], v24
.LBB4_2106:                             ;   in Loop: Header=BB4_49 Depth=1
	s_or_b64 exec, exec, s[20:21]
	v_and_b32_e32 v0, 48, v3
	v_cmp_ne_u32_e32 vcc, 0, v0
	s_and_saveexec_b64 s[20:21], vcc
	s_cbranch_execz .LBB4_47
; %bb.2107:                             ;   in Loop: Header=BB4_49 Depth=1
	v_add_co_u32_e32 v8, vcc, 1, v8
	v_addc_co_u32_e32 v9, vcc, 0, v9, vcc
	flat_store_dwordx2 v[32:33], v[8:9]
	s_branch .LBB4_47
.LBB4_2108:
	s_or_b64 exec, exec, s[44:45]
	buffer_load_dword v34, off, s[0:3], s33 offset:196 ; 4-byte Folded Reload
	buffer_load_dword v31, off, s[0:3], s33 offset:200 ; 4-byte Folded Reload
.LBB4_2109:
	s_or_b64 exec, exec, s[40:41]
                                        ; implicit-def: $vgpr0
                                        ; kill: killed $vgpr0
                                        ; implicit-def: $vgpr53_vgpr54
                                        ; implicit-def: $vgpr49_vgpr50
                                        ; implicit-def: $vgpr38_vgpr39
                                        ; implicit-def: $vgpr32_vgpr33
                                        ; implicit-def: $vgpr48
                                        ; implicit-def: $vgpr4
                                        ; implicit-def: $vgpr0_vgpr1
                                        ; kill: killed $vgpr0_vgpr1
                                        ; implicit-def: $vgpr0
	buffer_store_dword v0, off, s[0:3], s33 offset:60 ; 4-byte Folded Spill
	s_nop 0
	buffer_store_dword v1, off, s[0:3], s33 offset:64 ; 4-byte Folded Spill
.LBB4_2110:
	s_andn2_saveexec_b64 s[22:23], s[28:29]
	s_cbranch_execz .LBB4_4168
; %bb.2111:
	v_mov_b32_e32 v36, 0
	v_cmp_ne_u64_e32 vcc, 0, v[49:50]
	v_mov_b32_e32 v37, 0
	s_and_saveexec_b64 s[28:29], vcc
	s_cbranch_execz .LBB4_4167
; %bb.2112:
	buffer_store_dword v53, off, s[0:3], s33 offset:148 ; 4-byte Folded Spill
	s_nop 0
	buffer_store_dword v54, off, s[0:3], s33 offset:152 ; 4-byte Folded Spill
	s_trap 2
	buffer_load_dword v0, off, s[0:3], s33 offset:160 ; 4-byte Folded Reload
	s_waitcnt vmcnt(0)
	v_lshrrev_b32_e32 v1, 6, v34
	buffer_store_dword v31, off, s[0:3], s33 offset:200 ; 4-byte Folded Spill
	buffer_store_dword v48, off, s[0:3], s33 offset:156 ; 4-byte Folded Spill
	s_ashr_i32 s6, s48, 31
	s_lshr_b32 s6, s6, 24
	s_add_i32 s6, s48, s6
	v_cmp_eq_u32_e32 vcc, 64, v34
	v_mov_b32_e32 v52, 0
	v_mov_b32_e32 v36, 0
	s_mov_b32 s60, -1
	s_ashr_i32 s38, s6, 8
	v_cmp_ge_i32_e64 s[6:7], v48, v34
	v_cmp_ne_u32_e64 s[10:11], 64, v34
	v_mov_b32_e32 v51, 0
	s_movk_i32 s39, 0xffc0
	v_and_b32_e32 v47, 0x3fc0, v34
	s_mov_b64 s[42:43], 0
	v_mov_b32_e32 v53, 0
	v_mov_b32_e32 v37, 0
	s_xor_b64 s[44:45], vcc, -1
	s_movk_i32 s49, 0x80
	s_movk_i32 s50, 0x7f
	s_mov_b64 s[46:47], 0x7f800000
	s_mov_b64 s[56:57], 0x43e00001
	s_movk_i32 s51, 0x7a
	s_mov_b64 s[58:59], 0xffffff
	s_mov_b32 s61, 0xffffff
	s_mov_b32 s52, 0x3ffffc00
	v_bfrev_b32_e32 v62, 60
	v_mov_b32_e32 v56, 0x7f800001
	v_cmp_ne_u32_sdwa s[40:41], v34, v0 src0_sel:DWORD src1_sel:WORD_0
	v_and_b32_e32 v0, 63, v31
	v_cmp_eq_u32_e64 s[12:13], 0, v0
	v_ashrrev_i32_e32 v0, 31, v48
	v_lshrrev_b32_e32 v0, 26, v0
	v_add_u32_e32 v0, v48, v0
	v_ashrrev_i32_e32 v54, 6, v0
	v_and_b32_e32 v0, 0xffffffc0, v0
	v_sub_u32_e32 v2, v48, v0
	v_lshlrev_b32_e32 v0, 11, v54
	v_lshl_add_u32 v0, v2, 4, v0
	buffer_store_dword v0, off, s[0:3], s33 offset:220 ; 4-byte Folded Spill
	v_ashrrev_i32_e32 v0, 31, v0
	buffer_store_dword v0, off, s[0:3], s33 offset:224 ; 4-byte Folded Spill
	v_lshlrev_b32_e32 v0, 11, v1
	buffer_store_dword v2, off, s[0:3], s33 offset:212 ; 4-byte Folded Spill
	buffer_store_dword v0, off, s[0:3], s33 offset:120 ; 4-byte Folded Spill
	;; [unrolled: 1-line block ×3, first 2 shown]
	v_lshlrev_b32_e32 v0, 10, v1
	buffer_store_dword v0, off, s[0:3], s33 offset:88 ; 4-byte Folded Spill
	buffer_store_dword v34, off, s[0:3], s33 offset:196 ; 4-byte Folded Spill
	v_cmp_le_i32_e64 s[14:15], v2, v4
	buffer_load_dword v4, off, s[0:3], s33 offset:60 ; 4-byte Folded Reload
	buffer_load_dword v5, off, s[0:3], s33 offset:64 ; 4-byte Folded Reload
	v_cmp_gt_i32_e64 s[16:17], 1, v2
	buffer_store_dword v54, off, s[0:3], s33 offset:180 ; 4-byte Folded Spill
	buffer_store_dword v47, off, s[0:3], s33 offset:184 ; 4-byte Folded Spill
	;; [unrolled: 1-line block ×3, first 2 shown]
	s_nop 0
	buffer_store_dword v50, off, s[0:3], s33 offset:100 ; 4-byte Folded Spill
	buffer_store_dword v51, off, s[0:3], s33 offset:104 ; 4-byte Folded Spill
	;; [unrolled: 1-line block ×3, first 2 shown]
	s_branch .LBB4_2115
.LBB4_2113:                             ;   in Loop: Header=BB4_2115 Depth=1
	s_or_b64 exec, exec, s[18:19]
.LBB4_2114:                             ;   in Loop: Header=BB4_2115 Depth=1
	s_or_b64 exec, exec, s[20:21]
	buffer_load_dword v4, off, s[0:3], s33 offset:60 ; 4-byte Folded Reload
	buffer_load_dword v5, off, s[0:3], s33 offset:64 ; 4-byte Folded Reload
	;; [unrolled: 1-line block ×6, first 2 shown]
	s_waitcnt vmcnt(0)
	v_mov_b32_e32 v50, v11
	v_add_co_u32_e32 v52, vcc, v52, v4
	v_addc_co_u32_e32 v53, vcc, 0, v53, vcc
	v_mov_b32_e32 v49, v10
	v_cmp_ge_u64_e32 vcc, v[52:53], v[49:50]
	s_or_b64 s[42:43], vcc, s[42:43]
	s_andn2_b64 exec, exec, s[42:43]
	s_cbranch_execz .LBB4_4166
.LBB4_2115:                             ; =>This Loop Header: Depth=1
                                        ;     Child Loop BB4_2124 Depth 2
                                        ;     Child Loop BB4_2148 Depth 2
	;; [unrolled: 1-line block ×10, first 2 shown]
	v_sub_co_u32_e32 v0, vcc, v49, v52
	v_subb_co_u32_e32 v1, vcc, v50, v53, vcc
	s_waitcnt vmcnt(0)
	v_cmp_lt_u64_e32 vcc, v[4:5], v[0:1]
	v_cndmask_b32_e64 v5, v1, 0, vcc
	v_cndmask_b32_e32 v4, v0, v4, vcc
	v_add_u32_e32 v0, 15, v4
	v_cmp_eq_u64_e32 vcc, 0, v[4:5]
	v_and_b32_e32 v0, 0x7ffffff0, v0
	v_mov_b32_e32 v1, v4
	v_max_i32_e32 v15, s38, v0
	s_or_b64 s[62:63], s[6:7], vcc
	v_mov_b32_e32 v0, v51
	buffer_store_dword v1, off, s[0:3], s33 offset:112 ; 4-byte Folded Spill
	s_nop 0
	buffer_store_dword v2, off, s[0:3], s33 offset:116 ; 4-byte Folded Spill
	s_xor_b64 s[18:19], s[62:63], -1
	s_mov_b64 s[72:73], exec
	s_and_b64 s[18:19], s[72:73], s[18:19]
	v_mov_b32_e32 v49, 0x78
	s_mov_b64 exec, s[18:19]
	s_cbranch_execz .LBB4_4120
; %bb.2116:                             ;   in Loop: Header=BB4_2115 Depth=1
	s_and_saveexec_b64 s[18:19], s[4:5]
	s_cbranch_execz .LBB4_2118
; %bb.2117:                             ;   in Loop: Header=BB4_2115 Depth=1
	s_trap 2
	ds_read2_b64 v[10:13], v0 offset1:1
	buffer_load_dword v0, off, s[0:3], s33 offset:148 ; 4-byte Folded Reload
	buffer_load_dword v1, off, s[0:3], s33 offset:152 ; 4-byte Folded Reload
	s_waitcnt vmcnt(0)
	v_add_co_u32_e32 v2, vcc, v52, v0
	v_addc_co_u32_e32 v14, vcc, v53, v1, vcc
	ds_read_b64 v[0:1], v0
	s_waitcnt lgkmcnt(0)
	v_add_co_u32_e32 v4, vcc, v10, v2
	v_addc_co_u32_e32 v5, vcc, v11, v14, vcc
	ds_write_b64 v0, v[4:5]
	v_add_co_u32_e32 v4, vcc, v12, v2
	v_addc_co_u32_e32 v5, vcc, v13, v14, vcc
	v_add_co_u32_e32 v2, vcc, v0, v2
	ds_write_b64 v0, v[4:5]
	v_addc_co_u32_e32 v4, vcc, v1, v14, vcc
	v_cmp_ne_u64_e32 vcc, 0, v[0:1]
	v_cndmask_b32_e32 v1, 0, v4, vcc
	v_cndmask_b32_e32 v0, 0, v2, vcc
	ds_write_b64 v0, v[0:1]
.LBB4_2118:                             ;   in Loop: Header=BB4_2115 Depth=1
	s_or_b64 exec, exec, s[18:19]
	v_and_b32_e32 v0, 4, v3
	v_cmp_ne_u32_e32 vcc, 0, v0
	s_and_saveexec_b64 s[20:21], vcc
	s_cbranch_execz .LBB4_2140
; %bb.2119:                             ;   in Loop: Header=BB4_2115 Depth=1
	s_waitcnt lgkmcnt(0)
	v_add_co_u32_e32 v10, vcc, 1, v8
	v_addc_co_u32_e32 v11, vcc, 0, v9, vcc
	v_cmp_lt_u64_e32 vcc, v[38:39], v[10:11]
	s_and_saveexec_b64 s[74:75], vcc
	s_cbranch_execz .LBB4_2131
; %bb.2120:                             ;   in Loop: Header=BB4_2115 Depth=1
	v_and_b32_e32 v0, 64, v3
	s_mov_b32 s53, 0
	v_cmp_eq_u32_e32 vcc, 0, v0
	s_mov_b64 s[76:77], 0
                                        ; implicit-def: $sgpr78_sgpr79
                                        ; implicit-def: $sgpr88_sgpr89
                                        ; implicit-def: $sgpr90_sgpr91
	s_branch .LBB4_2124
.LBB4_2121:                             ;   in Loop: Header=BB4_2124 Depth=2
	s_waitcnt vmcnt(0) lgkmcnt(0)
	v_cmp_ge_u64_e64 s[18:19], v[38:39], v[10:11]
	s_or_b64 s[30:31], s[30:31], exec
	s_orn2_b64 s[94:95], s[18:19], exec
.LBB4_2122:                             ;   in Loop: Header=BB4_2124 Depth=2
	s_or_b64 exec, exec, s[36:37]
	s_andn2_b64 s[18:19], s[90:91], exec
	s_and_b64 s[90:91], s[30:31], exec
	s_or_b64 s[90:91], s[18:19], s[90:91]
	s_andn2_b64 s[18:19], s[88:89], exec
	s_and_b64 s[88:89], s[94:95], exec
	s_or_b64 s[88:89], s[18:19], s[88:89]
.LBB4_2123:                             ;   in Loop: Header=BB4_2124 Depth=2
	s_or_b64 exec, exec, s[92:93]
	s_and_b64 s[18:19], exec, s[88:89]
	s_or_b64 s[76:77], s[18:19], s[76:77]
	s_andn2_b64 s[18:19], s[78:79], exec
	s_and_b64 s[78:79], s[90:91], exec
	s_or_b64 s[78:79], s[18:19], s[78:79]
	s_andn2_b64 exec, exec, s[76:77]
	s_cbranch_execz .LBB4_2128
.LBB4_2124:                             ;   Parent Loop BB4_2115 Depth=1
                                        ; =>  This Inner Loop Header: Depth=2
	s_sleep 1
	s_waitcnt vmcnt(0) lgkmcnt(0)
	flat_load_dwordx2 v[38:39], v[32:33] glc
	s_or_b64 s[90:91], s[90:91], exec
	s_or_b64 s[88:89], s[88:89], exec
                                        ; implicit-def: $vgpr0
	s_and_saveexec_b64 s[92:93], vcc
	s_cbranch_execz .LBB4_2123
; %bb.2125:                             ;   in Loop: Header=BB4_2124 Depth=2
	s_cmpk_lt_i32 s53, 0x270f
	s_cselect_b64 s[34:35], -1, 0
	s_cmpk_gt_i32 s53, 0x270e
	s_mov_b64 s[94:95], -1
	s_cbranch_scc0 .LBB4_2127
; %bb.2126:                             ;   in Loop: Header=BB4_2124 Depth=2
	s_trap 2
	ds_read_b64 v[0:1], v0
	s_andn2_b64 s[34:35], s[34:35], exec
	s_mov_b32 s53, 0
	s_mov_b64 s[30:31], 0
	s_waitcnt vmcnt(0) lgkmcnt(0)
	flat_load_dword v0, v[0:1] glc
	s_waitcnt vmcnt(0) lgkmcnt(0)
	buffer_wbinvl1_vol
	v_cmp_eq_u32_e64 s[18:19], 0, v0
	s_and_b64 s[18:19], s[18:19], exec
	s_or_b64 s[34:35], s[34:35], s[18:19]
	s_and_saveexec_b64 s[36:37], s[34:35]
	s_cbranch_execz .LBB4_2122
	s_branch .LBB4_2121
.LBB4_2127:                             ;   in Loop: Header=BB4_2124 Depth=2
	s_add_i32 s53, s53, 1
	s_mov_b64 s[30:31], -1
                                        ; implicit-def: $vgpr0
	s_and_saveexec_b64 s[36:37], s[34:35]
	s_cbranch_execz .LBB4_2122
	s_branch .LBB4_2121
.LBB4_2128:                             ;   in Loop: Header=BB4_2115 Depth=1
	s_or_b64 exec, exec, s[76:77]
	s_xor_b64 s[18:19], s[78:79], -1
	s_and_saveexec_b64 s[76:77], s[18:19]
	s_xor_b64 s[18:19], exec, s[76:77]
	s_cbranch_execz .LBB4_2130
; %bb.2129:                             ;   in Loop: Header=BB4_2115 Depth=1
	v_or_b32_e32 v3, 64, v3
	s_waitcnt lgkmcnt(0)
	ds_write_b32 v0, v0
	s_trap 2
.LBB4_2130:                             ;   in Loop: Header=BB4_2115 Depth=1
	s_or_b64 exec, exec, s[18:19]
.LBB4_2131:                             ;   in Loop: Header=BB4_2115 Depth=1
	s_or_b64 exec, exec, s[74:75]
	v_and_b32_e32 v0, 0x100, v3
	v_cmp_ne_u32_e32 vcc, 0, v0
	v_and_b32_e32 v0, 7, v8
	s_mov_b64 s[18:19], -1
	;;#ASMSTART
	s_wakeup
	;;#ASMEND
                                        ; implicit-def: $vgpr8_vgpr9
	s_and_saveexec_b64 s[74:75], vcc
	s_cbranch_execz .LBB4_2135
; %bb.2132:                             ;   in Loop: Header=BB4_2115 Depth=1
	v_mad_u64_u32 v[12:13], s[18:19], v0, 24, v[6:7]
                                        ; implicit-def: $vgpr8_vgpr9
	flat_load_dword v1, v[12:13]
	s_waitcnt vmcnt(0) lgkmcnt(0)
	v_cmp_ne_u32_e32 vcc, 1, v1
	v_cmp_eq_u32_e64 s[18:19], 1, v1
	s_and_saveexec_b64 s[76:77], s[18:19]
	s_cbranch_execz .LBB4_2134
; %bb.2133:                             ;   in Loop: Header=BB4_2115 Depth=1
	flat_load_dword v8, v[12:13] offset:4 glc
	s_waitcnt vmcnt(0) lgkmcnt(0)
	v_ashrrev_i32_e32 v9, 31, v8
.LBB4_2134:                             ;   in Loop: Header=BB4_2115 Depth=1
	s_or_b64 exec, exec, s[76:77]
	s_orn2_b64 s[18:19], vcc, exec
.LBB4_2135:                             ;   in Loop: Header=BB4_2115 Depth=1
	s_or_b64 exec, exec, s[74:75]
	s_and_saveexec_b64 s[74:75], s[18:19]
	s_cbranch_execz .LBB4_2137
; %bb.2136:                             ;   in Loop: Header=BB4_2115 Depth=1
	buffer_load_dword v1, off, s[0:3], s33 offset:128 ; 4-byte Folded Reload
	s_waitcnt vmcnt(0)
	v_mad_i64_i32 v[8:9], s[18:19], v0, v1, 0
.LBB4_2137:                             ;   in Loop: Header=BB4_2115 Depth=1
	s_or_b64 exec, exec, s[74:75]
	buffer_load_dword v0, off, s[0:3], s33 offset:80 ; 4-byte Folded Reload
	buffer_load_dword v1, off, s[0:3], s33 offset:84 ; 4-byte Folded Reload
	s_waitcnt vmcnt(0)
	v_add_co_u32_e32 v0, vcc, v0, v8
	v_addc_co_u32_e32 v1, vcc, v1, v9, vcc
	ds_write_b64 v0, v[0:1] offset:728
	v_and_b32_e32 v0, 0x2000, v3
	v_cmp_ne_u32_e32 vcc, 0, v0
	s_and_saveexec_b64 s[18:19], vcc
	s_cbranch_execz .LBB4_2139
; %bb.2138:                             ;   in Loop: Header=BB4_2115 Depth=1
	ds_read_b64 v[0:1], v0 offset:872
	s_waitcnt lgkmcnt(0)
	v_add_co_u32_e32 v0, vcc, 1, v0
	v_addc_co_u32_e32 v1, vcc, 0, v1, vcc
	ds_write_b64 v0, v[0:1] offset:872
.LBB4_2139:                             ;   in Loop: Header=BB4_2115 Depth=1
	s_or_b64 exec, exec, s[18:19]
	v_mov_b32_e32 v8, v10
	v_mov_b32_e32 v9, v11
.LBB4_2140:                             ;   in Loop: Header=BB4_2115 Depth=1
	s_or_b64 exec, exec, s[20:21]
	s_and_saveexec_b64 s[18:19], s[10:11]
	s_cbranch_execz .LBB4_2159
; %bb.2141:                             ;   in Loop: Header=BB4_2115 Depth=1
	s_and_saveexec_b64 s[20:21], s[40:41]
	s_xor_b64 s[20:21], exec, s[20:21]
	s_cbranch_execz .LBB4_2156
; %bb.2142:                             ;   in Loop: Header=BB4_2115 Depth=1
	s_and_saveexec_b64 s[74:75], s[12:13]
	s_cbranch_execz .LBB4_2155
; %bb.2143:                             ;   in Loop: Header=BB4_2115 Depth=1
	s_mov_b64 s[78:79], exec
	v_mbcnt_lo_u32_b32 v0, s78, 0
	v_mbcnt_hi_u32_b32 v0, s79, v0
	v_cmp_eq_u32_e32 vcc, 0, v0
	s_waitcnt vmcnt(0) lgkmcnt(0)
	buffer_wbinvl1_vol
	s_and_saveexec_b64 s[76:77], vcc
	s_cbranch_execz .LBB4_2145
; %bb.2144:                             ;   in Loop: Header=BB4_2115 Depth=1
	s_bcnt1_i32_b64 s78, s[78:79]
	v_mov_b32_e32 v50, s78
	ds_add_u64 v0, v[50:51]
	s_trap 2
.LBB4_2145:                             ;   in Loop: Header=BB4_2115 Depth=1
	s_or_b64 exec, exec, s[76:77]
	s_trap 2
	ds_read_b64 v[0:1], v0
	s_waitcnt lgkmcnt(0)
	buffer_load_dword v2, off, s[0:3], s33 offset:68 ; 4-byte Folded Reload
	s_waitcnt vmcnt(0)
	v_add_co_u32_e32 v36, vcc, v36, v2
	v_addc_co_u32_e32 v37, vcc, 0, v37, vcc
	v_cmp_lt_u64_e32 vcc, v[0:1], v[36:37]
	s_and_saveexec_b64 s[76:77], vcc
	s_cbranch_execz .LBB4_2154
; %bb.2146:                             ;   in Loop: Header=BB4_2115 Depth=1
	s_mov_b32 s30, 0
	s_mov_b64 s[78:79], 0
                                        ; implicit-def: $sgpr88_sgpr89
                                        ; implicit-def: $sgpr90_sgpr91
	s_branch .LBB4_2148
.LBB4_2147:                             ;   in Loop: Header=BB4_2148 Depth=2
	s_or_b64 exec, exec, s[94:95]
	s_and_b64 s[92:93], exec, vcc
	s_or_b64 s[78:79], s[92:93], s[78:79]
	s_andn2_b64 s[88:89], s[88:89], exec
	s_and_b64 s[92:93], s[90:91], exec
	s_or_b64 s[88:89], s[88:89], s[92:93]
	s_andn2_b64 exec, exec, s[78:79]
	s_cbranch_execz .LBB4_2152
.LBB4_2148:                             ;   Parent Loop BB4_2115 Depth=1
                                        ; =>  This Inner Loop Header: Depth=2
	s_add_i32 s30, s30, 1
	s_cmpk_lg_i32 s30, 0x2710
	s_cselect_b64 s[92:93], -1, 0
	s_and_b64 vcc, exec, s[92:93]
	s_cbranch_vccz .LBB4_2150
; %bb.2149:                             ;   in Loop: Header=BB4_2148 Depth=2
	s_mov_b64 vcc, -1
	s_or_b64 s[90:91], s[90:91], exec
	s_and_saveexec_b64 s[94:95], s[92:93]
	s_cbranch_execz .LBB4_2147
	s_branch .LBB4_2151
.LBB4_2150:                             ;   in Loop: Header=BB4_2148 Depth=2
	s_trap 2
	ds_read_b64 v[0:1], v0
	s_andn2_b64 s[92:93], s[92:93], exec
	s_mov_b32 s30, 0
	s_waitcnt lgkmcnt(0)
	flat_load_dword v0, v[0:1] glc
	s_waitcnt vmcnt(0) lgkmcnt(0)
	buffer_wbinvl1_vol
	v_cmp_eq_u32_e32 vcc, 0, v0
	s_and_b64 s[94:95], vcc, exec
	s_or_b64 s[92:93], s[92:93], s[94:95]
	s_mov_b64 vcc, -1
	s_or_b64 s[90:91], s[90:91], exec
	s_and_saveexec_b64 s[94:95], s[92:93]
	s_cbranch_execz .LBB4_2147
.LBB4_2151:                             ;   in Loop: Header=BB4_2148 Depth=2
	s_sleep 1
	s_trap 2
	ds_read_b64 v[0:1], v0
	s_waitcnt lgkmcnt(0)
	s_andn2_b64 s[90:91], s[90:91], exec
	v_cmp_ge_u64_e32 vcc, v[0:1], v[36:37]
	s_orn2_b64 vcc, vcc, exec
	s_branch .LBB4_2147
.LBB4_2152:                             ;   in Loop: Header=BB4_2115 Depth=1
	s_or_b64 exec, exec, s[78:79]
	s_and_saveexec_b64 s[78:79], s[88:89]
	s_xor_b64 s[78:79], exec, s[78:79]
	s_cbranch_execz .LBB4_2154
; %bb.2153:                             ;   in Loop: Header=BB4_2115 Depth=1
	v_mov_b32_e32 v0, 1
	ds_write_b32 v0, v0
	s_trap 2
.LBB4_2154:                             ;   in Loop: Header=BB4_2115 Depth=1
	s_or_b64 exec, exec, s[76:77]
	;;#ASMSTART
	s_wakeup
	;;#ASMEND
.LBB4_2155:                             ;   in Loop: Header=BB4_2115 Depth=1
	s_or_b64 exec, exec, s[74:75]
.LBB4_2156:                             ;   in Loop: Header=BB4_2115 Depth=1
	s_andn2_saveexec_b64 s[20:21], s[20:21]
	s_cbranch_execz .LBB4_2158
; %bb.2157:                             ;   in Loop: Header=BB4_2115 Depth=1
	s_waitcnt vmcnt(0) lgkmcnt(0)
	buffer_wbinvl1_vol
	s_barrier
.LBB4_2158:                             ;   in Loop: Header=BB4_2115 Depth=1
	s_or_b64 exec, exec, s[20:21]
.LBB4_2159:                             ;   in Loop: Header=BB4_2115 Depth=1
	s_or_b64 exec, exec, s[18:19]
	s_trap 2
	ds_read_b32 v0, v0
	v_and_b32_e32 v1, 0x4000, v3
	v_cmp_ne_u32_e32 vcc, 0, v1
	s_and_b64 s[20:21], s[44:45], vcc
	s_and_saveexec_b64 s[18:19], s[20:21]
	s_cbranch_execz .LBB4_2178
; %bb.2160:                             ;   in Loop: Header=BB4_2115 Depth=1
	s_and_saveexec_b64 s[20:21], s[40:41]
	s_xor_b64 s[20:21], exec, s[20:21]
	s_cbranch_execz .LBB4_2175
; %bb.2161:                             ;   in Loop: Header=BB4_2115 Depth=1
	s_and_saveexec_b64 s[74:75], s[12:13]
	s_cbranch_execz .LBB4_2174
; %bb.2162:                             ;   in Loop: Header=BB4_2115 Depth=1
	s_mov_b64 s[78:79], exec
	v_mbcnt_lo_u32_b32 v1, s78, 0
	v_mbcnt_hi_u32_b32 v1, s79, v1
	v_cmp_eq_u32_e32 vcc, 0, v1
	s_waitcnt vmcnt(0) lgkmcnt(0)
	buffer_wbinvl1_vol
	s_and_saveexec_b64 s[76:77], vcc
	s_cbranch_execz .LBB4_2164
; %bb.2163:                             ;   in Loop: Header=BB4_2115 Depth=1
	s_bcnt1_i32_b64 s78, s[78:79]
	v_mov_b32_e32 v50, s78
	ds_add_u64 v0, v[50:51]
	s_trap 2
.LBB4_2164:                             ;   in Loop: Header=BB4_2115 Depth=1
	s_or_b64 exec, exec, s[76:77]
	s_trap 2
	ds_read_b64 v[1:2], v0
	s_waitcnt lgkmcnt(0)
	buffer_load_dword v4, off, s[0:3], s33 offset:68 ; 4-byte Folded Reload
	s_waitcnt vmcnt(0)
	v_add_co_u32_e32 v36, vcc, v36, v4
	v_addc_co_u32_e32 v37, vcc, 0, v37, vcc
	v_cmp_lt_u64_e32 vcc, v[1:2], v[36:37]
	s_and_saveexec_b64 s[76:77], vcc
	s_cbranch_execz .LBB4_2173
; %bb.2165:                             ;   in Loop: Header=BB4_2115 Depth=1
	s_mov_b32 s30, 0
	s_mov_b64 s[78:79], 0
                                        ; implicit-def: $sgpr88_sgpr89
                                        ; implicit-def: $sgpr90_sgpr91
	s_branch .LBB4_2167
.LBB4_2166:                             ;   in Loop: Header=BB4_2167 Depth=2
	s_or_b64 exec, exec, s[94:95]
	s_and_b64 s[92:93], exec, vcc
	s_or_b64 s[78:79], s[92:93], s[78:79]
	s_andn2_b64 s[88:89], s[88:89], exec
	s_and_b64 s[92:93], s[90:91], exec
	s_or_b64 s[88:89], s[88:89], s[92:93]
	s_andn2_b64 exec, exec, s[78:79]
	s_cbranch_execz .LBB4_2171
.LBB4_2167:                             ;   Parent Loop BB4_2115 Depth=1
                                        ; =>  This Inner Loop Header: Depth=2
	s_add_i32 s30, s30, 1
	s_cmpk_lg_i32 s30, 0x2710
	s_cselect_b64 s[92:93], -1, 0
	s_and_b64 vcc, exec, s[92:93]
	s_cbranch_vccz .LBB4_2169
; %bb.2168:                             ;   in Loop: Header=BB4_2167 Depth=2
	s_mov_b64 vcc, -1
	s_or_b64 s[90:91], s[90:91], exec
	s_and_saveexec_b64 s[94:95], s[92:93]
	s_cbranch_execz .LBB4_2166
	s_branch .LBB4_2170
.LBB4_2169:                             ;   in Loop: Header=BB4_2167 Depth=2
	s_trap 2
	ds_read_b64 v[1:2], v0
	s_andn2_b64 s[92:93], s[92:93], exec
	s_mov_b32 s30, 0
	s_waitcnt lgkmcnt(0)
	flat_load_dword v1, v[1:2] glc
	s_waitcnt vmcnt(0) lgkmcnt(0)
	buffer_wbinvl1_vol
	v_cmp_eq_u32_e32 vcc, 0, v1
	s_and_b64 s[94:95], vcc, exec
	s_or_b64 s[92:93], s[92:93], s[94:95]
	s_mov_b64 vcc, -1
	s_or_b64 s[90:91], s[90:91], exec
	s_and_saveexec_b64 s[94:95], s[92:93]
	s_cbranch_execz .LBB4_2166
.LBB4_2170:                             ;   in Loop: Header=BB4_2167 Depth=2
	s_sleep 1
	s_trap 2
	ds_read_b64 v[1:2], v0
	s_waitcnt lgkmcnt(0)
	s_andn2_b64 s[90:91], s[90:91], exec
	v_cmp_ge_u64_e32 vcc, v[1:2], v[36:37]
	s_orn2_b64 vcc, vcc, exec
	s_branch .LBB4_2166
.LBB4_2171:                             ;   in Loop: Header=BB4_2115 Depth=1
	s_or_b64 exec, exec, s[78:79]
	s_and_saveexec_b64 s[78:79], s[88:89]
	s_xor_b64 s[78:79], exec, s[78:79]
	s_cbranch_execz .LBB4_2173
; %bb.2172:                             ;   in Loop: Header=BB4_2115 Depth=1
	v_mov_b32_e32 v1, 1
	ds_write_b32 v0, v1
	s_trap 2
.LBB4_2173:                             ;   in Loop: Header=BB4_2115 Depth=1
	s_or_b64 exec, exec, s[76:77]
	;;#ASMSTART
	s_wakeup
	;;#ASMEND
.LBB4_2174:                             ;   in Loop: Header=BB4_2115 Depth=1
	s_or_b64 exec, exec, s[74:75]
.LBB4_2175:                             ;   in Loop: Header=BB4_2115 Depth=1
	s_andn2_saveexec_b64 s[20:21], s[20:21]
	s_cbranch_execz .LBB4_2177
; %bb.2176:                             ;   in Loop: Header=BB4_2115 Depth=1
	s_waitcnt vmcnt(0) lgkmcnt(0)
	buffer_wbinvl1_vol
	s_barrier
.LBB4_2177:                             ;   in Loop: Header=BB4_2115 Depth=1
	s_or_b64 exec, exec, s[20:21]
.LBB4_2178:                             ;   in Loop: Header=BB4_2115 Depth=1
	s_or_b64 exec, exec, s[18:19]
	s_trap 2
	s_waitcnt lgkmcnt(0)
	ds_read_b64 v[57:58], v0
	buffer_load_dword v1, off, s[0:3], s33 offset:112 ; 4-byte Folded Reload
	buffer_load_dword v2, off, s[0:3], s33 offset:116 ; 4-byte Folded Reload
	s_waitcnt lgkmcnt(0)
	v_cmp_eq_u64_e32 vcc, 0, v[57:58]
	s_waitcnt vmcnt(1)
	v_min_u32_e32 v15, v15, v1
	s_cbranch_vccnz .LBB4_2186
; %bb.2179:                             ;   in Loop: Header=BB4_2115 Depth=1
	s_trap 2
	s_waitcnt vmcnt(0)
	ds_read_b64 v[1:2], v0
	s_waitcnt lgkmcnt(0)
	buffer_store_dword v1, off, s[0:3], s33 offset:164 ; 4-byte Folded Spill
	s_nop 0
	buffer_store_dword v2, off, s[0:3], s33 offset:168 ; 4-byte Folded Spill
	v_cmp_eq_u64_e32 vcc, 0, v[1:2]
	s_cbranch_vccnz .LBB4_2186
; %bb.2180:                             ;   in Loop: Header=BB4_2115 Depth=1
	s_mov_b64 s[20:21], -1
	s_and_saveexec_b64 s[18:19], s[14:15]
	s_cbranch_execz .LBB4_2182
; %bb.2181:                             ;   in Loop: Header=BB4_2115 Depth=1
	ds_read_b32 v1, v0 offset:720
	s_waitcnt lgkmcnt(0)
	v_and_b32_e32 v1, 15, v1
	v_cmp_eq_u32_e32 vcc, 0, v1
	s_orn2_b64 s[20:21], vcc, exec
.LBB4_2182:                             ;   in Loop: Header=BB4_2115 Depth=1
	s_or_b64 exec, exec, s[18:19]
	s_and_saveexec_b64 s[18:19], s[16:17]
	s_cbranch_execz .LBB4_2184
; %bb.2183:                             ;   in Loop: Header=BB4_2115 Depth=1
	ds_read_b32 v1, v0 offset:784
	s_waitcnt lgkmcnt(0)
	v_and_b32_e32 v1, 15, v1
	v_cmp_eq_u32_e32 vcc, 0, v1
	s_and_b64 s[74:75], s[20:21], vcc
	s_andn2_b64 s[20:21], s[20:21], exec
	s_and_b64 s[74:75], s[74:75], exec
	s_or_b64 s[20:21], s[20:21], s[74:75]
.LBB4_2184:                             ;   in Loop: Header=BB4_2115 Depth=1
	s_or_b64 exec, exec, s[18:19]
	buffer_load_dword v20, off, s[0:3], s33 offset:156 ; 4-byte Folded Reload
	v_cmp_eq_u32_e32 vcc, 0, v0
	s_xor_b64 s[20:21], s[20:21], -1
	v_cndmask_b32_e32 v1, 0, v15, vcc
	v_cndmask_b32_e64 v0, 0, 1, s[20:21]
	s_mov_b64 s[18:19], -1
	v_cmp_ne_u32_e32 vcc, 0, v0
	v_mov_b32_e32 v5, 0
	buffer_store_dword v1, off, s[0:3], s33 offset:140 ; 4-byte Folded Spill
	v_mov_b32_e32 v0, v1
	v_mov_b32_e32 v1, v54
	buffer_store_dword v15, off, s[0:3], s33 offset:172 ; 4-byte Folded Spill
	s_cbranch_vccz .LBB4_2187
; %bb.2185:                             ;   in Loop: Header=BB4_2115 Depth=1
	s_and_saveexec_b64 s[20:21], s[18:19]
	s_cbranch_execnz .LBB4_3544
	s_branch .LBB4_4096
.LBB4_2186:                             ;   in Loop: Header=BB4_2115 Depth=1
	s_mov_b64 s[18:19], 0
	s_and_saveexec_b64 s[20:21], s[10:11]
	s_cbranch_execnz .LBB4_4097
	s_branch .LBB4_4115
.LBB4_2187:                             ;   in Loop: Header=BB4_2115 Depth=1
	buffer_load_dword v0, off, s[0:3], s33 offset:140 ; 4-byte Folded Reload
	s_waitcnt vmcnt(0)
	v_lshrrev_b32_e32 v0, 11, v0
	v_sub_u32_e32 v40, v0, v54
	v_cmp_lt_i32_e32 vcc, 0, v40
	s_and_saveexec_b64 s[20:21], vcc
	s_cbranch_execz .LBB4_3087
; %bb.2188:                             ;   in Loop: Header=BB4_2115 Depth=1
	s_trap 2
	buffer_load_dword v2, off, s[0:3], s33 offset:220 ; 4-byte Folded Reload
	buffer_load_dword v4, off, s[0:3], s33 offset:224 ; 4-byte Folded Reload
	ds_read_b64 v[0:1], v0
	s_mov_b64 s[74:75], 0
	s_waitcnt vmcnt(1)
	v_add_co_u32_e32 v44, vcc, v57, v2
	buffer_store_dword v57, off, s[0:3], s33 offset:188 ; 4-byte Folded Spill
	s_nop 0
	buffer_store_dword v58, off, s[0:3], s33 offset:192 ; 4-byte Folded Spill
	s_waitcnt vmcnt(2)
	v_addc_co_u32_e32 v45, vcc, v58, v4, vcc
	s_waitcnt lgkmcnt(0)
	v_add_co_u32_e32 v46, vcc, v0, v2
	v_addc_co_u32_e32 v47, vcc, v1, v4, vcc
	buffer_load_dword v0, off, s[0:3], s33 offset:164 ; 4-byte Folded Reload
	buffer_load_dword v1, off, s[0:3], s33 offset:168 ; 4-byte Folded Reload
	s_waitcnt vmcnt(1)
	v_add_co_u32_e32 v55, vcc, v0, v2
	s_waitcnt vmcnt(0)
	v_addc_co_u32_e32 v56, vcc, v1, v4, vcc
	s_branch .LBB4_2190
.LBB4_2189:                             ;   in Loop: Header=BB4_2190 Depth=2
	s_or_b64 exec, exec, s[18:19]
	v_lshl_or_b32 v5, v42, 8, v31
	v_lshlrev_b32_e32 v11, 16, v30
	v_lshlrev_b32_e32 v12, 24, v43
	v_or3_b32 v12, v5, v11, v12
	buffer_load_dword v5, off, s[0:3], s33 offset:72 ; 4-byte Folded Reload
	buffer_load_dword v11, off, s[0:3], s33 offset:76 ; 4-byte Folded Reload
	v_lshlrev_b32_e32 v13, 24, v61
	v_lshlrev_b32_e32 v0, 24, v0
	v_lshl_or_b32 v14, v35, 8, v34
	s_waitcnt vmcnt(1)
	v_lshl_or_b32 v5, v5, 8, v27
	s_waitcnt vmcnt(0)
	v_lshlrev_b32_e32 v11, 16, v11
	v_or3_b32 v11, v5, v11, v13
	v_lshl_or_b32 v5, v58, 8, v57
	v_lshlrev_b32_e32 v13, 16, v59
	v_or3_b32 v13, v5, v13, v0
	v_lshlrev_b32_e32 v0, 24, v21
	v_lshlrev_b32_e32 v5, 16, v22
	v_or3_b32 v14, v14, v5, v0
	v_lshl_or_b32 v0, v60, 8, v1
	v_lshlrev_b32_e32 v1, 16, v18
	v_lshlrev_b32_e32 v5, 24, v19
	v_or3_b32 v16, v0, v1, v5
	v_lshl_or_b32 v0, v24, 8, v23
	;; [unrolled: 4-line block ×3, first 2 shown]
	v_lshlrev_b32_e32 v1, 16, v2
	v_lshlrev_b32_e32 v2, 24, v41
	v_or3_b32 v17, v0, v1, v2
	v_lshlrev_b32_e32 v0, 24, v10
	v_lshlrev_b32_e32 v1, 16, v4
	v_lshl_or_b32 v2, v26, 8, v54
	v_or3_b32 v18, v2, v1, v0
	global_store_dwordx4 v[55:56], v[11:14], off glc slc
	global_store_dwordx4 v[55:56], v[15:18], off offset:1024 glc slc
	buffer_load_dword v1, off, s[0:3], s33 offset:120 ; 4-byte Folded Reload
	buffer_load_dword v0, off, s[0:3], s33 offset:68 ; 4-byte Folded Reload
	s_waitcnt vmcnt(1)
	v_add_co_u32_e32 v44, vcc, v44, v1
	v_addc_co_u32_e32 v45, vcc, 0, v45, vcc
	v_add_co_u32_e32 v46, vcc, v46, v1
	v_addc_co_u32_e32 v47, vcc, 0, v47, vcc
	s_waitcnt vmcnt(0)
	v_sub_u32_e32 v40, v40, v0
	v_cmp_gt_i32_e32 vcc, 1, v40
	s_or_b64 s[74:75], vcc, s[74:75]
	v_add_co_u32_e32 v55, vcc, v55, v1
	v_addc_co_u32_e32 v56, vcc, 0, v56, vcc
	s_andn2_b64 exec, exec, s[74:75]
	s_cbranch_execz .LBB4_3086
.LBB4_2190:                             ;   Parent Loop BB4_2115 Depth=1
                                        ; =>  This Inner Loop Header: Depth=2
	global_load_dwordx4 v[22:25], v[44:45], off glc slc
	global_load_dwordx4 v[14:17], v[44:45], off offset:1024 glc slc
	global_load_dwordx4 v[18:21], v[46:47], off glc slc
	global_load_dwordx4 v[10:13], v[46:47], off offset:1024 glc slc
	v_mov_b32_e32 v0, 0
	v_mov_b32_e32 v1, 0
	s_waitcnt vmcnt(3)
	v_cmp_ne_u16_sdwa s[76:77], v22, v51 src0_sel:BYTE_0 src1_sel:DWORD
	s_and_saveexec_b64 s[18:19], s[76:77]
	s_cbranch_execz .LBB4_2196
; %bb.2191:                             ;   in Loop: Header=BB4_2190 Depth=2
	v_cmp_ne_u16_sdwa s[78:79], v22, s49 src0_sel:BYTE_0 src1_sel:DWORD
	v_bfrev_b32_e32 v1, 1
	s_and_saveexec_b64 s[76:77], s[78:79]
	s_cbranch_execz .LBB4_2195
; %bb.2192:                             ;   in Loop: Header=BB4_2190 Depth=2
	v_and_b32_e32 v2, 0x7f, v22
	v_cmp_ne_u32_e32 vcc, s50, v2
	v_mov_b32_e32 v1, 0x7f800001
	s_and_saveexec_b64 s[78:79], vcc
	s_cbranch_execz .LBB4_2194
; %bb.2193:                             ;   in Loop: Header=BB4_2190 Depth=2
	v_and_b32_e32 v1, 7, v22
	v_ffbh_u32_e32 v1, v1
	v_min_u32_e32 v1, 32, v1
	v_lshrrev_b32_e32 v4, 3, v2
	v_cmp_gt_u32_e32 vcc, 8, v2
	v_subrev_u32_e32 v2, 28, v1
	v_sub_u32_e32 v1, 29, v1
	v_cndmask_b32_e32 v4, v4, v1, vcc
	v_cndmask_b32_e32 v1, 0, v2, vcc
	v_lshlrev_b64 v[1:2], v1, v[22:23]
	v_lshlrev_b32_e32 v2, 24, v22
	v_lshlrev_b32_e32 v1, 20, v1
	v_and_b32_e32 v1, 0x700000, v1
	v_and_b32_e32 v2, 0x80000000, v2
	v_lshl_add_u32 v4, v4, 23, v62
	v_or3_b32 v1, v2, v4, v1
.LBB4_2194:                             ;   in Loop: Header=BB4_2190 Depth=2
	s_or_b64 exec, exec, s[78:79]
.LBB4_2195:                             ;   in Loop: Header=BB4_2190 Depth=2
	s_or_b64 exec, exec, s[76:77]
.LBB4_2196:                             ;   in Loop: Header=BB4_2190 Depth=2
	s_or_b64 exec, exec, s[18:19]
	s_waitcnt vmcnt(1)
	v_cmp_ne_u16_sdwa s[76:77], v18, v51 src0_sel:BYTE_0 src1_sel:DWORD
	s_and_saveexec_b64 s[18:19], s[76:77]
	s_cbranch_execz .LBB4_2202
; %bb.2197:                             ;   in Loop: Header=BB4_2190 Depth=2
	v_cmp_ne_u16_sdwa s[78:79], v18, s49 src0_sel:BYTE_0 src1_sel:DWORD
	v_bfrev_b32_e32 v0, 1
	s_and_saveexec_b64 s[76:77], s[78:79]
	s_cbranch_execz .LBB4_2201
; %bb.2198:                             ;   in Loop: Header=BB4_2190 Depth=2
	v_and_b32_e32 v2, 0x7f, v18
	v_cmp_ne_u32_e32 vcc, s50, v2
	v_mov_b32_e32 v0, 0x7f800001
	s_and_saveexec_b64 s[78:79], vcc
	s_cbranch_execz .LBB4_2200
; %bb.2199:                             ;   in Loop: Header=BB4_2190 Depth=2
	v_and_b32_e32 v0, 7, v18
	v_ffbh_u32_e32 v0, v0
	v_min_u32_e32 v0, 32, v0
	v_lshrrev_b32_e32 v4, 3, v2
	v_cmp_gt_u32_e32 vcc, 8, v2
	v_subrev_u32_e32 v2, 28, v0
	v_sub_u32_e32 v0, 29, v0
	v_cndmask_b32_e32 v2, 0, v2, vcc
	v_cndmask_b32_e32 v0, v4, v0, vcc
	v_lshlrev_b64 v[4:5], v2, v[18:19]
	v_lshl_add_u32 v0, v0, 23, v62
	v_lshlrev_b32_e32 v2, 20, v4
	v_lshlrev_b32_e32 v4, 24, v18
	v_and_b32_e32 v2, 0x700000, v2
	v_and_b32_e32 v4, 0x80000000, v4
	v_or3_b32 v0, v4, v0, v2
.LBB4_2200:                             ;   in Loop: Header=BB4_2190 Depth=2
	s_or_b64 exec, exec, s[78:79]
.LBB4_2201:                             ;   in Loop: Header=BB4_2190 Depth=2
	s_or_b64 exec, exec, s[76:77]
.LBB4_2202:                             ;   in Loop: Header=BB4_2190 Depth=2
	s_or_b64 exec, exec, s[18:19]
	v_add_f32_e32 v1, v1, v0
	v_and_b32_e32 v50, 0x7f800000, v1
	v_cmp_ne_u64_e32 vcc, s[46:47], v[50:51]
                                        ; implicit-def: $vgpr27
	s_and_saveexec_b64 s[18:19], vcc
	s_xor_b64 s[76:77], exec, s[18:19]
	s_cbranch_execz .LBB4_2216
; %bb.2203:                             ;   in Loop: Header=BB4_2190 Depth=2
	v_and_b32_e32 v50, 0x7fffffff, v1
	v_cmp_gt_u64_e32 vcc, s[56:57], v[50:51]
	v_and_b32_sdwa v0, v1, s49 dst_sel:DWORD dst_unused:UNUSED_PAD src0_sel:BYTE_3 src1_sel:DWORD
                                        ; implicit-def: $vgpr27
	s_and_saveexec_b64 s[18:19], vcc
	s_xor_b64 s[78:79], exec, s[18:19]
	s_cbranch_execz .LBB4_2213
; %bb.2204:                             ;   in Loop: Header=BB4_2190 Depth=2
	v_mov_b32_e32 v27, 0
	v_cmp_ne_u32_e32 vcc, 0, v1
	s_and_saveexec_b64 s[88:89], vcc
	s_cbranch_execz .LBB4_2212
; %bb.2205:                             ;   in Loop: Header=BB4_2190 Depth=2
	v_and_b32_e32 v4, 0x7fffff, v1
	v_bfe_u32 v1, v1, 23, 8
	v_cmp_gt_u32_e64 s[18:19], s51, v1
	v_sub_u32_e32 v2, 0x79, v1
	v_cmp_eq_u32_e32 vcc, 0, v1
	v_cndmask_b32_e64 v2, 0, v2, s[18:19]
	v_or_b32_e32 v5, 0x800000, v4
	v_cndmask_b32_e32 v2, v2, v49, vcc
	v_cndmask_b32_e32 v50, v5, v4, vcc
	v_add_u32_e32 v4, 20, v2
	v_lshlrev_b64 v[4:5], v4, -1
	v_add_u32_e32 v26, 19, v2
	v_lshlrev_b64 v[26:27], v26, 1
	v_lshrrev_b64 v[57:58], v2, v[50:51]
	v_bfi_b32 v5, v5, 0, 0
	v_bfi_b32 v4, v4, 0, v50
	v_cmp_eq_u64_e64 s[18:19], v[4:5], v[26:27]
	v_mov_b32_e32 v59, v58
	v_mov_b32_e32 v58, v57
	s_and_saveexec_b64 s[90:91], s[18:19]
; %bb.2206:                             ;   in Loop: Header=BB4_2190 Depth=2
	v_bfe_u32 v4, v57, 20, 1
	v_add_co_u32_e64 v4, s[18:19], v57, v4
	v_add_co_u32_e64 v58, s[18:19], -1, v4
; %bb.2207:                             ;   in Loop: Header=BB4_2190 Depth=2
	s_or_b64 exec, exec, s[90:91]
	v_add_u32_e32 v1, 0xffffff81, v1
	v_mov_b32_e32 v4, 0xffffff82
	v_cndmask_b32_e32 v1, v1, v4, vcc
	v_lshrrev_b32_e32 v4, 23, v57
	v_add3_u32 v4, v2, v1, v4
	v_add_u32_e32 v2, 6, v4
	v_and_b32_e32 v1, 0xfffff, v58
	v_add_u32_e32 v50, v1, v57
	v_cmp_ne_u32_e32 vcc, 0, v2
                                        ; implicit-def: $vgpr57_vgpr58
                                        ; implicit-def: $vgpr1
	s_and_saveexec_b64 s[18:19], vcc
	s_xor_b64 s[18:19], exec, s[18:19]
; %bb.2208:                             ;   in Loop: Header=BB4_2190 Depth=2
	v_cmp_lt_u64_e32 vcc, s[58:59], v[50:51]
	v_add_u32_e32 v1, 7, v4
	v_cndmask_b32_e32 v1, v2, v1, vcc
	v_cndmask_b32_e64 v2, 0, 1, vcc
	v_lshrrev_b64 v[57:58], v2, v[50:51]
; %bb.2209:                             ;   in Loop: Header=BB4_2190 Depth=2
	s_andn2_saveexec_b64 s[18:19], s[18:19]
; %bb.2210:                             ;   in Loop: Header=BB4_2190 Depth=2
	v_mov_b32_e32 v58, v51
	v_bfe_u32 v1, v50, 23, 1
	v_mov_b32_e32 v57, v50
; %bb.2211:                             ;   in Loop: Header=BB4_2190 Depth=2
	s_or_b64 exec, exec, s[18:19]
	v_lshrrev_b64 v[4:5], 20, v[57:58]
	v_cmp_gt_i32_e32 vcc, 16, v1
	v_cndmask_b32_e32 v5, 0, v5, vcc
	v_cndmask_b32_e32 v4, 7, v4, vcc
	v_cmp_eq_u32_e32 vcc, 0, v1
	v_min_i32_e32 v1, 15, v1
	v_cmp_eq_u64_e64 s[18:19], 0, v[4:5]
	v_lshlrev_b32_e32 v1, 3, v1
	v_and_b32_e32 v1, 0xf8, v1
	v_and_or_b32 v1, v4, 7, v1
	s_and_b64 s[18:19], vcc, s[18:19]
	v_cndmask_b32_e64 v1, v1, 0, s[18:19]
	v_or_b32_e32 v27, v1, v0
.LBB4_2212:                             ;   in Loop: Header=BB4_2190 Depth=2
	s_or_b64 exec, exec, s[88:89]
                                        ; implicit-def: $vgpr0
.LBB4_2213:                             ;   in Loop: Header=BB4_2190 Depth=2
	s_andn2_saveexec_b64 s[18:19], s[78:79]
; %bb.2214:                             ;   in Loop: Header=BB4_2190 Depth=2
	v_or_b32_e32 v27, 0x7e, v0
; %bb.2215:                             ;   in Loop: Header=BB4_2190 Depth=2
	s_or_b64 exec, exec, s[18:19]
                                        ; implicit-def: $vgpr1
.LBB4_2216:                             ;   in Loop: Header=BB4_2190 Depth=2
	s_andn2_saveexec_b64 s[18:19], s[76:77]
; %bb.2217:                             ;   in Loop: Header=BB4_2190 Depth=2
	v_or_b32_sdwa v27, v1, s50 dst_sel:DWORD dst_unused:UNUSED_PAD src0_sel:BYTE_3 src1_sel:DWORD
; %bb.2218:                             ;   in Loop: Header=BB4_2190 Depth=2
	s_or_b64 exec, exec, s[18:19]
	v_lshrrev_b16_e32 v30, 8, v22
	v_cmp_ne_u16_e32 vcc, 0, v30
	v_mov_b32_e32 v0, 0
	v_mov_b32_e32 v1, 0
	s_and_saveexec_b64 s[18:19], vcc
	s_cbranch_execz .LBB4_2224
; %bb.2219:                             ;   in Loop: Header=BB4_2190 Depth=2
	v_cmp_ne_u16_e32 vcc, s49, v30
	v_bfrev_b32_e32 v1, 1
	s_and_saveexec_b64 s[76:77], vcc
	s_cbranch_execz .LBB4_2223
; %bb.2220:                             ;   in Loop: Header=BB4_2190 Depth=2
	v_and_b32_e32 v2, 0x7f, v30
	v_cmp_ne_u32_e32 vcc, s50, v2
	v_mov_b32_e32 v1, 0x7f800001
	s_and_saveexec_b64 s[78:79], vcc
	s_cbranch_execz .LBB4_2222
; %bb.2221:                             ;   in Loop: Header=BB4_2190 Depth=2
	v_and_b32_e32 v4, 7, v30
	v_ffbh_u32_e32 v1, v4
	v_min_u32_e32 v26, 32, v1
	v_subrev_u32_e32 v1, 28, v26
	v_lshrrev_b32_e32 v5, 3, v2
	v_cmp_gt_u32_e32 vcc, 8, v2
	v_lshlrev_b64 v[1:2], v1, v[30:31]
	v_sub_u32_e32 v2, 29, v26
	v_and_b32_e32 v1, 7, v1
	v_cndmask_b32_e32 v2, v5, v2, vcc
	v_cndmask_b32_e32 v1, v4, v1, vcc
	v_lshlrev_b32_e32 v4, 16, v22
	v_lshlrev_b32_e32 v1, 20, v1
	v_and_b32_e32 v4, 0x80000000, v4
	v_lshl_add_u32 v2, v2, 23, v62
	v_or3_b32 v1, v4, v2, v1
.LBB4_2222:                             ;   in Loop: Header=BB4_2190 Depth=2
	s_or_b64 exec, exec, s[78:79]
.LBB4_2223:                             ;   in Loop: Header=BB4_2190 Depth=2
	s_or_b64 exec, exec, s[76:77]
.LBB4_2224:                             ;   in Loop: Header=BB4_2190 Depth=2
	s_or_b64 exec, exec, s[18:19]
	v_lshrrev_b16_e32 v30, 8, v18
	v_cmp_ne_u16_e32 vcc, 0, v30
	s_and_saveexec_b64 s[18:19], vcc
	s_cbranch_execz .LBB4_2230
; %bb.2225:                             ;   in Loop: Header=BB4_2190 Depth=2
	v_cmp_ne_u16_e32 vcc, s49, v30
	v_bfrev_b32_e32 v0, 1
	s_and_saveexec_b64 s[76:77], vcc
	s_cbranch_execz .LBB4_2229
; %bb.2226:                             ;   in Loop: Header=BB4_2190 Depth=2
	v_and_b32_e32 v2, 0x7f, v30
	v_cmp_ne_u32_e32 vcc, s50, v2
	v_mov_b32_e32 v0, 0x7f800001
	s_and_saveexec_b64 s[78:79], vcc
	s_cbranch_execz .LBB4_2228
; %bb.2227:                             ;   in Loop: Header=BB4_2190 Depth=2
	v_and_b32_e32 v0, 7, v30
	v_lshrrev_b32_e32 v26, 3, v2
	v_cmp_gt_u32_e32 vcc, 8, v2
	v_ffbh_u32_e32 v2, v0
	v_min_u32_e32 v2, 32, v2
	v_subrev_u32_e32 v4, 28, v2
	v_lshlrev_b64 v[4:5], v4, v[30:31]
	v_sub_u32_e32 v2, 29, v2
	v_and_b32_e32 v4, 7, v4
	v_cndmask_b32_e32 v2, v26, v2, vcc
	v_cndmask_b32_e32 v0, v0, v4, vcc
	v_lshlrev_b32_e32 v4, 16, v18
	v_lshlrev_b32_e32 v0, 20, v0
	v_and_b32_e32 v4, 0x80000000, v4
	v_lshl_add_u32 v2, v2, 23, v62
	v_or3_b32 v0, v4, v2, v0
.LBB4_2228:                             ;   in Loop: Header=BB4_2190 Depth=2
	s_or_b64 exec, exec, s[78:79]
.LBB4_2229:                             ;   in Loop: Header=BB4_2190 Depth=2
	s_or_b64 exec, exec, s[76:77]
.LBB4_2230:                             ;   in Loop: Header=BB4_2190 Depth=2
	s_or_b64 exec, exec, s[18:19]
	v_add_f32_e32 v1, v1, v0
	v_and_b32_e32 v50, 0x7f800000, v1
	v_cmp_ne_u64_e32 vcc, s[46:47], v[50:51]
                                        ; implicit-def: $vgpr0
                                        ; kill: killed $vgpr0
	s_and_saveexec_b64 s[18:19], vcc
	s_xor_b64 s[76:77], exec, s[18:19]
	s_cbranch_execz .LBB4_2244
; %bb.2231:                             ;   in Loop: Header=BB4_2190 Depth=2
	v_and_b32_e32 v50, 0x7fffffff, v1
	v_cmp_gt_u64_e32 vcc, s[56:57], v[50:51]
	v_and_b32_sdwa v0, v1, s49 dst_sel:DWORD dst_unused:UNUSED_PAD src0_sel:BYTE_3 src1_sel:DWORD
                                        ; implicit-def: $vgpr2
                                        ; kill: killed $vgpr2
	s_and_saveexec_b64 s[18:19], vcc
	s_xor_b64 s[78:79], exec, s[18:19]
	s_cbranch_execz .LBB4_2241
; %bb.2232:                             ;   in Loop: Header=BB4_2190 Depth=2
	v_mov_b32_e32 v2, 0
	v_cmp_ne_u32_e32 vcc, 0, v1
	buffer_store_dword v2, off, s[0:3], s33 offset:72 ; 4-byte Folded Spill
	s_and_saveexec_b64 s[88:89], vcc
	s_cbranch_execz .LBB4_2240
; %bb.2233:                             ;   in Loop: Header=BB4_2190 Depth=2
	v_and_b32_e32 v4, 0x7fffff, v1
	v_bfe_u32 v1, v1, 23, 8
	v_cmp_gt_u32_e64 s[18:19], s51, v1
	v_sub_u32_e32 v2, 0x79, v1
	v_cmp_eq_u32_e32 vcc, 0, v1
	v_cndmask_b32_e64 v2, 0, v2, s[18:19]
	v_or_b32_e32 v5, 0x800000, v4
	v_cndmask_b32_e32 v2, v2, v49, vcc
	v_cndmask_b32_e32 v50, v5, v4, vcc
	v_add_u32_e32 v4, 20, v2
	v_lshlrev_b64 v[4:5], v4, -1
	v_add_u32_e32 v26, 19, v2
	v_mov_b32_e32 v28, v27
	v_lshlrev_b64 v[26:27], v26, 1
	v_lshrrev_b64 v[57:58], v2, v[50:51]
	v_bfi_b32 v5, v5, 0, 0
	v_bfi_b32 v4, v4, 0, v50
	v_cmp_eq_u64_e64 s[18:19], v[4:5], v[26:27]
	v_mov_b32_e32 v59, v58
	v_mov_b32_e32 v58, v57
	s_and_saveexec_b64 s[90:91], s[18:19]
; %bb.2234:                             ;   in Loop: Header=BB4_2190 Depth=2
	v_bfe_u32 v4, v57, 20, 1
	v_add_co_u32_e64 v4, s[18:19], v57, v4
	v_add_co_u32_e64 v58, s[18:19], -1, v4
; %bb.2235:                             ;   in Loop: Header=BB4_2190 Depth=2
	s_or_b64 exec, exec, s[90:91]
	v_add_u32_e32 v1, 0xffffff81, v1
	v_mov_b32_e32 v4, 0xffffff82
	v_cndmask_b32_e32 v1, v1, v4, vcc
	v_lshrrev_b32_e32 v4, 23, v57
	v_add3_u32 v4, v2, v1, v4
	v_add_u32_e32 v2, 6, v4
	v_and_b32_e32 v1, 0xfffff, v58
	v_add_u32_e32 v50, v1, v57
	v_cmp_ne_u32_e32 vcc, 0, v2
                                        ; implicit-def: $vgpr57_vgpr58
                                        ; implicit-def: $vgpr1
	s_and_saveexec_b64 s[18:19], vcc
	s_xor_b64 s[18:19], exec, s[18:19]
; %bb.2236:                             ;   in Loop: Header=BB4_2190 Depth=2
	v_cmp_lt_u64_e32 vcc, s[58:59], v[50:51]
	v_add_u32_e32 v1, 7, v4
	v_cndmask_b32_e32 v1, v2, v1, vcc
	v_cndmask_b32_e64 v2, 0, 1, vcc
	v_lshrrev_b64 v[57:58], v2, v[50:51]
; %bb.2237:                             ;   in Loop: Header=BB4_2190 Depth=2
	s_or_saveexec_b64 s[18:19], s[18:19]
	v_mov_b32_e32 v27, v28
	s_xor_b64 exec, exec, s[18:19]
; %bb.2238:                             ;   in Loop: Header=BB4_2190 Depth=2
	v_mov_b32_e32 v58, v51
	v_bfe_u32 v1, v50, 23, 1
	v_mov_b32_e32 v57, v50
; %bb.2239:                             ;   in Loop: Header=BB4_2190 Depth=2
	s_or_b64 exec, exec, s[18:19]
	v_lshrrev_b64 v[4:5], 20, v[57:58]
	v_cmp_gt_i32_e32 vcc, 16, v1
	v_cndmask_b32_e32 v5, 0, v5, vcc
	v_cndmask_b32_e32 v4, 7, v4, vcc
	v_cmp_eq_u32_e32 vcc, 0, v1
	v_min_i32_e32 v1, 15, v1
	v_cmp_eq_u64_e64 s[18:19], 0, v[4:5]
	v_lshlrev_b32_e32 v1, 3, v1
	v_and_b32_e32 v1, 0xf8, v1
	v_and_or_b32 v1, v4, 7, v1
	s_and_b64 s[18:19], vcc, s[18:19]
	v_cndmask_b32_e64 v1, v1, 0, s[18:19]
	v_or_b32_e32 v0, v1, v0
	buffer_store_dword v0, off, s[0:3], s33 offset:72 ; 4-byte Folded Spill
.LBB4_2240:                             ;   in Loop: Header=BB4_2190 Depth=2
	s_or_b64 exec, exec, s[88:89]
                                        ; implicit-def: $vgpr0
.LBB4_2241:                             ;   in Loop: Header=BB4_2190 Depth=2
	s_andn2_saveexec_b64 s[18:19], s[78:79]
	s_cbranch_execz .LBB4_2243
; %bb.2242:                             ;   in Loop: Header=BB4_2190 Depth=2
	v_or_b32_e32 v0, 0x7e, v0
	buffer_store_dword v0, off, s[0:3], s33 offset:72 ; 4-byte Folded Spill
.LBB4_2243:                             ;   in Loop: Header=BB4_2190 Depth=2
	s_or_b64 exec, exec, s[18:19]
                                        ; implicit-def: $vgpr1
.LBB4_2244:                             ;   in Loop: Header=BB4_2190 Depth=2
	s_andn2_saveexec_b64 s[18:19], s[76:77]
	s_cbranch_execz .LBB4_2246
; %bb.2245:                             ;   in Loop: Header=BB4_2190 Depth=2
	v_or_b32_sdwa v0, v1, s50 dst_sel:DWORD dst_unused:UNUSED_PAD src0_sel:BYTE_3 src1_sel:DWORD
	buffer_store_dword v0, off, s[0:3], s33 offset:72 ; 4-byte Folded Spill
.LBB4_2246:                             ;   in Loop: Header=BB4_2190 Depth=2
	s_or_b64 exec, exec, s[18:19]
	v_lshrrev_b32_e32 v30, 16, v22
	v_cmp_ne_u16_sdwa s[76:77], v30, v51 src0_sel:BYTE_0 src1_sel:DWORD
	v_mov_b32_e32 v0, 0
	v_mov_b32_e32 v1, 0
	s_and_saveexec_b64 s[18:19], s[76:77]
	s_cbranch_execz .LBB4_2252
; %bb.2247:                             ;   in Loop: Header=BB4_2190 Depth=2
	v_cmp_ne_u16_sdwa s[78:79], v30, s49 src0_sel:BYTE_0 src1_sel:DWORD
	v_bfrev_b32_e32 v1, 1
	s_and_saveexec_b64 s[76:77], s[78:79]
	s_cbranch_execz .LBB4_2251
; %bb.2248:                             ;   in Loop: Header=BB4_2190 Depth=2
	v_bfe_u32 v2, v22, 16, 7
	v_cmp_ne_u32_e32 vcc, s50, v2
	v_mov_b32_e32 v1, 0x7f800001
	s_and_saveexec_b64 s[78:79], vcc
	s_cbranch_execz .LBB4_2250
; %bb.2249:                             ;   in Loop: Header=BB4_2190 Depth=2
	v_and_b32_e32 v4, 7, v30
	v_ffbh_u32_e32 v1, v4
	v_min_u32_e32 v26, 32, v1
	v_subrev_u32_e32 v1, 28, v26
	v_lshrrev_b32_e32 v5, 3, v2
	v_cmp_gt_u32_e32 vcc, 8, v2
	v_lshlrev_b64 v[1:2], v1, v[30:31]
	v_sub_u32_e32 v2, 29, v26
	v_and_b32_e32 v1, 7, v1
	v_cndmask_b32_e32 v2, v5, v2, vcc
	v_cndmask_b32_e32 v1, v4, v1, vcc
	v_lshlrev_b32_e32 v4, 24, v30
	v_lshlrev_b32_e32 v1, 20, v1
	v_and_b32_e32 v4, 0x80000000, v4
	v_lshl_add_u32 v2, v2, 23, v62
	v_or3_b32 v1, v4, v2, v1
.LBB4_2250:                             ;   in Loop: Header=BB4_2190 Depth=2
	s_or_b64 exec, exec, s[78:79]
.LBB4_2251:                             ;   in Loop: Header=BB4_2190 Depth=2
	s_or_b64 exec, exec, s[76:77]
.LBB4_2252:                             ;   in Loop: Header=BB4_2190 Depth=2
	s_or_b64 exec, exec, s[18:19]
	v_lshrrev_b32_e32 v30, 16, v18
	v_cmp_ne_u16_sdwa s[76:77], v30, v51 src0_sel:BYTE_0 src1_sel:DWORD
	s_and_saveexec_b64 s[18:19], s[76:77]
	s_cbranch_execz .LBB4_2258
; %bb.2253:                             ;   in Loop: Header=BB4_2190 Depth=2
	v_cmp_ne_u16_sdwa s[78:79], v30, s49 src0_sel:BYTE_0 src1_sel:DWORD
	v_bfrev_b32_e32 v0, 1
	s_and_saveexec_b64 s[76:77], s[78:79]
	s_cbranch_execz .LBB4_2257
; %bb.2254:                             ;   in Loop: Header=BB4_2190 Depth=2
	v_bfe_u32 v2, v18, 16, 7
	v_cmp_ne_u32_e32 vcc, s50, v2
	v_mov_b32_e32 v0, 0x7f800001
	s_and_saveexec_b64 s[78:79], vcc
	s_cbranch_execz .LBB4_2256
; %bb.2255:                             ;   in Loop: Header=BB4_2190 Depth=2
	v_and_b32_e32 v0, 7, v30
	v_lshrrev_b32_e32 v26, 3, v2
	v_cmp_gt_u32_e32 vcc, 8, v2
	v_ffbh_u32_e32 v2, v0
	v_min_u32_e32 v2, 32, v2
	v_subrev_u32_e32 v4, 28, v2
	v_lshlrev_b64 v[4:5], v4, v[30:31]
	v_sub_u32_e32 v2, 29, v2
	v_and_b32_e32 v4, 7, v4
	v_cndmask_b32_e32 v2, v26, v2, vcc
	v_cndmask_b32_e32 v0, v0, v4, vcc
	v_lshlrev_b32_e32 v4, 8, v18
	v_lshlrev_b32_e32 v0, 20, v0
	v_and_b32_e32 v4, 0x80000000, v4
	v_lshl_add_u32 v2, v2, 23, v62
	v_or3_b32 v0, v4, v2, v0
.LBB4_2256:                             ;   in Loop: Header=BB4_2190 Depth=2
	s_or_b64 exec, exec, s[78:79]
.LBB4_2257:                             ;   in Loop: Header=BB4_2190 Depth=2
	s_or_b64 exec, exec, s[76:77]
.LBB4_2258:                             ;   in Loop: Header=BB4_2190 Depth=2
	s_or_b64 exec, exec, s[18:19]
	v_add_f32_e32 v1, v1, v0
	v_and_b32_e32 v50, 0x7f800000, v1
	v_cmp_ne_u64_e32 vcc, s[46:47], v[50:51]
                                        ; implicit-def: $vgpr0
                                        ; kill: killed $vgpr0
	s_and_saveexec_b64 s[18:19], vcc
	s_xor_b64 s[76:77], exec, s[18:19]
	s_cbranch_execz .LBB4_2272
; %bb.2259:                             ;   in Loop: Header=BB4_2190 Depth=2
	v_and_b32_e32 v50, 0x7fffffff, v1
	v_cmp_gt_u64_e32 vcc, s[56:57], v[50:51]
	v_and_b32_sdwa v0, v1, s49 dst_sel:DWORD dst_unused:UNUSED_PAD src0_sel:BYTE_3 src1_sel:DWORD
                                        ; implicit-def: $vgpr2
                                        ; kill: killed $vgpr2
	s_and_saveexec_b64 s[18:19], vcc
	s_xor_b64 s[78:79], exec, s[18:19]
	s_cbranch_execz .LBB4_2269
; %bb.2260:                             ;   in Loop: Header=BB4_2190 Depth=2
	v_mov_b32_e32 v2, 0
	v_cmp_ne_u32_e32 vcc, 0, v1
	buffer_store_dword v2, off, s[0:3], s33 offset:76 ; 4-byte Folded Spill
	s_and_saveexec_b64 s[88:89], vcc
	s_cbranch_execz .LBB4_2268
; %bb.2261:                             ;   in Loop: Header=BB4_2190 Depth=2
	v_and_b32_e32 v4, 0x7fffff, v1
	v_bfe_u32 v1, v1, 23, 8
	v_cmp_gt_u32_e64 s[18:19], s51, v1
	v_sub_u32_e32 v2, 0x79, v1
	v_cmp_eq_u32_e32 vcc, 0, v1
	v_cndmask_b32_e64 v2, 0, v2, s[18:19]
	v_or_b32_e32 v5, 0x800000, v4
	v_cndmask_b32_e32 v2, v2, v49, vcc
	v_cndmask_b32_e32 v50, v5, v4, vcc
	v_add_u32_e32 v4, 20, v2
	v_lshlrev_b64 v[4:5], v4, -1
	v_add_u32_e32 v26, 19, v2
	v_mov_b32_e32 v28, v27
	v_lshlrev_b64 v[26:27], v26, 1
	v_lshrrev_b64 v[57:58], v2, v[50:51]
	v_bfi_b32 v5, v5, 0, 0
	v_bfi_b32 v4, v4, 0, v50
	v_cmp_eq_u64_e64 s[18:19], v[4:5], v[26:27]
	v_mov_b32_e32 v59, v58
	v_mov_b32_e32 v58, v57
	s_and_saveexec_b64 s[90:91], s[18:19]
; %bb.2262:                             ;   in Loop: Header=BB4_2190 Depth=2
	v_bfe_u32 v4, v57, 20, 1
	v_add_co_u32_e64 v4, s[18:19], v57, v4
	v_add_co_u32_e64 v58, s[18:19], -1, v4
; %bb.2263:                             ;   in Loop: Header=BB4_2190 Depth=2
	s_or_b64 exec, exec, s[90:91]
	v_add_u32_e32 v1, 0xffffff81, v1
	v_mov_b32_e32 v4, 0xffffff82
	v_cndmask_b32_e32 v1, v1, v4, vcc
	v_lshrrev_b32_e32 v4, 23, v57
	v_add3_u32 v4, v2, v1, v4
	v_add_u32_e32 v2, 6, v4
	v_and_b32_e32 v1, 0xfffff, v58
	v_add_u32_e32 v50, v1, v57
	v_cmp_ne_u32_e32 vcc, 0, v2
                                        ; implicit-def: $vgpr57_vgpr58
                                        ; implicit-def: $vgpr1
	s_and_saveexec_b64 s[18:19], vcc
	s_xor_b64 s[18:19], exec, s[18:19]
; %bb.2264:                             ;   in Loop: Header=BB4_2190 Depth=2
	v_cmp_lt_u64_e32 vcc, s[58:59], v[50:51]
	v_add_u32_e32 v1, 7, v4
	v_cndmask_b32_e32 v1, v2, v1, vcc
	v_cndmask_b32_e64 v2, 0, 1, vcc
	v_lshrrev_b64 v[57:58], v2, v[50:51]
; %bb.2265:                             ;   in Loop: Header=BB4_2190 Depth=2
	s_or_saveexec_b64 s[18:19], s[18:19]
	v_mov_b32_e32 v27, v28
	s_xor_b64 exec, exec, s[18:19]
; %bb.2266:                             ;   in Loop: Header=BB4_2190 Depth=2
	v_mov_b32_e32 v58, v51
	v_bfe_u32 v1, v50, 23, 1
	v_mov_b32_e32 v57, v50
; %bb.2267:                             ;   in Loop: Header=BB4_2190 Depth=2
	s_or_b64 exec, exec, s[18:19]
	v_lshrrev_b64 v[4:5], 20, v[57:58]
	v_cmp_gt_i32_e32 vcc, 16, v1
	v_cndmask_b32_e32 v5, 0, v5, vcc
	v_cndmask_b32_e32 v4, 7, v4, vcc
	v_cmp_eq_u32_e32 vcc, 0, v1
	v_min_i32_e32 v1, 15, v1
	v_cmp_eq_u64_e64 s[18:19], 0, v[4:5]
	v_lshlrev_b32_e32 v1, 3, v1
	v_and_b32_e32 v1, 0xf8, v1
	v_and_or_b32 v1, v4, 7, v1
	s_and_b64 s[18:19], vcc, s[18:19]
	v_cndmask_b32_e64 v1, v1, 0, s[18:19]
	v_or_b32_e32 v0, v1, v0
	buffer_store_dword v0, off, s[0:3], s33 offset:76 ; 4-byte Folded Spill
.LBB4_2268:                             ;   in Loop: Header=BB4_2190 Depth=2
	s_or_b64 exec, exec, s[88:89]
                                        ; implicit-def: $vgpr0
.LBB4_2269:                             ;   in Loop: Header=BB4_2190 Depth=2
	s_andn2_saveexec_b64 s[18:19], s[78:79]
	s_cbranch_execz .LBB4_2271
; %bb.2270:                             ;   in Loop: Header=BB4_2190 Depth=2
	v_or_b32_e32 v0, 0x7e, v0
	buffer_store_dword v0, off, s[0:3], s33 offset:76 ; 4-byte Folded Spill
.LBB4_2271:                             ;   in Loop: Header=BB4_2190 Depth=2
	s_or_b64 exec, exec, s[18:19]
                                        ; implicit-def: $vgpr1
.LBB4_2272:                             ;   in Loop: Header=BB4_2190 Depth=2
	s_andn2_saveexec_b64 s[18:19], s[76:77]
	s_cbranch_execz .LBB4_2274
; %bb.2273:                             ;   in Loop: Header=BB4_2190 Depth=2
	v_or_b32_sdwa v0, v1, s50 dst_sel:DWORD dst_unused:UNUSED_PAD src0_sel:BYTE_3 src1_sel:DWORD
	buffer_store_dword v0, off, s[0:3], s33 offset:76 ; 4-byte Folded Spill
.LBB4_2274:                             ;   in Loop: Header=BB4_2190 Depth=2
	s_or_b64 exec, exec, s[18:19]
	v_cmp_lt_u32_e32 vcc, s61, v22
	v_mov_b32_e32 v0, 0
	v_mov_b32_e32 v1, 0
	s_and_saveexec_b64 s[18:19], vcc
	s_cbranch_execz .LBB4_2280
; %bb.2275:                             ;   in Loop: Header=BB4_2190 Depth=2
	v_lshrrev_b32_e32 v30, 24, v22
	v_cmp_ne_u32_e32 vcc, s49, v30
	v_bfrev_b32_e32 v1, 1
	s_and_saveexec_b64 s[76:77], vcc
	s_cbranch_execz .LBB4_2279
; %bb.2276:                             ;   in Loop: Header=BB4_2190 Depth=2
	v_bfe_u32 v2, v22, 24, 7
	v_cmp_ne_u32_e32 vcc, s50, v2
	v_mov_b32_e32 v1, 0x7f800001
	s_and_saveexec_b64 s[78:79], vcc
	s_cbranch_execz .LBB4_2278
; %bb.2277:                             ;   in Loop: Header=BB4_2190 Depth=2
	v_and_b32_e32 v4, 7, v30
	v_ffbh_u32_e32 v1, v4
	v_min_u32_e32 v26, 32, v1
	v_subrev_u32_e32 v1, 28, v26
	v_lshrrev_b32_e32 v5, 3, v2
	v_cmp_gt_u32_e32 vcc, 8, v2
	v_lshlrev_b64 v[1:2], v1, v[30:31]
	v_sub_u32_e32 v2, 29, v26
	v_and_b32_e32 v1, 7, v1
	v_cndmask_b32_e32 v2, v5, v2, vcc
	v_cndmask_b32_e32 v1, v4, v1, vcc
	v_lshlrev_b32_e32 v4, 24, v30
	v_lshlrev_b32_e32 v1, 20, v1
	v_and_b32_e32 v4, 0x80000000, v4
	v_lshl_add_u32 v2, v2, 23, v62
	v_or3_b32 v1, v4, v2, v1
.LBB4_2278:                             ;   in Loop: Header=BB4_2190 Depth=2
	s_or_b64 exec, exec, s[78:79]
.LBB4_2279:                             ;   in Loop: Header=BB4_2190 Depth=2
	s_or_b64 exec, exec, s[76:77]
.LBB4_2280:                             ;   in Loop: Header=BB4_2190 Depth=2
	s_or_b64 exec, exec, s[18:19]
	v_cmp_lt_u32_e32 vcc, s61, v18
	s_and_saveexec_b64 s[18:19], vcc
	s_cbranch_execz .LBB4_2286
; %bb.2281:                             ;   in Loop: Header=BB4_2190 Depth=2
	v_lshrrev_b32_e32 v30, 24, v18
	v_cmp_ne_u32_e32 vcc, s49, v30
	v_bfrev_b32_e32 v0, 1
	s_and_saveexec_b64 s[76:77], vcc
	s_cbranch_execz .LBB4_2285
; %bb.2282:                             ;   in Loop: Header=BB4_2190 Depth=2
	v_bfe_u32 v2, v18, 24, 7
	v_cmp_ne_u32_e32 vcc, s50, v2
	v_mov_b32_e32 v0, 0x7f800001
	s_and_saveexec_b64 s[78:79], vcc
	s_cbranch_execz .LBB4_2284
; %bb.2283:                             ;   in Loop: Header=BB4_2190 Depth=2
	v_and_b32_e32 v0, 7, v30
	v_lshrrev_b32_e32 v26, 3, v2
	v_cmp_gt_u32_e32 vcc, 8, v2
	v_ffbh_u32_e32 v2, v0
	v_min_u32_e32 v2, 32, v2
	v_subrev_u32_e32 v4, 28, v2
	v_lshlrev_b64 v[4:5], v4, v[30:31]
	v_sub_u32_e32 v2, 29, v2
	v_and_b32_e32 v4, 7, v4
	v_cndmask_b32_e32 v2, v26, v2, vcc
	v_cndmask_b32_e32 v0, v0, v4, vcc
	v_lshlrev_b32_e32 v4, 24, v30
	v_lshlrev_b32_e32 v0, 20, v0
	v_and_b32_e32 v4, 0x80000000, v4
	v_lshl_add_u32 v2, v2, 23, v62
	v_or3_b32 v0, v4, v2, v0
.LBB4_2284:                             ;   in Loop: Header=BB4_2190 Depth=2
	s_or_b64 exec, exec, s[78:79]
.LBB4_2285:                             ;   in Loop: Header=BB4_2190 Depth=2
	s_or_b64 exec, exec, s[76:77]
.LBB4_2286:                             ;   in Loop: Header=BB4_2190 Depth=2
	s_or_b64 exec, exec, s[18:19]
	v_add_f32_e32 v1, v1, v0
	v_and_b32_e32 v50, 0x7f800000, v1
	v_cmp_ne_u64_e32 vcc, s[46:47], v[50:51]
                                        ; implicit-def: $vgpr61
	s_and_saveexec_b64 s[18:19], vcc
	s_xor_b64 s[76:77], exec, s[18:19]
	s_cbranch_execz .LBB4_2300
; %bb.2287:                             ;   in Loop: Header=BB4_2190 Depth=2
	v_and_b32_e32 v50, 0x7fffffff, v1
	v_cmp_gt_u64_e32 vcc, s[56:57], v[50:51]
	v_and_b32_sdwa v0, v1, s49 dst_sel:DWORD dst_unused:UNUSED_PAD src0_sel:BYTE_3 src1_sel:DWORD
                                        ; implicit-def: $vgpr61
	s_and_saveexec_b64 s[18:19], vcc
	s_xor_b64 s[78:79], exec, s[18:19]
	s_cbranch_execz .LBB4_2297
; %bb.2288:                             ;   in Loop: Header=BB4_2190 Depth=2
	v_mov_b32_e32 v61, 0
	v_cmp_ne_u32_e32 vcc, 0, v1
	s_and_saveexec_b64 s[88:89], vcc
	s_cbranch_execz .LBB4_2296
; %bb.2289:                             ;   in Loop: Header=BB4_2190 Depth=2
	v_and_b32_e32 v4, 0x7fffff, v1
	v_bfe_u32 v1, v1, 23, 8
	v_cmp_gt_u32_e64 s[18:19], s51, v1
	v_sub_u32_e32 v2, 0x79, v1
	v_cmp_eq_u32_e32 vcc, 0, v1
	v_cndmask_b32_e64 v2, 0, v2, s[18:19]
	v_or_b32_e32 v5, 0x800000, v4
	v_cndmask_b32_e32 v2, v2, v49, vcc
	v_cndmask_b32_e32 v50, v5, v4, vcc
	v_add_u32_e32 v4, 20, v2
	v_lshlrev_b64 v[4:5], v4, -1
	v_add_u32_e32 v26, 19, v2
	v_lshlrev_b64 v[28:29], v26, 1
	v_lshrrev_b64 v[57:58], v2, v[50:51]
	v_bfi_b32 v5, v5, 0, 0
	v_bfi_b32 v4, v4, 0, v50
	v_cmp_eq_u64_e64 s[18:19], v[4:5], v[28:29]
	v_mov_b32_e32 v59, v58
	v_mov_b32_e32 v58, v57
	s_and_saveexec_b64 s[90:91], s[18:19]
; %bb.2290:                             ;   in Loop: Header=BB4_2190 Depth=2
	v_bfe_u32 v4, v57, 20, 1
	v_add_co_u32_e64 v4, s[18:19], v57, v4
	v_add_co_u32_e64 v58, s[18:19], -1, v4
; %bb.2291:                             ;   in Loop: Header=BB4_2190 Depth=2
	s_or_b64 exec, exec, s[90:91]
	v_add_u32_e32 v1, 0xffffff81, v1
	v_mov_b32_e32 v4, 0xffffff82
	v_cndmask_b32_e32 v1, v1, v4, vcc
	v_lshrrev_b32_e32 v4, 23, v57
	v_add3_u32 v4, v2, v1, v4
	v_add_u32_e32 v2, 6, v4
	v_and_b32_e32 v1, 0xfffff, v58
	v_add_u32_e32 v50, v1, v57
	v_cmp_ne_u32_e32 vcc, 0, v2
                                        ; implicit-def: $vgpr57_vgpr58
                                        ; implicit-def: $vgpr1
	s_and_saveexec_b64 s[18:19], vcc
	s_xor_b64 s[18:19], exec, s[18:19]
; %bb.2292:                             ;   in Loop: Header=BB4_2190 Depth=2
	v_cmp_lt_u64_e32 vcc, s[58:59], v[50:51]
	v_add_u32_e32 v1, 7, v4
	v_cndmask_b32_e32 v1, v2, v1, vcc
	v_cndmask_b32_e64 v2, 0, 1, vcc
	v_lshrrev_b64 v[57:58], v2, v[50:51]
; %bb.2293:                             ;   in Loop: Header=BB4_2190 Depth=2
	s_andn2_saveexec_b64 s[18:19], s[18:19]
; %bb.2294:                             ;   in Loop: Header=BB4_2190 Depth=2
	v_mov_b32_e32 v58, v51
	v_bfe_u32 v1, v50, 23, 1
	v_mov_b32_e32 v57, v50
; %bb.2295:                             ;   in Loop: Header=BB4_2190 Depth=2
	s_or_b64 exec, exec, s[18:19]
	v_lshrrev_b64 v[4:5], 20, v[57:58]
	v_cmp_gt_i32_e32 vcc, 16, v1
	v_cndmask_b32_e32 v5, 0, v5, vcc
	v_cndmask_b32_e32 v4, 7, v4, vcc
	v_cmp_eq_u32_e32 vcc, 0, v1
	v_min_i32_e32 v1, 15, v1
	v_cmp_eq_u64_e64 s[18:19], 0, v[4:5]
	v_lshlrev_b32_e32 v1, 3, v1
	v_and_b32_e32 v1, 0xf8, v1
	v_and_or_b32 v1, v4, 7, v1
	s_and_b64 s[18:19], vcc, s[18:19]
	v_cndmask_b32_e64 v1, v1, 0, s[18:19]
	v_or_b32_e32 v61, v1, v0
.LBB4_2296:                             ;   in Loop: Header=BB4_2190 Depth=2
	s_or_b64 exec, exec, s[88:89]
                                        ; implicit-def: $vgpr0
.LBB4_2297:                             ;   in Loop: Header=BB4_2190 Depth=2
	s_andn2_saveexec_b64 s[18:19], s[78:79]
; %bb.2298:                             ;   in Loop: Header=BB4_2190 Depth=2
	v_or_b32_e32 v61, 0x7e, v0
; %bb.2299:                             ;   in Loop: Header=BB4_2190 Depth=2
	s_or_b64 exec, exec, s[18:19]
                                        ; implicit-def: $vgpr1
.LBB4_2300:                             ;   in Loop: Header=BB4_2190 Depth=2
	s_andn2_saveexec_b64 s[18:19], s[76:77]
; %bb.2301:                             ;   in Loop: Header=BB4_2190 Depth=2
	v_or_b32_sdwa v61, v1, s50 dst_sel:DWORD dst_unused:UNUSED_PAD src0_sel:BYTE_3 src1_sel:DWORD
; %bb.2302:                             ;   in Loop: Header=BB4_2190 Depth=2
	s_or_b64 exec, exec, s[18:19]
	v_mov_b32_e32 v50, v23
	v_cmp_ne_u16_sdwa s[76:77], v23, v51 src0_sel:BYTE_0 src1_sel:DWORD
	v_mov_b32_e32 v1, 0
	v_mov_b32_e32 v0, 0
	s_and_saveexec_b64 s[18:19], s[76:77]
	s_cbranch_execz .LBB4_2308
; %bb.2303:                             ;   in Loop: Header=BB4_2190 Depth=2
	v_cmp_ne_u16_sdwa s[78:79], v23, s49 src0_sel:BYTE_0 src1_sel:DWORD
	v_bfrev_b32_e32 v0, 1
	s_and_saveexec_b64 s[76:77], s[78:79]
	s_cbranch_execz .LBB4_2307
; %bb.2304:                             ;   in Loop: Header=BB4_2190 Depth=2
	v_and_b32_e32 v2, 0x7f, v23
	v_cmp_ne_u32_e32 vcc, s50, v2
	v_mov_b32_e32 v0, 0x7f800001
	s_and_saveexec_b64 s[78:79], vcc
	s_cbranch_execz .LBB4_2306
; %bb.2305:                             ;   in Loop: Header=BB4_2190 Depth=2
	v_and_b32_e32 v0, 7, v23
	v_ffbh_u32_e32 v0, v0
	v_min_u32_e32 v0, 32, v0
	v_lshrrev_b32_e32 v4, 3, v2
	v_cmp_gt_u32_e32 vcc, 8, v2
	v_subrev_u32_e32 v2, 28, v0
	v_sub_u32_e32 v0, 29, v0
	v_cndmask_b32_e32 v2, 0, v2, vcc
	v_cndmask_b32_e32 v0, v4, v0, vcc
	v_lshlrev_b64 v[4:5], v2, v[50:51]
	v_lshl_add_u32 v0, v0, 23, v62
	v_lshlrev_b32_e32 v2, 20, v4
	v_lshlrev_b32_e32 v4, 24, v50
	v_and_b32_e32 v2, 0x700000, v2
	v_and_b32_e32 v4, 0x80000000, v4
	v_or3_b32 v0, v4, v0, v2
.LBB4_2306:                             ;   in Loop: Header=BB4_2190 Depth=2
	s_or_b64 exec, exec, s[78:79]
.LBB4_2307:                             ;   in Loop: Header=BB4_2190 Depth=2
	s_or_b64 exec, exec, s[76:77]
.LBB4_2308:                             ;   in Loop: Header=BB4_2190 Depth=2
	s_or_b64 exec, exec, s[18:19]
	v_cmp_ne_u16_sdwa s[76:77], v19, v51 src0_sel:BYTE_0 src1_sel:DWORD
	s_and_saveexec_b64 s[18:19], s[76:77]
	s_cbranch_execz .LBB4_2314
; %bb.2309:                             ;   in Loop: Header=BB4_2190 Depth=2
	v_cmp_ne_u16_sdwa s[78:79], v19, s49 src0_sel:BYTE_0 src1_sel:DWORD
	v_bfrev_b32_e32 v1, 1
	s_and_saveexec_b64 s[76:77], s[78:79]
	s_cbranch_execz .LBB4_2313
; %bb.2310:                             ;   in Loop: Header=BB4_2190 Depth=2
	v_and_b32_e32 v2, 0x7f, v19
	v_cmp_ne_u32_e32 vcc, s50, v2
	v_mov_b32_e32 v1, 0x7f800001
	s_and_saveexec_b64 s[78:79], vcc
	s_cbranch_execz .LBB4_2312
; %bb.2311:                             ;   in Loop: Header=BB4_2190 Depth=2
	v_and_b32_e32 v1, 7, v19
	v_ffbh_u32_e32 v1, v1
	v_min_u32_e32 v1, 32, v1
	v_lshrrev_b32_e32 v26, 3, v2
	v_cmp_gt_u32_e32 vcc, 8, v2
	v_subrev_u32_e32 v2, 28, v1
	v_sub_u32_e32 v1, 29, v1
	v_mov_b32_e32 v4, v19
	v_mov_b32_e32 v5, v51
	v_cndmask_b32_e32 v26, v26, v1, vcc
	v_cndmask_b32_e32 v1, 0, v2, vcc
	v_lshlrev_b64 v[1:2], v1, v[4:5]
	v_lshlrev_b32_e32 v2, 24, v4
	v_lshlrev_b32_e32 v1, 20, v1
	v_and_b32_e32 v1, 0x700000, v1
	v_and_b32_e32 v2, 0x80000000, v2
	v_lshl_add_u32 v4, v26, 23, v62
	v_or3_b32 v1, v2, v4, v1
.LBB4_2312:                             ;   in Loop: Header=BB4_2190 Depth=2
	s_or_b64 exec, exec, s[78:79]
.LBB4_2313:                             ;   in Loop: Header=BB4_2190 Depth=2
	s_or_b64 exec, exec, s[76:77]
.LBB4_2314:                             ;   in Loop: Header=BB4_2190 Depth=2
	s_or_b64 exec, exec, s[18:19]
	v_add_f32_e32 v1, v0, v1
	v_and_b32_e32 v4, 0x7f800000, v1
	v_mov_b32_e32 v5, v51
	v_cmp_ne_u64_e32 vcc, s[46:47], v[4:5]
                                        ; implicit-def: $vgpr31
	s_and_saveexec_b64 s[18:19], vcc
	s_xor_b64 s[76:77], exec, s[18:19]
	s_cbranch_execz .LBB4_2328
; %bb.2315:                             ;   in Loop: Header=BB4_2190 Depth=2
	v_and_b32_e32 v4, 0x7fffffff, v1
	v_mov_b32_e32 v5, v51
	v_cmp_gt_u64_e32 vcc, s[56:57], v[4:5]
	v_and_b32_sdwa v0, v1, s49 dst_sel:DWORD dst_unused:UNUSED_PAD src0_sel:BYTE_3 src1_sel:DWORD
                                        ; implicit-def: $vgpr31
	s_and_saveexec_b64 s[18:19], vcc
	s_xor_b64 s[78:79], exec, s[18:19]
	s_cbranch_execz .LBB4_2325
; %bb.2316:                             ;   in Loop: Header=BB4_2190 Depth=2
	v_mov_b32_e32 v31, 0
	v_cmp_ne_u32_e32 vcc, 0, v1
	s_and_saveexec_b64 s[88:89], vcc
	s_cbranch_execz .LBB4_2324
; %bb.2317:                             ;   in Loop: Header=BB4_2190 Depth=2
	v_and_b32_e32 v4, 0x7fffff, v1
	v_bfe_u32 v1, v1, 23, 8
	v_cmp_gt_u32_e64 s[18:19], s51, v1
	v_sub_u32_e32 v2, 0x79, v1
	v_cmp_eq_u32_e32 vcc, 0, v1
	v_cndmask_b32_e64 v2, 0, v2, s[18:19]
	v_cndmask_b32_e32 v2, v2, v49, vcc
	v_or_b32_e32 v5, 0x800000, v4
	v_add_u32_e32 v26, 20, v2
	v_cndmask_b32_e32 v4, v5, v4, vcc
	v_mov_b32_e32 v5, v51
	v_lshlrev_b64 v[28:29], v26, -1
	v_add_u32_e32 v26, 19, v2
	v_lshlrev_b64 v[30:31], v26, 1
	v_lshrrev_b64 v[57:58], v2, v[4:5]
	v_bfi_b32 v29, v29, 0, 0
	v_bfi_b32 v28, v28, 0, v4
	v_cmp_eq_u64_e64 s[18:19], v[28:29], v[30:31]
	v_mov_b32_e32 v59, v58
	v_mov_b32_e32 v58, v57
	s_and_saveexec_b64 s[90:91], s[18:19]
; %bb.2318:                             ;   in Loop: Header=BB4_2190 Depth=2
	v_bfe_u32 v4, v57, 20, 1
	v_add_co_u32_e64 v4, s[18:19], v57, v4
	v_add_co_u32_e64 v58, s[18:19], -1, v4
; %bb.2319:                             ;   in Loop: Header=BB4_2190 Depth=2
	s_or_b64 exec, exec, s[90:91]
	v_add_u32_e32 v1, 0xffffff81, v1
	v_mov_b32_e32 v4, 0xffffff82
	v_cndmask_b32_e32 v1, v1, v4, vcc
	v_lshrrev_b32_e32 v4, 23, v57
	v_add3_u32 v4, v2, v1, v4
	v_add_u32_e32 v2, 6, v4
	v_and_b32_e32 v1, 0xfffff, v58
	v_add_u32_e32 v57, v1, v57
	v_mov_b32_e32 v58, v51
	v_cmp_ne_u32_e32 vcc, 0, v2
                                        ; implicit-def: $vgpr1
	s_and_saveexec_b64 s[18:19], vcc
	s_xor_b64 s[18:19], exec, s[18:19]
; %bb.2320:                             ;   in Loop: Header=BB4_2190 Depth=2
	v_cmp_lt_u64_e32 vcc, s[58:59], v[57:58]
	v_add_u32_e32 v1, 7, v4
	v_cndmask_b32_e32 v1, v2, v1, vcc
	v_cndmask_b32_e64 v2, 0, 1, vcc
	v_lshrrev_b64 v[57:58], v2, v[57:58]
; %bb.2321:                             ;   in Loop: Header=BB4_2190 Depth=2
	s_andn2_saveexec_b64 s[18:19], s[18:19]
; %bb.2322:                             ;   in Loop: Header=BB4_2190 Depth=2
	v_bfe_u32 v1, v57, 23, 1
; %bb.2323:                             ;   in Loop: Header=BB4_2190 Depth=2
	s_or_b64 exec, exec, s[18:19]
	v_lshrrev_b64 v[4:5], 20, v[57:58]
	v_cmp_gt_i32_e32 vcc, 16, v1
	v_cndmask_b32_e32 v5, 0, v5, vcc
	v_cndmask_b32_e32 v4, 7, v4, vcc
	v_cmp_eq_u32_e32 vcc, 0, v1
	v_min_i32_e32 v1, 15, v1
	v_cmp_eq_u64_e64 s[18:19], 0, v[4:5]
	v_lshlrev_b32_e32 v1, 3, v1
	v_and_b32_e32 v1, 0xf8, v1
	v_and_or_b32 v1, v4, 7, v1
	s_and_b64 s[18:19], vcc, s[18:19]
	v_cndmask_b32_e64 v1, v1, 0, s[18:19]
	v_or_b32_e32 v31, v1, v0
.LBB4_2324:                             ;   in Loop: Header=BB4_2190 Depth=2
	s_or_b64 exec, exec, s[88:89]
                                        ; implicit-def: $vgpr0
.LBB4_2325:                             ;   in Loop: Header=BB4_2190 Depth=2
	s_andn2_saveexec_b64 s[18:19], s[78:79]
; %bb.2326:                             ;   in Loop: Header=BB4_2190 Depth=2
	v_or_b32_e32 v31, 0x7e, v0
; %bb.2327:                             ;   in Loop: Header=BB4_2190 Depth=2
	s_or_b64 exec, exec, s[18:19]
                                        ; implicit-def: $vgpr1
.LBB4_2328:                             ;   in Loop: Header=BB4_2190 Depth=2
	s_andn2_saveexec_b64 s[18:19], s[76:77]
; %bb.2329:                             ;   in Loop: Header=BB4_2190 Depth=2
	v_or_b32_sdwa v31, v1, s50 dst_sel:DWORD dst_unused:UNUSED_PAD src0_sel:BYTE_3 src1_sel:DWORD
; %bb.2330:                             ;   in Loop: Header=BB4_2190 Depth=2
	s_or_b64 exec, exec, s[18:19]
	v_lshrrev_b16_e32 v30, 8, v50
	v_cmp_ne_u16_e32 vcc, 0, v30
	v_mov_b32_e32 v0, 0
	v_mov_b32_e32 v1, 0
	s_and_saveexec_b64 s[18:19], vcc
	s_cbranch_execz .LBB4_2336
; %bb.2331:                             ;   in Loop: Header=BB4_2190 Depth=2
	v_cmp_ne_u16_e32 vcc, s49, v30
	v_bfrev_b32_e32 v1, 1
	s_and_saveexec_b64 s[76:77], vcc
	s_cbranch_execz .LBB4_2335
; %bb.2332:                             ;   in Loop: Header=BB4_2190 Depth=2
	v_and_b32_e32 v2, 0x7f, v30
	v_cmp_ne_u32_e32 vcc, s50, v2
	v_mov_b32_e32 v1, 0x7f800001
	s_and_saveexec_b64 s[78:79], vcc
	s_cbranch_execz .LBB4_2334
; %bb.2333:                             ;   in Loop: Header=BB4_2190 Depth=2
	v_and_b32_e32 v4, 7, v30
	v_ffbh_u32_e32 v1, v4
	v_min_u32_e32 v26, 32, v1
	v_subrev_u32_e32 v1, 28, v26
	v_lshrrev_b32_e32 v5, 3, v2
	v_cmp_gt_u32_e32 vcc, 8, v2
	v_lshlrev_b64 v[1:2], v1, v[30:31]
	v_sub_u32_e32 v2, 29, v26
	v_and_b32_e32 v1, 7, v1
	v_cndmask_b32_e32 v2, v5, v2, vcc
	v_cndmask_b32_e32 v1, v4, v1, vcc
	v_lshlrev_b32_e32 v4, 16, v50
	v_lshlrev_b32_e32 v1, 20, v1
	v_and_b32_e32 v4, 0x80000000, v4
	v_lshl_add_u32 v2, v2, 23, v62
	v_or3_b32 v1, v4, v2, v1
.LBB4_2334:                             ;   in Loop: Header=BB4_2190 Depth=2
	s_or_b64 exec, exec, s[78:79]
.LBB4_2335:                             ;   in Loop: Header=BB4_2190 Depth=2
	s_or_b64 exec, exec, s[76:77]
.LBB4_2336:                             ;   in Loop: Header=BB4_2190 Depth=2
	s_or_b64 exec, exec, s[18:19]
	v_lshrrev_b16_e32 v30, 8, v19
	v_cmp_ne_u16_e32 vcc, 0, v30
	s_and_saveexec_b64 s[18:19], vcc
	s_cbranch_execz .LBB4_2342
; %bb.2337:                             ;   in Loop: Header=BB4_2190 Depth=2
	v_cmp_ne_u16_e32 vcc, s49, v30
	v_bfrev_b32_e32 v0, 1
	s_and_saveexec_b64 s[76:77], vcc
	s_cbranch_execz .LBB4_2341
; %bb.2338:                             ;   in Loop: Header=BB4_2190 Depth=2
	v_and_b32_e32 v2, 0x7f, v30
	v_cmp_ne_u32_e32 vcc, s50, v2
	v_mov_b32_e32 v0, 0x7f800001
	s_and_saveexec_b64 s[78:79], vcc
	s_cbranch_execz .LBB4_2340
; %bb.2339:                             ;   in Loop: Header=BB4_2190 Depth=2
	v_and_b32_e32 v0, 7, v30
	v_lshrrev_b32_e32 v26, 3, v2
	v_cmp_gt_u32_e32 vcc, 8, v2
	v_ffbh_u32_e32 v2, v0
	v_min_u32_e32 v2, 32, v2
	v_subrev_u32_e32 v4, 28, v2
	v_lshlrev_b64 v[4:5], v4, v[30:31]
	v_sub_u32_e32 v2, 29, v2
	v_and_b32_e32 v4, 7, v4
	v_cndmask_b32_e32 v2, v26, v2, vcc
	v_cndmask_b32_e32 v0, v0, v4, vcc
	v_lshlrev_b32_e32 v4, 16, v19
	v_lshlrev_b32_e32 v0, 20, v0
	v_and_b32_e32 v4, 0x80000000, v4
	v_lshl_add_u32 v2, v2, 23, v62
	v_or3_b32 v0, v4, v2, v0
.LBB4_2340:                             ;   in Loop: Header=BB4_2190 Depth=2
	s_or_b64 exec, exec, s[78:79]
.LBB4_2341:                             ;   in Loop: Header=BB4_2190 Depth=2
	s_or_b64 exec, exec, s[76:77]
.LBB4_2342:                             ;   in Loop: Header=BB4_2190 Depth=2
	s_or_b64 exec, exec, s[18:19]
	v_add_f32_e32 v1, v1, v0
	v_and_b32_e32 v50, 0x7f800000, v1
	v_cmp_ne_u64_e32 vcc, s[46:47], v[50:51]
                                        ; implicit-def: $vgpr42
	s_and_saveexec_b64 s[18:19], vcc
	s_xor_b64 s[76:77], exec, s[18:19]
	s_cbranch_execz .LBB4_2356
; %bb.2343:                             ;   in Loop: Header=BB4_2190 Depth=2
	v_and_b32_e32 v50, 0x7fffffff, v1
	v_cmp_gt_u64_e32 vcc, s[56:57], v[50:51]
	v_and_b32_sdwa v0, v1, s49 dst_sel:DWORD dst_unused:UNUSED_PAD src0_sel:BYTE_3 src1_sel:DWORD
                                        ; implicit-def: $vgpr42
	s_and_saveexec_b64 s[18:19], vcc
	s_xor_b64 s[78:79], exec, s[18:19]
	s_cbranch_execz .LBB4_2353
; %bb.2344:                             ;   in Loop: Header=BB4_2190 Depth=2
	v_mov_b32_e32 v42, 0
	v_cmp_ne_u32_e32 vcc, 0, v1
	s_and_saveexec_b64 s[88:89], vcc
	s_cbranch_execz .LBB4_2352
; %bb.2345:                             ;   in Loop: Header=BB4_2190 Depth=2
	v_and_b32_e32 v4, 0x7fffff, v1
	v_bfe_u32 v1, v1, 23, 8
	v_cmp_gt_u32_e64 s[18:19], s51, v1
	v_sub_u32_e32 v2, 0x79, v1
	v_cmp_eq_u32_e32 vcc, 0, v1
	v_cndmask_b32_e64 v2, 0, v2, s[18:19]
	v_or_b32_e32 v5, 0x800000, v4
	v_cndmask_b32_e32 v2, v2, v49, vcc
	v_cndmask_b32_e32 v50, v5, v4, vcc
	v_add_u32_e32 v4, 20, v2
	v_lshlrev_b64 v[4:5], v4, -1
	v_add_u32_e32 v26, 19, v2
	v_lshlrev_b64 v[28:29], v26, 1
	v_lshrrev_b64 v[57:58], v2, v[50:51]
	v_bfi_b32 v5, v5, 0, 0
	v_bfi_b32 v4, v4, 0, v50
	v_cmp_eq_u64_e64 s[18:19], v[4:5], v[28:29]
	v_mov_b32_e32 v59, v58
	v_mov_b32_e32 v58, v57
	s_and_saveexec_b64 s[90:91], s[18:19]
; %bb.2346:                             ;   in Loop: Header=BB4_2190 Depth=2
	v_bfe_u32 v4, v57, 20, 1
	v_add_co_u32_e64 v4, s[18:19], v57, v4
	v_add_co_u32_e64 v58, s[18:19], -1, v4
; %bb.2347:                             ;   in Loop: Header=BB4_2190 Depth=2
	s_or_b64 exec, exec, s[90:91]
	v_add_u32_e32 v1, 0xffffff81, v1
	v_mov_b32_e32 v4, 0xffffff82
	v_cndmask_b32_e32 v1, v1, v4, vcc
	v_lshrrev_b32_e32 v4, 23, v57
	v_add3_u32 v4, v2, v1, v4
	v_add_u32_e32 v2, 6, v4
	v_and_b32_e32 v1, 0xfffff, v58
	v_add_u32_e32 v50, v1, v57
	v_cmp_ne_u32_e32 vcc, 0, v2
                                        ; implicit-def: $vgpr57_vgpr58
                                        ; implicit-def: $vgpr1
	s_and_saveexec_b64 s[18:19], vcc
	s_xor_b64 s[18:19], exec, s[18:19]
; %bb.2348:                             ;   in Loop: Header=BB4_2190 Depth=2
	v_cmp_lt_u64_e32 vcc, s[58:59], v[50:51]
	v_add_u32_e32 v1, 7, v4
	v_cndmask_b32_e32 v1, v2, v1, vcc
	v_cndmask_b32_e64 v2, 0, 1, vcc
	v_lshrrev_b64 v[57:58], v2, v[50:51]
; %bb.2349:                             ;   in Loop: Header=BB4_2190 Depth=2
	s_andn2_saveexec_b64 s[18:19], s[18:19]
; %bb.2350:                             ;   in Loop: Header=BB4_2190 Depth=2
	v_mov_b32_e32 v58, v51
	v_bfe_u32 v1, v50, 23, 1
	v_mov_b32_e32 v57, v50
; %bb.2351:                             ;   in Loop: Header=BB4_2190 Depth=2
	s_or_b64 exec, exec, s[18:19]
	v_lshrrev_b64 v[4:5], 20, v[57:58]
	v_cmp_gt_i32_e32 vcc, 16, v1
	v_cndmask_b32_e32 v5, 0, v5, vcc
	v_cndmask_b32_e32 v4, 7, v4, vcc
	v_cmp_eq_u32_e32 vcc, 0, v1
	v_min_i32_e32 v1, 15, v1
	v_cmp_eq_u64_e64 s[18:19], 0, v[4:5]
	v_lshlrev_b32_e32 v1, 3, v1
	v_and_b32_e32 v1, 0xf8, v1
	v_and_or_b32 v1, v4, 7, v1
	s_and_b64 s[18:19], vcc, s[18:19]
	v_cndmask_b32_e64 v1, v1, 0, s[18:19]
	v_or_b32_e32 v42, v1, v0
.LBB4_2352:                             ;   in Loop: Header=BB4_2190 Depth=2
	s_or_b64 exec, exec, s[88:89]
                                        ; implicit-def: $vgpr0
.LBB4_2353:                             ;   in Loop: Header=BB4_2190 Depth=2
	s_andn2_saveexec_b64 s[18:19], s[78:79]
; %bb.2354:                             ;   in Loop: Header=BB4_2190 Depth=2
	v_or_b32_e32 v42, 0x7e, v0
; %bb.2355:                             ;   in Loop: Header=BB4_2190 Depth=2
	s_or_b64 exec, exec, s[18:19]
                                        ; implicit-def: $vgpr1
.LBB4_2356:                             ;   in Loop: Header=BB4_2190 Depth=2
	s_andn2_saveexec_b64 s[18:19], s[76:77]
; %bb.2357:                             ;   in Loop: Header=BB4_2190 Depth=2
	v_or_b32_sdwa v42, v1, s50 dst_sel:DWORD dst_unused:UNUSED_PAD src0_sel:BYTE_3 src1_sel:DWORD
; %bb.2358:                             ;   in Loop: Header=BB4_2190 Depth=2
	s_or_b64 exec, exec, s[18:19]
	v_lshrrev_b32_e32 v30, 16, v23
	v_cmp_ne_u16_sdwa s[76:77], v30, v51 src0_sel:BYTE_0 src1_sel:DWORD
	v_mov_b32_e32 v0, 0
	v_mov_b32_e32 v1, 0
	s_and_saveexec_b64 s[18:19], s[76:77]
	s_cbranch_execz .LBB4_2364
; %bb.2359:                             ;   in Loop: Header=BB4_2190 Depth=2
	v_cmp_ne_u16_sdwa s[78:79], v30, s49 src0_sel:BYTE_0 src1_sel:DWORD
	v_bfrev_b32_e32 v1, 1
	s_and_saveexec_b64 s[76:77], s[78:79]
	s_cbranch_execz .LBB4_2363
; %bb.2360:                             ;   in Loop: Header=BB4_2190 Depth=2
	v_bfe_u32 v2, v23, 16, 7
	v_cmp_ne_u32_e32 vcc, s50, v2
	v_mov_b32_e32 v1, 0x7f800001
	s_and_saveexec_b64 s[78:79], vcc
	s_cbranch_execz .LBB4_2362
; %bb.2361:                             ;   in Loop: Header=BB4_2190 Depth=2
	v_and_b32_e32 v4, 7, v30
	v_ffbh_u32_e32 v1, v4
	v_min_u32_e32 v26, 32, v1
	v_subrev_u32_e32 v1, 28, v26
	v_lshrrev_b32_e32 v5, 3, v2
	v_cmp_gt_u32_e32 vcc, 8, v2
	v_lshlrev_b64 v[1:2], v1, v[30:31]
	v_sub_u32_e32 v2, 29, v26
	v_and_b32_e32 v1, 7, v1
	v_cndmask_b32_e32 v2, v5, v2, vcc
	v_cndmask_b32_e32 v1, v4, v1, vcc
	v_lshlrev_b32_e32 v4, 24, v30
	v_lshlrev_b32_e32 v1, 20, v1
	v_and_b32_e32 v4, 0x80000000, v4
	v_lshl_add_u32 v2, v2, 23, v62
	v_or3_b32 v1, v4, v2, v1
.LBB4_2362:                             ;   in Loop: Header=BB4_2190 Depth=2
	s_or_b64 exec, exec, s[78:79]
.LBB4_2363:                             ;   in Loop: Header=BB4_2190 Depth=2
	s_or_b64 exec, exec, s[76:77]
.LBB4_2364:                             ;   in Loop: Header=BB4_2190 Depth=2
	s_or_b64 exec, exec, s[18:19]
	v_lshrrev_b32_e32 v30, 16, v19
	v_cmp_ne_u16_sdwa s[76:77], v30, v51 src0_sel:BYTE_0 src1_sel:DWORD
	s_and_saveexec_b64 s[18:19], s[76:77]
	s_cbranch_execz .LBB4_2370
; %bb.2365:                             ;   in Loop: Header=BB4_2190 Depth=2
	v_cmp_ne_u16_sdwa s[78:79], v30, s49 src0_sel:BYTE_0 src1_sel:DWORD
	v_bfrev_b32_e32 v0, 1
	s_and_saveexec_b64 s[76:77], s[78:79]
	s_cbranch_execz .LBB4_2369
; %bb.2366:                             ;   in Loop: Header=BB4_2190 Depth=2
	v_bfe_u32 v2, v19, 16, 7
	v_cmp_ne_u32_e32 vcc, s50, v2
	v_mov_b32_e32 v0, 0x7f800001
	s_and_saveexec_b64 s[78:79], vcc
	s_cbranch_execz .LBB4_2368
; %bb.2367:                             ;   in Loop: Header=BB4_2190 Depth=2
	v_and_b32_e32 v0, 7, v30
	v_lshrrev_b32_e32 v26, 3, v2
	v_cmp_gt_u32_e32 vcc, 8, v2
	v_ffbh_u32_e32 v2, v0
	v_min_u32_e32 v2, 32, v2
	v_subrev_u32_e32 v4, 28, v2
	v_lshlrev_b64 v[4:5], v4, v[30:31]
	v_sub_u32_e32 v2, 29, v2
	v_and_b32_e32 v4, 7, v4
	v_cndmask_b32_e32 v2, v26, v2, vcc
	v_cndmask_b32_e32 v0, v0, v4, vcc
	v_lshlrev_b32_e32 v4, 8, v19
	v_lshlrev_b32_e32 v0, 20, v0
	v_and_b32_e32 v4, 0x80000000, v4
	v_lshl_add_u32 v2, v2, 23, v62
	v_or3_b32 v0, v4, v2, v0
.LBB4_2368:                             ;   in Loop: Header=BB4_2190 Depth=2
	s_or_b64 exec, exec, s[78:79]
.LBB4_2369:                             ;   in Loop: Header=BB4_2190 Depth=2
	s_or_b64 exec, exec, s[76:77]
.LBB4_2370:                             ;   in Loop: Header=BB4_2190 Depth=2
	s_or_b64 exec, exec, s[18:19]
	v_add_f32_e32 v1, v1, v0
	v_and_b32_e32 v50, 0x7f800000, v1
	v_cmp_ne_u64_e32 vcc, s[46:47], v[50:51]
                                        ; implicit-def: $vgpr30
	s_and_saveexec_b64 s[18:19], vcc
	s_xor_b64 s[76:77], exec, s[18:19]
	s_cbranch_execz .LBB4_2384
; %bb.2371:                             ;   in Loop: Header=BB4_2190 Depth=2
	v_and_b32_e32 v50, 0x7fffffff, v1
	v_cmp_gt_u64_e32 vcc, s[56:57], v[50:51]
	v_and_b32_sdwa v0, v1, s49 dst_sel:DWORD dst_unused:UNUSED_PAD src0_sel:BYTE_3 src1_sel:DWORD
                                        ; implicit-def: $vgpr30
	s_and_saveexec_b64 s[18:19], vcc
	s_xor_b64 s[78:79], exec, s[18:19]
	s_cbranch_execz .LBB4_2381
; %bb.2372:                             ;   in Loop: Header=BB4_2190 Depth=2
	v_mov_b32_e32 v30, 0
	v_cmp_ne_u32_e32 vcc, 0, v1
	s_and_saveexec_b64 s[88:89], vcc
	s_cbranch_execz .LBB4_2380
; %bb.2373:                             ;   in Loop: Header=BB4_2190 Depth=2
	v_and_b32_e32 v4, 0x7fffff, v1
	v_bfe_u32 v1, v1, 23, 8
	v_cmp_gt_u32_e64 s[18:19], s51, v1
	v_sub_u32_e32 v2, 0x79, v1
	v_cmp_eq_u32_e32 vcc, 0, v1
	v_cndmask_b32_e64 v2, 0, v2, s[18:19]
	v_or_b32_e32 v5, 0x800000, v4
	v_cndmask_b32_e32 v2, v2, v49, vcc
	v_cndmask_b32_e32 v50, v5, v4, vcc
	v_add_u32_e32 v4, 20, v2
	v_lshlrev_b64 v[4:5], v4, -1
	v_add_u32_e32 v26, 19, v2
	v_lshlrev_b64 v[28:29], v26, 1
	v_lshrrev_b64 v[57:58], v2, v[50:51]
	v_bfi_b32 v5, v5, 0, 0
	v_bfi_b32 v4, v4, 0, v50
	v_cmp_eq_u64_e64 s[18:19], v[4:5], v[28:29]
	v_mov_b32_e32 v59, v58
	v_mov_b32_e32 v58, v57
	s_and_saveexec_b64 s[90:91], s[18:19]
; %bb.2374:                             ;   in Loop: Header=BB4_2190 Depth=2
	v_bfe_u32 v4, v57, 20, 1
	v_add_co_u32_e64 v4, s[18:19], v57, v4
	v_add_co_u32_e64 v58, s[18:19], -1, v4
; %bb.2375:                             ;   in Loop: Header=BB4_2190 Depth=2
	s_or_b64 exec, exec, s[90:91]
	v_add_u32_e32 v1, 0xffffff81, v1
	v_mov_b32_e32 v4, 0xffffff82
	v_cndmask_b32_e32 v1, v1, v4, vcc
	v_lshrrev_b32_e32 v4, 23, v57
	v_add3_u32 v4, v2, v1, v4
	v_add_u32_e32 v2, 6, v4
	v_and_b32_e32 v1, 0xfffff, v58
	v_add_u32_e32 v50, v1, v57
	v_cmp_ne_u32_e32 vcc, 0, v2
                                        ; implicit-def: $vgpr57_vgpr58
                                        ; implicit-def: $vgpr1
	s_and_saveexec_b64 s[18:19], vcc
	s_xor_b64 s[18:19], exec, s[18:19]
; %bb.2376:                             ;   in Loop: Header=BB4_2190 Depth=2
	v_cmp_lt_u64_e32 vcc, s[58:59], v[50:51]
	v_add_u32_e32 v1, 7, v4
	v_cndmask_b32_e32 v1, v2, v1, vcc
	v_cndmask_b32_e64 v2, 0, 1, vcc
	v_lshrrev_b64 v[57:58], v2, v[50:51]
; %bb.2377:                             ;   in Loop: Header=BB4_2190 Depth=2
	s_andn2_saveexec_b64 s[18:19], s[18:19]
; %bb.2378:                             ;   in Loop: Header=BB4_2190 Depth=2
	v_mov_b32_e32 v58, v51
	v_bfe_u32 v1, v50, 23, 1
	v_mov_b32_e32 v57, v50
; %bb.2379:                             ;   in Loop: Header=BB4_2190 Depth=2
	s_or_b64 exec, exec, s[18:19]
	v_lshrrev_b64 v[4:5], 20, v[57:58]
	v_cmp_gt_i32_e32 vcc, 16, v1
	v_cndmask_b32_e32 v5, 0, v5, vcc
	v_cndmask_b32_e32 v4, 7, v4, vcc
	v_cmp_eq_u32_e32 vcc, 0, v1
	v_min_i32_e32 v1, 15, v1
	v_cmp_eq_u64_e64 s[18:19], 0, v[4:5]
	v_lshlrev_b32_e32 v1, 3, v1
	v_and_b32_e32 v1, 0xf8, v1
	v_and_or_b32 v1, v4, 7, v1
	s_and_b64 s[18:19], vcc, s[18:19]
	v_cndmask_b32_e64 v1, v1, 0, s[18:19]
	v_or_b32_e32 v30, v1, v0
.LBB4_2380:                             ;   in Loop: Header=BB4_2190 Depth=2
	s_or_b64 exec, exec, s[88:89]
                                        ; implicit-def: $vgpr0
.LBB4_2381:                             ;   in Loop: Header=BB4_2190 Depth=2
	s_andn2_saveexec_b64 s[18:19], s[78:79]
; %bb.2382:                             ;   in Loop: Header=BB4_2190 Depth=2
	v_or_b32_e32 v30, 0x7e, v0
; %bb.2383:                             ;   in Loop: Header=BB4_2190 Depth=2
	s_or_b64 exec, exec, s[18:19]
                                        ; implicit-def: $vgpr1
.LBB4_2384:                             ;   in Loop: Header=BB4_2190 Depth=2
	s_andn2_saveexec_b64 s[18:19], s[76:77]
; %bb.2385:                             ;   in Loop: Header=BB4_2190 Depth=2
	v_or_b32_sdwa v30, v1, s50 dst_sel:DWORD dst_unused:UNUSED_PAD src0_sel:BYTE_3 src1_sel:DWORD
; %bb.2386:                             ;   in Loop: Header=BB4_2190 Depth=2
	s_or_b64 exec, exec, s[18:19]
	v_cmp_lt_u64_e32 vcc, s[60:61], v[22:23]
	v_mov_b32_e32 v0, 0
	v_mov_b32_e32 v1, 0
	s_and_saveexec_b64 s[18:19], vcc
	s_cbranch_execz .LBB4_2392
; %bb.2387:                             ;   in Loop: Header=BB4_2190 Depth=2
	v_lshrrev_b32_e32 v22, 24, v23
	v_cmp_ne_u32_e32 vcc, s49, v22
	v_bfrev_b32_e32 v1, 1
	s_and_saveexec_b64 s[76:77], vcc
	s_cbranch_execz .LBB4_2391
; %bb.2388:                             ;   in Loop: Header=BB4_2190 Depth=2
	v_bfe_u32 v2, v23, 24, 7
	v_cmp_ne_u32_e32 vcc, s50, v2
	v_mov_b32_e32 v1, 0x7f800001
	s_and_saveexec_b64 s[78:79], vcc
	s_cbranch_execz .LBB4_2390
; %bb.2389:                             ;   in Loop: Header=BB4_2190 Depth=2
	v_and_b32_e32 v4, 7, v22
	v_ffbh_u32_e32 v1, v4
	v_min_u32_e32 v23, 32, v1
	v_subrev_u32_e32 v1, 28, v23
	v_lshrrev_b32_e32 v5, 3, v2
	v_cmp_gt_u32_e32 vcc, 8, v2
	v_lshlrev_b64 v[1:2], v1, v[22:23]
	v_sub_u32_e32 v2, 29, v23
	v_and_b32_e32 v1, 7, v1
	v_cndmask_b32_e32 v2, v5, v2, vcc
	v_cndmask_b32_e32 v1, v4, v1, vcc
	v_lshlrev_b32_e32 v4, 24, v22
	v_lshlrev_b32_e32 v1, 20, v1
	v_and_b32_e32 v4, 0x80000000, v4
	v_lshl_add_u32 v2, v2, 23, v62
	v_or3_b32 v1, v4, v2, v1
.LBB4_2390:                             ;   in Loop: Header=BB4_2190 Depth=2
	s_or_b64 exec, exec, s[78:79]
.LBB4_2391:                             ;   in Loop: Header=BB4_2190 Depth=2
	s_or_b64 exec, exec, s[76:77]
.LBB4_2392:                             ;   in Loop: Header=BB4_2190 Depth=2
	s_or_b64 exec, exec, s[18:19]
	v_cmp_lt_u64_e32 vcc, s[60:61], v[18:19]
	s_and_saveexec_b64 s[18:19], vcc
	s_cbranch_execz .LBB4_2398
; %bb.2393:                             ;   in Loop: Header=BB4_2190 Depth=2
	v_lshrrev_b32_e32 v18, 24, v19
	v_cmp_ne_u32_e32 vcc, s49, v18
	v_bfrev_b32_e32 v0, 1
	s_and_saveexec_b64 s[76:77], vcc
	s_cbranch_execz .LBB4_2397
; %bb.2394:                             ;   in Loop: Header=BB4_2190 Depth=2
	v_bfe_u32 v2, v19, 24, 7
	v_cmp_ne_u32_e32 vcc, s50, v2
	v_mov_b32_e32 v0, 0x7f800001
	s_and_saveexec_b64 s[78:79], vcc
	s_cbranch_execz .LBB4_2396
; %bb.2395:                             ;   in Loop: Header=BB4_2190 Depth=2
	v_and_b32_e32 v0, 7, v18
	v_lshrrev_b32_e32 v19, 3, v2
	v_cmp_gt_u32_e32 vcc, 8, v2
	v_ffbh_u32_e32 v2, v0
	v_min_u32_e32 v2, 32, v2
	v_subrev_u32_e32 v4, 28, v2
	v_lshlrev_b64 v[4:5], v4, v[18:19]
	v_sub_u32_e32 v2, 29, v2
	v_and_b32_e32 v4, 7, v4
	v_cndmask_b32_e32 v2, v19, v2, vcc
	v_cndmask_b32_e32 v0, v0, v4, vcc
	v_lshlrev_b32_e32 v4, 24, v18
	v_lshlrev_b32_e32 v0, 20, v0
	v_and_b32_e32 v4, 0x80000000, v4
	v_lshl_add_u32 v2, v2, 23, v62
	v_or3_b32 v0, v4, v2, v0
.LBB4_2396:                             ;   in Loop: Header=BB4_2190 Depth=2
	s_or_b64 exec, exec, s[78:79]
.LBB4_2397:                             ;   in Loop: Header=BB4_2190 Depth=2
	s_or_b64 exec, exec, s[76:77]
.LBB4_2398:                             ;   in Loop: Header=BB4_2190 Depth=2
	s_or_b64 exec, exec, s[18:19]
	v_add_f32_e32 v1, v1, v0
	v_and_b32_e32 v50, 0x7f800000, v1
	v_cmp_ne_u64_e32 vcc, s[46:47], v[50:51]
                                        ; implicit-def: $vgpr43
	s_and_saveexec_b64 s[18:19], vcc
	s_xor_b64 s[76:77], exec, s[18:19]
	s_cbranch_execz .LBB4_2412
; %bb.2399:                             ;   in Loop: Header=BB4_2190 Depth=2
	v_and_b32_e32 v50, 0x7fffffff, v1
	v_cmp_gt_u64_e32 vcc, s[56:57], v[50:51]
	v_and_b32_sdwa v0, v1, s49 dst_sel:DWORD dst_unused:UNUSED_PAD src0_sel:BYTE_3 src1_sel:DWORD
                                        ; implicit-def: $vgpr43
	s_and_saveexec_b64 s[18:19], vcc
	s_xor_b64 s[78:79], exec, s[18:19]
	s_cbranch_execz .LBB4_2409
; %bb.2400:                             ;   in Loop: Header=BB4_2190 Depth=2
	v_mov_b32_e32 v43, 0
	v_cmp_ne_u32_e32 vcc, 0, v1
	s_and_saveexec_b64 s[88:89], vcc
	s_cbranch_execz .LBB4_2408
; %bb.2401:                             ;   in Loop: Header=BB4_2190 Depth=2
	v_and_b32_e32 v4, 0x7fffff, v1
	v_bfe_u32 v1, v1, 23, 8
	v_cmp_gt_u32_e64 s[18:19], s51, v1
	v_sub_u32_e32 v2, 0x79, v1
	v_cmp_eq_u32_e32 vcc, 0, v1
	v_cndmask_b32_e64 v2, 0, v2, s[18:19]
	v_or_b32_e32 v5, 0x800000, v4
	v_cndmask_b32_e32 v2, v2, v49, vcc
	v_cndmask_b32_e32 v50, v5, v4, vcc
	v_add_u32_e32 v4, 20, v2
	v_lshlrev_b64 v[4:5], v4, -1
	v_add_u32_e32 v18, 19, v2
	v_lshlrev_b64 v[18:19], v18, 1
	v_bfi_b32 v5, v5, 0, 0
	v_bfi_b32 v4, v4, 0, v50
	v_cmp_eq_u64_e64 s[18:19], v[4:5], v[18:19]
	v_lshrrev_b64 v[18:19], v2, v[50:51]
	v_mov_b32_e32 v23, v19
	v_mov_b32_e32 v22, v18
	s_and_saveexec_b64 s[90:91], s[18:19]
; %bb.2402:                             ;   in Loop: Header=BB4_2190 Depth=2
	v_bfe_u32 v4, v18, 20, 1
	v_add_co_u32_e64 v4, s[18:19], v18, v4
	v_add_co_u32_e64 v22, s[18:19], -1, v4
; %bb.2403:                             ;   in Loop: Header=BB4_2190 Depth=2
	s_or_b64 exec, exec, s[90:91]
	v_add_u32_e32 v1, 0xffffff81, v1
	v_mov_b32_e32 v4, 0xffffff82
	v_cndmask_b32_e32 v1, v1, v4, vcc
	v_lshrrev_b32_e32 v4, 23, v18
	v_add3_u32 v4, v2, v1, v4
	v_add_u32_e32 v2, 6, v4
	v_and_b32_e32 v1, 0xfffff, v22
	v_add_u32_e32 v50, v1, v18
	v_cmp_ne_u32_e32 vcc, 0, v2
                                        ; implicit-def: $vgpr18_vgpr19
                                        ; implicit-def: $vgpr1
	s_and_saveexec_b64 s[18:19], vcc
	s_xor_b64 s[18:19], exec, s[18:19]
; %bb.2404:                             ;   in Loop: Header=BB4_2190 Depth=2
	v_cmp_lt_u64_e32 vcc, s[58:59], v[50:51]
	v_add_u32_e32 v1, 7, v4
	v_cndmask_b32_e32 v1, v2, v1, vcc
	v_cndmask_b32_e64 v2, 0, 1, vcc
	v_lshrrev_b64 v[18:19], v2, v[50:51]
; %bb.2405:                             ;   in Loop: Header=BB4_2190 Depth=2
	s_andn2_saveexec_b64 s[18:19], s[18:19]
; %bb.2406:                             ;   in Loop: Header=BB4_2190 Depth=2
	v_mov_b32_e32 v18, v50
	v_bfe_u32 v1, v50, 23, 1
	v_mov_b32_e32 v19, v51
; %bb.2407:                             ;   in Loop: Header=BB4_2190 Depth=2
	s_or_b64 exec, exec, s[18:19]
	v_lshrrev_b64 v[4:5], 20, v[18:19]
	v_cmp_gt_i32_e32 vcc, 16, v1
	v_cndmask_b32_e32 v5, 0, v5, vcc
	v_cndmask_b32_e32 v4, 7, v4, vcc
	v_cmp_eq_u32_e32 vcc, 0, v1
	v_min_i32_e32 v1, 15, v1
	v_cmp_eq_u64_e64 s[18:19], 0, v[4:5]
	v_lshlrev_b32_e32 v1, 3, v1
	v_and_b32_e32 v1, 0xf8, v1
	v_and_or_b32 v1, v4, 7, v1
	s_and_b64 s[18:19], vcc, s[18:19]
	v_cndmask_b32_e64 v1, v1, 0, s[18:19]
	v_or_b32_e32 v43, v1, v0
.LBB4_2408:                             ;   in Loop: Header=BB4_2190 Depth=2
	s_or_b64 exec, exec, s[88:89]
                                        ; implicit-def: $vgpr0
.LBB4_2409:                             ;   in Loop: Header=BB4_2190 Depth=2
	s_andn2_saveexec_b64 s[18:19], s[78:79]
; %bb.2410:                             ;   in Loop: Header=BB4_2190 Depth=2
	v_or_b32_e32 v43, 0x7e, v0
; %bb.2411:                             ;   in Loop: Header=BB4_2190 Depth=2
	s_or_b64 exec, exec, s[18:19]
                                        ; implicit-def: $vgpr1
.LBB4_2412:                             ;   in Loop: Header=BB4_2190 Depth=2
	s_andn2_saveexec_b64 s[18:19], s[76:77]
; %bb.2413:                             ;   in Loop: Header=BB4_2190 Depth=2
	v_or_b32_sdwa v43, v1, s50 dst_sel:DWORD dst_unused:UNUSED_PAD src0_sel:BYTE_3 src1_sel:DWORD
; %bb.2414:                             ;   in Loop: Header=BB4_2190 Depth=2
	s_or_b64 exec, exec, s[18:19]
	v_cmp_ne_u16_sdwa s[76:77], v24, v51 src0_sel:BYTE_0 src1_sel:DWORD
	v_mov_b32_e32 v0, 0
	v_mov_b32_e32 v1, 0
	s_and_saveexec_b64 s[18:19], s[76:77]
	s_cbranch_execz .LBB4_2420
; %bb.2415:                             ;   in Loop: Header=BB4_2190 Depth=2
	v_cmp_ne_u16_sdwa s[78:79], v24, s49 src0_sel:BYTE_0 src1_sel:DWORD
	v_bfrev_b32_e32 v1, 1
	s_and_saveexec_b64 s[76:77], s[78:79]
	s_cbranch_execz .LBB4_2419
; %bb.2416:                             ;   in Loop: Header=BB4_2190 Depth=2
	v_and_b32_e32 v2, 0x7f, v24
	v_cmp_ne_u32_e32 vcc, s50, v2
	v_mov_b32_e32 v1, 0x7f800001
	s_and_saveexec_b64 s[78:79], vcc
	s_cbranch_execz .LBB4_2418
; %bb.2417:                             ;   in Loop: Header=BB4_2190 Depth=2
	v_and_b32_e32 v1, 7, v24
	v_ffbh_u32_e32 v1, v1
	v_min_u32_e32 v1, 32, v1
	v_lshrrev_b32_e32 v4, 3, v2
	v_cmp_gt_u32_e32 vcc, 8, v2
	v_subrev_u32_e32 v2, 28, v1
	v_sub_u32_e32 v1, 29, v1
	v_cndmask_b32_e32 v4, v4, v1, vcc
	v_cndmask_b32_e32 v1, 0, v2, vcc
	v_lshlrev_b64 v[1:2], v1, v[24:25]
	v_lshlrev_b32_e32 v2, 24, v24
	v_lshlrev_b32_e32 v1, 20, v1
	v_and_b32_e32 v1, 0x700000, v1
	v_and_b32_e32 v2, 0x80000000, v2
	v_lshl_add_u32 v4, v4, 23, v62
	v_or3_b32 v1, v2, v4, v1
.LBB4_2418:                             ;   in Loop: Header=BB4_2190 Depth=2
	s_or_b64 exec, exec, s[78:79]
.LBB4_2419:                             ;   in Loop: Header=BB4_2190 Depth=2
	s_or_b64 exec, exec, s[76:77]
.LBB4_2420:                             ;   in Loop: Header=BB4_2190 Depth=2
	s_or_b64 exec, exec, s[18:19]
	v_cmp_ne_u16_sdwa s[76:77], v20, v51 src0_sel:BYTE_0 src1_sel:DWORD
	s_and_saveexec_b64 s[18:19], s[76:77]
	s_cbranch_execz .LBB4_2426
; %bb.2421:                             ;   in Loop: Header=BB4_2190 Depth=2
	v_cmp_ne_u16_sdwa s[78:79], v20, s49 src0_sel:BYTE_0 src1_sel:DWORD
	v_bfrev_b32_e32 v0, 1
	s_and_saveexec_b64 s[76:77], s[78:79]
	s_cbranch_execz .LBB4_2425
; %bb.2422:                             ;   in Loop: Header=BB4_2190 Depth=2
	v_and_b32_e32 v2, 0x7f, v20
	v_cmp_ne_u32_e32 vcc, s50, v2
	v_mov_b32_e32 v0, 0x7f800001
	s_and_saveexec_b64 s[78:79], vcc
	s_cbranch_execz .LBB4_2424
; %bb.2423:                             ;   in Loop: Header=BB4_2190 Depth=2
	v_and_b32_e32 v0, 7, v20
	v_ffbh_u32_e32 v0, v0
	v_min_u32_e32 v0, 32, v0
	v_lshrrev_b32_e32 v4, 3, v2
	v_cmp_gt_u32_e32 vcc, 8, v2
	v_subrev_u32_e32 v2, 28, v0
	v_sub_u32_e32 v0, 29, v0
	v_cndmask_b32_e32 v2, 0, v2, vcc
	v_cndmask_b32_e32 v0, v4, v0, vcc
	v_lshlrev_b64 v[4:5], v2, v[20:21]
	v_lshl_add_u32 v0, v0, 23, v62
	v_lshlrev_b32_e32 v2, 20, v4
	v_lshlrev_b32_e32 v4, 24, v20
	v_and_b32_e32 v2, 0x700000, v2
	v_and_b32_e32 v4, 0x80000000, v4
	v_or3_b32 v0, v4, v0, v2
.LBB4_2424:                             ;   in Loop: Header=BB4_2190 Depth=2
	s_or_b64 exec, exec, s[78:79]
.LBB4_2425:                             ;   in Loop: Header=BB4_2190 Depth=2
	s_or_b64 exec, exec, s[76:77]
.LBB4_2426:                             ;   in Loop: Header=BB4_2190 Depth=2
	s_or_b64 exec, exec, s[18:19]
	v_add_f32_e32 v1, v1, v0
	v_and_b32_e32 v50, 0x7f800000, v1
	v_cmp_ne_u64_e32 vcc, s[46:47], v[50:51]
                                        ; implicit-def: $vgpr57
	s_and_saveexec_b64 s[18:19], vcc
	s_xor_b64 s[76:77], exec, s[18:19]
	s_cbranch_execz .LBB4_2440
; %bb.2427:                             ;   in Loop: Header=BB4_2190 Depth=2
	v_and_b32_e32 v50, 0x7fffffff, v1
	v_cmp_gt_u64_e32 vcc, s[56:57], v[50:51]
	v_and_b32_sdwa v0, v1, s49 dst_sel:DWORD dst_unused:UNUSED_PAD src0_sel:BYTE_3 src1_sel:DWORD
                                        ; implicit-def: $vgpr57
	s_and_saveexec_b64 s[18:19], vcc
	s_xor_b64 s[78:79], exec, s[18:19]
	s_cbranch_execz .LBB4_2437
; %bb.2428:                             ;   in Loop: Header=BB4_2190 Depth=2
	v_mov_b32_e32 v57, 0
	v_cmp_ne_u32_e32 vcc, 0, v1
	s_and_saveexec_b64 s[88:89], vcc
	s_cbranch_execz .LBB4_2436
; %bb.2429:                             ;   in Loop: Header=BB4_2190 Depth=2
	v_and_b32_e32 v4, 0x7fffff, v1
	v_bfe_u32 v1, v1, 23, 8
	v_cmp_gt_u32_e64 s[18:19], s51, v1
	v_sub_u32_e32 v2, 0x79, v1
	v_cmp_eq_u32_e32 vcc, 0, v1
	v_cndmask_b32_e64 v2, 0, v2, s[18:19]
	v_or_b32_e32 v5, 0x800000, v4
	v_cndmask_b32_e32 v2, v2, v49, vcc
	v_cndmask_b32_e32 v50, v5, v4, vcc
	v_add_u32_e32 v4, 20, v2
	v_lshlrev_b64 v[4:5], v4, -1
	v_add_u32_e32 v18, 19, v2
	v_lshlrev_b64 v[18:19], v18, 1
	v_bfi_b32 v5, v5, 0, 0
	v_bfi_b32 v4, v4, 0, v50
	v_cmp_eq_u64_e64 s[18:19], v[4:5], v[18:19]
	v_lshrrev_b64 v[18:19], v2, v[50:51]
	v_mov_b32_e32 v23, v19
	v_mov_b32_e32 v22, v18
	s_and_saveexec_b64 s[90:91], s[18:19]
; %bb.2430:                             ;   in Loop: Header=BB4_2190 Depth=2
	v_bfe_u32 v4, v18, 20, 1
	v_add_co_u32_e64 v4, s[18:19], v18, v4
	v_add_co_u32_e64 v22, s[18:19], -1, v4
; %bb.2431:                             ;   in Loop: Header=BB4_2190 Depth=2
	s_or_b64 exec, exec, s[90:91]
	v_add_u32_e32 v1, 0xffffff81, v1
	v_mov_b32_e32 v4, 0xffffff82
	v_cndmask_b32_e32 v1, v1, v4, vcc
	v_lshrrev_b32_e32 v4, 23, v18
	v_add3_u32 v4, v2, v1, v4
	v_add_u32_e32 v2, 6, v4
	v_and_b32_e32 v1, 0xfffff, v22
	v_add_u32_e32 v50, v1, v18
	v_cmp_ne_u32_e32 vcc, 0, v2
                                        ; implicit-def: $vgpr18_vgpr19
                                        ; implicit-def: $vgpr1
	s_and_saveexec_b64 s[18:19], vcc
	s_xor_b64 s[18:19], exec, s[18:19]
; %bb.2432:                             ;   in Loop: Header=BB4_2190 Depth=2
	v_cmp_lt_u64_e32 vcc, s[58:59], v[50:51]
	v_add_u32_e32 v1, 7, v4
	v_cndmask_b32_e32 v1, v2, v1, vcc
	v_cndmask_b32_e64 v2, 0, 1, vcc
	v_lshrrev_b64 v[18:19], v2, v[50:51]
; %bb.2433:                             ;   in Loop: Header=BB4_2190 Depth=2
	s_andn2_saveexec_b64 s[18:19], s[18:19]
; %bb.2434:                             ;   in Loop: Header=BB4_2190 Depth=2
	v_mov_b32_e32 v18, v50
	v_bfe_u32 v1, v50, 23, 1
	v_mov_b32_e32 v19, v51
; %bb.2435:                             ;   in Loop: Header=BB4_2190 Depth=2
	s_or_b64 exec, exec, s[18:19]
	v_lshrrev_b64 v[4:5], 20, v[18:19]
	v_cmp_gt_i32_e32 vcc, 16, v1
	v_cndmask_b32_e32 v5, 0, v5, vcc
	v_cndmask_b32_e32 v4, 7, v4, vcc
	v_cmp_eq_u32_e32 vcc, 0, v1
	v_min_i32_e32 v1, 15, v1
	v_cmp_eq_u64_e64 s[18:19], 0, v[4:5]
	v_lshlrev_b32_e32 v1, 3, v1
	v_and_b32_e32 v1, 0xf8, v1
	v_and_or_b32 v1, v4, 7, v1
	s_and_b64 s[18:19], vcc, s[18:19]
	v_cndmask_b32_e64 v1, v1, 0, s[18:19]
	v_or_b32_e32 v57, v1, v0
.LBB4_2436:                             ;   in Loop: Header=BB4_2190 Depth=2
	s_or_b64 exec, exec, s[88:89]
                                        ; implicit-def: $vgpr0
.LBB4_2437:                             ;   in Loop: Header=BB4_2190 Depth=2
	s_andn2_saveexec_b64 s[18:19], s[78:79]
; %bb.2438:                             ;   in Loop: Header=BB4_2190 Depth=2
	v_or_b32_e32 v57, 0x7e, v0
; %bb.2439:                             ;   in Loop: Header=BB4_2190 Depth=2
	s_or_b64 exec, exec, s[18:19]
                                        ; implicit-def: $vgpr1
.LBB4_2440:                             ;   in Loop: Header=BB4_2190 Depth=2
	s_andn2_saveexec_b64 s[18:19], s[76:77]
; %bb.2441:                             ;   in Loop: Header=BB4_2190 Depth=2
	v_or_b32_sdwa v57, v1, s50 dst_sel:DWORD dst_unused:UNUSED_PAD src0_sel:BYTE_3 src1_sel:DWORD
; %bb.2442:                             ;   in Loop: Header=BB4_2190 Depth=2
	s_or_b64 exec, exec, s[18:19]
	v_lshrrev_b16_e32 v18, 8, v24
	v_cmp_ne_u16_e32 vcc, 0, v18
	v_mov_b32_e32 v0, 0
	v_mov_b32_e32 v1, 0
	s_and_saveexec_b64 s[18:19], vcc
	s_cbranch_execz .LBB4_2448
; %bb.2443:                             ;   in Loop: Header=BB4_2190 Depth=2
	v_cmp_ne_u16_e32 vcc, s49, v18
	v_bfrev_b32_e32 v1, 1
	s_and_saveexec_b64 s[76:77], vcc
	s_cbranch_execz .LBB4_2447
; %bb.2444:                             ;   in Loop: Header=BB4_2190 Depth=2
	v_and_b32_e32 v2, 0x7f, v18
	v_cmp_ne_u32_e32 vcc, s50, v2
	v_mov_b32_e32 v1, 0x7f800001
	s_and_saveexec_b64 s[78:79], vcc
	s_cbranch_execz .LBB4_2446
; %bb.2445:                             ;   in Loop: Header=BB4_2190 Depth=2
	v_and_b32_e32 v4, 7, v18
	v_ffbh_u32_e32 v1, v4
	v_min_u32_e32 v19, 32, v1
	v_subrev_u32_e32 v1, 28, v19
	v_lshrrev_b32_e32 v5, 3, v2
	v_cmp_gt_u32_e32 vcc, 8, v2
	v_lshlrev_b64 v[1:2], v1, v[18:19]
	v_sub_u32_e32 v2, 29, v19
	v_and_b32_e32 v1, 7, v1
	v_cndmask_b32_e32 v2, v5, v2, vcc
	v_cndmask_b32_e32 v1, v4, v1, vcc
	v_lshlrev_b32_e32 v4, 16, v24
	v_lshlrev_b32_e32 v1, 20, v1
	v_and_b32_e32 v4, 0x80000000, v4
	v_lshl_add_u32 v2, v2, 23, v62
	v_or3_b32 v1, v4, v2, v1
.LBB4_2446:                             ;   in Loop: Header=BB4_2190 Depth=2
	s_or_b64 exec, exec, s[78:79]
.LBB4_2447:                             ;   in Loop: Header=BB4_2190 Depth=2
	s_or_b64 exec, exec, s[76:77]
.LBB4_2448:                             ;   in Loop: Header=BB4_2190 Depth=2
	s_or_b64 exec, exec, s[18:19]
	v_lshrrev_b16_e32 v18, 8, v20
	v_cmp_ne_u16_e32 vcc, 0, v18
	s_and_saveexec_b64 s[18:19], vcc
	s_cbranch_execz .LBB4_2454
; %bb.2449:                             ;   in Loop: Header=BB4_2190 Depth=2
	v_cmp_ne_u16_e32 vcc, s49, v18
	v_bfrev_b32_e32 v0, 1
	s_and_saveexec_b64 s[76:77], vcc
	s_cbranch_execz .LBB4_2453
; %bb.2450:                             ;   in Loop: Header=BB4_2190 Depth=2
	v_and_b32_e32 v2, 0x7f, v18
	v_cmp_ne_u32_e32 vcc, s50, v2
	v_mov_b32_e32 v0, 0x7f800001
	s_and_saveexec_b64 s[78:79], vcc
	s_cbranch_execz .LBB4_2452
; %bb.2451:                             ;   in Loop: Header=BB4_2190 Depth=2
	v_and_b32_e32 v0, 7, v18
	v_lshrrev_b32_e32 v19, 3, v2
	v_cmp_gt_u32_e32 vcc, 8, v2
	v_ffbh_u32_e32 v2, v0
	v_min_u32_e32 v2, 32, v2
	v_subrev_u32_e32 v4, 28, v2
	v_lshlrev_b64 v[4:5], v4, v[18:19]
	v_sub_u32_e32 v2, 29, v2
	v_and_b32_e32 v4, 7, v4
	v_cndmask_b32_e32 v2, v19, v2, vcc
	v_cndmask_b32_e32 v0, v0, v4, vcc
	v_lshlrev_b32_e32 v4, 16, v20
	v_lshlrev_b32_e32 v0, 20, v0
	v_and_b32_e32 v4, 0x80000000, v4
	v_lshl_add_u32 v2, v2, 23, v62
	v_or3_b32 v0, v4, v2, v0
.LBB4_2452:                             ;   in Loop: Header=BB4_2190 Depth=2
	s_or_b64 exec, exec, s[78:79]
.LBB4_2453:                             ;   in Loop: Header=BB4_2190 Depth=2
	s_or_b64 exec, exec, s[76:77]
.LBB4_2454:                             ;   in Loop: Header=BB4_2190 Depth=2
	s_or_b64 exec, exec, s[18:19]
	v_add_f32_e32 v1, v1, v0
	v_and_b32_e32 v50, 0x7f800000, v1
	v_cmp_ne_u64_e32 vcc, s[46:47], v[50:51]
                                        ; implicit-def: $vgpr58
	s_and_saveexec_b64 s[18:19], vcc
	s_xor_b64 s[76:77], exec, s[18:19]
	s_cbranch_execz .LBB4_2468
; %bb.2455:                             ;   in Loop: Header=BB4_2190 Depth=2
	v_and_b32_e32 v50, 0x7fffffff, v1
	v_cmp_gt_u64_e32 vcc, s[56:57], v[50:51]
	v_and_b32_sdwa v0, v1, s49 dst_sel:DWORD dst_unused:UNUSED_PAD src0_sel:BYTE_3 src1_sel:DWORD
                                        ; implicit-def: $vgpr58
	s_and_saveexec_b64 s[18:19], vcc
	s_xor_b64 s[78:79], exec, s[18:19]
	s_cbranch_execz .LBB4_2465
; %bb.2456:                             ;   in Loop: Header=BB4_2190 Depth=2
	v_mov_b32_e32 v58, 0
	v_cmp_ne_u32_e32 vcc, 0, v1
	s_and_saveexec_b64 s[88:89], vcc
	s_cbranch_execz .LBB4_2464
; %bb.2457:                             ;   in Loop: Header=BB4_2190 Depth=2
	v_and_b32_e32 v4, 0x7fffff, v1
	v_bfe_u32 v1, v1, 23, 8
	v_cmp_gt_u32_e64 s[18:19], s51, v1
	v_sub_u32_e32 v2, 0x79, v1
	v_cmp_eq_u32_e32 vcc, 0, v1
	v_cndmask_b32_e64 v2, 0, v2, s[18:19]
	v_or_b32_e32 v5, 0x800000, v4
	v_cndmask_b32_e32 v2, v2, v49, vcc
	v_cndmask_b32_e32 v50, v5, v4, vcc
	v_add_u32_e32 v4, 20, v2
	v_lshlrev_b64 v[4:5], v4, -1
	v_add_u32_e32 v18, 19, v2
	v_lshlrev_b64 v[18:19], v18, 1
	v_bfi_b32 v5, v5, 0, 0
	v_bfi_b32 v4, v4, 0, v50
	v_cmp_eq_u64_e64 s[18:19], v[4:5], v[18:19]
	v_lshrrev_b64 v[18:19], v2, v[50:51]
	v_mov_b32_e32 v23, v19
	v_mov_b32_e32 v22, v18
	s_and_saveexec_b64 s[90:91], s[18:19]
; %bb.2458:                             ;   in Loop: Header=BB4_2190 Depth=2
	v_bfe_u32 v4, v18, 20, 1
	v_add_co_u32_e64 v4, s[18:19], v18, v4
	v_add_co_u32_e64 v22, s[18:19], -1, v4
; %bb.2459:                             ;   in Loop: Header=BB4_2190 Depth=2
	s_or_b64 exec, exec, s[90:91]
	v_add_u32_e32 v1, 0xffffff81, v1
	v_mov_b32_e32 v4, 0xffffff82
	v_cndmask_b32_e32 v1, v1, v4, vcc
	v_lshrrev_b32_e32 v4, 23, v18
	v_add3_u32 v4, v2, v1, v4
	v_add_u32_e32 v2, 6, v4
	v_and_b32_e32 v1, 0xfffff, v22
	v_add_u32_e32 v50, v1, v18
	v_cmp_ne_u32_e32 vcc, 0, v2
                                        ; implicit-def: $vgpr18_vgpr19
                                        ; implicit-def: $vgpr1
	s_and_saveexec_b64 s[18:19], vcc
	s_xor_b64 s[18:19], exec, s[18:19]
; %bb.2460:                             ;   in Loop: Header=BB4_2190 Depth=2
	v_cmp_lt_u64_e32 vcc, s[58:59], v[50:51]
	v_add_u32_e32 v1, 7, v4
	v_cndmask_b32_e32 v1, v2, v1, vcc
	v_cndmask_b32_e64 v2, 0, 1, vcc
	v_lshrrev_b64 v[18:19], v2, v[50:51]
; %bb.2461:                             ;   in Loop: Header=BB4_2190 Depth=2
	s_andn2_saveexec_b64 s[18:19], s[18:19]
; %bb.2462:                             ;   in Loop: Header=BB4_2190 Depth=2
	v_mov_b32_e32 v18, v50
	v_bfe_u32 v1, v50, 23, 1
	v_mov_b32_e32 v19, v51
; %bb.2463:                             ;   in Loop: Header=BB4_2190 Depth=2
	s_or_b64 exec, exec, s[18:19]
	v_lshrrev_b64 v[4:5], 20, v[18:19]
	v_cmp_gt_i32_e32 vcc, 16, v1
	v_cndmask_b32_e32 v5, 0, v5, vcc
	v_cndmask_b32_e32 v4, 7, v4, vcc
	v_cmp_eq_u32_e32 vcc, 0, v1
	v_min_i32_e32 v1, 15, v1
	v_cmp_eq_u64_e64 s[18:19], 0, v[4:5]
	v_lshlrev_b32_e32 v1, 3, v1
	v_and_b32_e32 v1, 0xf8, v1
	v_and_or_b32 v1, v4, 7, v1
	s_and_b64 s[18:19], vcc, s[18:19]
	v_cndmask_b32_e64 v1, v1, 0, s[18:19]
	v_or_b32_e32 v58, v1, v0
.LBB4_2464:                             ;   in Loop: Header=BB4_2190 Depth=2
	s_or_b64 exec, exec, s[88:89]
                                        ; implicit-def: $vgpr0
.LBB4_2465:                             ;   in Loop: Header=BB4_2190 Depth=2
	s_andn2_saveexec_b64 s[18:19], s[78:79]
; %bb.2466:                             ;   in Loop: Header=BB4_2190 Depth=2
	v_or_b32_e32 v58, 0x7e, v0
; %bb.2467:                             ;   in Loop: Header=BB4_2190 Depth=2
	s_or_b64 exec, exec, s[18:19]
                                        ; implicit-def: $vgpr1
.LBB4_2468:                             ;   in Loop: Header=BB4_2190 Depth=2
	s_andn2_saveexec_b64 s[18:19], s[76:77]
; %bb.2469:                             ;   in Loop: Header=BB4_2190 Depth=2
	v_or_b32_sdwa v58, v1, s50 dst_sel:DWORD dst_unused:UNUSED_PAD src0_sel:BYTE_3 src1_sel:DWORD
; %bb.2470:                             ;   in Loop: Header=BB4_2190 Depth=2
	s_or_b64 exec, exec, s[18:19]
	v_lshrrev_b32_e32 v18, 16, v24
	v_cmp_ne_u16_sdwa s[76:77], v18, v51 src0_sel:BYTE_0 src1_sel:DWORD
	v_mov_b32_e32 v0, 0
	v_mov_b32_e32 v1, 0
	s_and_saveexec_b64 s[18:19], s[76:77]
	s_cbranch_execz .LBB4_2476
; %bb.2471:                             ;   in Loop: Header=BB4_2190 Depth=2
	v_cmp_ne_u16_sdwa s[78:79], v18, s49 src0_sel:BYTE_0 src1_sel:DWORD
	v_bfrev_b32_e32 v1, 1
	s_and_saveexec_b64 s[76:77], s[78:79]
	s_cbranch_execz .LBB4_2475
; %bb.2472:                             ;   in Loop: Header=BB4_2190 Depth=2
	v_bfe_u32 v2, v24, 16, 7
	v_cmp_ne_u32_e32 vcc, s50, v2
	v_mov_b32_e32 v1, 0x7f800001
	s_and_saveexec_b64 s[78:79], vcc
	s_cbranch_execz .LBB4_2474
; %bb.2473:                             ;   in Loop: Header=BB4_2190 Depth=2
	v_and_b32_e32 v4, 7, v18
	v_ffbh_u32_e32 v1, v4
	v_min_u32_e32 v19, 32, v1
	v_subrev_u32_e32 v1, 28, v19
	v_lshrrev_b32_e32 v5, 3, v2
	v_cmp_gt_u32_e32 vcc, 8, v2
	v_lshlrev_b64 v[1:2], v1, v[18:19]
	v_sub_u32_e32 v2, 29, v19
	v_and_b32_e32 v1, 7, v1
	v_cndmask_b32_e32 v2, v5, v2, vcc
	v_cndmask_b32_e32 v1, v4, v1, vcc
	v_lshlrev_b32_e32 v4, 24, v18
	v_lshlrev_b32_e32 v1, 20, v1
	v_and_b32_e32 v4, 0x80000000, v4
	v_lshl_add_u32 v2, v2, 23, v62
	v_or3_b32 v1, v4, v2, v1
.LBB4_2474:                             ;   in Loop: Header=BB4_2190 Depth=2
	s_or_b64 exec, exec, s[78:79]
.LBB4_2475:                             ;   in Loop: Header=BB4_2190 Depth=2
	s_or_b64 exec, exec, s[76:77]
.LBB4_2476:                             ;   in Loop: Header=BB4_2190 Depth=2
	s_or_b64 exec, exec, s[18:19]
	v_lshrrev_b32_e32 v18, 16, v20
	v_cmp_ne_u16_sdwa s[76:77], v18, v51 src0_sel:BYTE_0 src1_sel:DWORD
	s_and_saveexec_b64 s[18:19], s[76:77]
	s_cbranch_execz .LBB4_2482
; %bb.2477:                             ;   in Loop: Header=BB4_2190 Depth=2
	v_cmp_ne_u16_sdwa s[78:79], v18, s49 src0_sel:BYTE_0 src1_sel:DWORD
	v_bfrev_b32_e32 v0, 1
	s_and_saveexec_b64 s[76:77], s[78:79]
	s_cbranch_execz .LBB4_2481
; %bb.2478:                             ;   in Loop: Header=BB4_2190 Depth=2
	v_bfe_u32 v2, v20, 16, 7
	v_cmp_ne_u32_e32 vcc, s50, v2
	v_mov_b32_e32 v0, 0x7f800001
	s_and_saveexec_b64 s[78:79], vcc
	s_cbranch_execz .LBB4_2480
; %bb.2479:                             ;   in Loop: Header=BB4_2190 Depth=2
	v_and_b32_e32 v0, 7, v18
	v_lshrrev_b32_e32 v19, 3, v2
	v_cmp_gt_u32_e32 vcc, 8, v2
	v_ffbh_u32_e32 v2, v0
	v_min_u32_e32 v2, 32, v2
	v_subrev_u32_e32 v4, 28, v2
	v_lshlrev_b64 v[4:5], v4, v[18:19]
	v_sub_u32_e32 v2, 29, v2
	v_and_b32_e32 v4, 7, v4
	v_cndmask_b32_e32 v2, v19, v2, vcc
	v_cndmask_b32_e32 v0, v0, v4, vcc
	v_lshlrev_b32_e32 v4, 8, v20
	v_lshlrev_b32_e32 v0, 20, v0
	v_and_b32_e32 v4, 0x80000000, v4
	v_lshl_add_u32 v2, v2, 23, v62
	v_or3_b32 v0, v4, v2, v0
.LBB4_2480:                             ;   in Loop: Header=BB4_2190 Depth=2
	s_or_b64 exec, exec, s[78:79]
.LBB4_2481:                             ;   in Loop: Header=BB4_2190 Depth=2
	s_or_b64 exec, exec, s[76:77]
.LBB4_2482:                             ;   in Loop: Header=BB4_2190 Depth=2
	s_or_b64 exec, exec, s[18:19]
	v_add_f32_e32 v1, v1, v0
	v_and_b32_e32 v50, 0x7f800000, v1
	v_cmp_ne_u64_e32 vcc, s[46:47], v[50:51]
                                        ; implicit-def: $vgpr59
	s_and_saveexec_b64 s[18:19], vcc
	s_xor_b64 s[76:77], exec, s[18:19]
	s_cbranch_execz .LBB4_2496
; %bb.2483:                             ;   in Loop: Header=BB4_2190 Depth=2
	v_and_b32_e32 v50, 0x7fffffff, v1
	v_cmp_gt_u64_e32 vcc, s[56:57], v[50:51]
	v_and_b32_sdwa v0, v1, s49 dst_sel:DWORD dst_unused:UNUSED_PAD src0_sel:BYTE_3 src1_sel:DWORD
                                        ; implicit-def: $vgpr59
	s_and_saveexec_b64 s[18:19], vcc
	s_xor_b64 s[78:79], exec, s[18:19]
	s_cbranch_execz .LBB4_2493
; %bb.2484:                             ;   in Loop: Header=BB4_2190 Depth=2
	v_mov_b32_e32 v59, 0
	v_cmp_ne_u32_e32 vcc, 0, v1
	s_and_saveexec_b64 s[88:89], vcc
	s_cbranch_execz .LBB4_2492
; %bb.2485:                             ;   in Loop: Header=BB4_2190 Depth=2
	v_and_b32_e32 v4, 0x7fffff, v1
	v_bfe_u32 v1, v1, 23, 8
	v_cmp_gt_u32_e64 s[18:19], s51, v1
	v_sub_u32_e32 v2, 0x79, v1
	v_cmp_eq_u32_e32 vcc, 0, v1
	v_cndmask_b32_e64 v2, 0, v2, s[18:19]
	v_or_b32_e32 v5, 0x800000, v4
	v_cndmask_b32_e32 v2, v2, v49, vcc
	v_cndmask_b32_e32 v50, v5, v4, vcc
	v_add_u32_e32 v4, 20, v2
	v_lshlrev_b64 v[4:5], v4, -1
	v_add_u32_e32 v18, 19, v2
	v_lshlrev_b64 v[18:19], v18, 1
	v_bfi_b32 v5, v5, 0, 0
	v_bfi_b32 v4, v4, 0, v50
	v_cmp_eq_u64_e64 s[18:19], v[4:5], v[18:19]
	v_lshrrev_b64 v[18:19], v2, v[50:51]
	v_mov_b32_e32 v23, v19
	v_mov_b32_e32 v22, v18
	s_and_saveexec_b64 s[90:91], s[18:19]
; %bb.2486:                             ;   in Loop: Header=BB4_2190 Depth=2
	v_bfe_u32 v4, v18, 20, 1
	v_add_co_u32_e64 v4, s[18:19], v18, v4
	v_add_co_u32_e64 v22, s[18:19], -1, v4
; %bb.2487:                             ;   in Loop: Header=BB4_2190 Depth=2
	s_or_b64 exec, exec, s[90:91]
	v_add_u32_e32 v1, 0xffffff81, v1
	v_mov_b32_e32 v4, 0xffffff82
	v_cndmask_b32_e32 v1, v1, v4, vcc
	v_lshrrev_b32_e32 v4, 23, v18
	v_add3_u32 v4, v2, v1, v4
	v_add_u32_e32 v2, 6, v4
	v_and_b32_e32 v1, 0xfffff, v22
	v_add_u32_e32 v50, v1, v18
	v_cmp_ne_u32_e32 vcc, 0, v2
                                        ; implicit-def: $vgpr18_vgpr19
                                        ; implicit-def: $vgpr1
	s_and_saveexec_b64 s[18:19], vcc
	s_xor_b64 s[18:19], exec, s[18:19]
; %bb.2488:                             ;   in Loop: Header=BB4_2190 Depth=2
	v_cmp_lt_u64_e32 vcc, s[58:59], v[50:51]
	v_add_u32_e32 v1, 7, v4
	v_cndmask_b32_e32 v1, v2, v1, vcc
	v_cndmask_b32_e64 v2, 0, 1, vcc
	v_lshrrev_b64 v[18:19], v2, v[50:51]
; %bb.2489:                             ;   in Loop: Header=BB4_2190 Depth=2
	s_andn2_saveexec_b64 s[18:19], s[18:19]
; %bb.2490:                             ;   in Loop: Header=BB4_2190 Depth=2
	v_mov_b32_e32 v18, v50
	v_bfe_u32 v1, v50, 23, 1
	v_mov_b32_e32 v19, v51
; %bb.2491:                             ;   in Loop: Header=BB4_2190 Depth=2
	s_or_b64 exec, exec, s[18:19]
	v_lshrrev_b64 v[4:5], 20, v[18:19]
	v_cmp_gt_i32_e32 vcc, 16, v1
	v_cndmask_b32_e32 v5, 0, v5, vcc
	v_cndmask_b32_e32 v4, 7, v4, vcc
	v_cmp_eq_u32_e32 vcc, 0, v1
	v_min_i32_e32 v1, 15, v1
	v_cmp_eq_u64_e64 s[18:19], 0, v[4:5]
	v_lshlrev_b32_e32 v1, 3, v1
	v_and_b32_e32 v1, 0xf8, v1
	v_and_or_b32 v1, v4, 7, v1
	s_and_b64 s[18:19], vcc, s[18:19]
	v_cndmask_b32_e64 v1, v1, 0, s[18:19]
	v_or_b32_e32 v59, v1, v0
.LBB4_2492:                             ;   in Loop: Header=BB4_2190 Depth=2
	s_or_b64 exec, exec, s[88:89]
                                        ; implicit-def: $vgpr0
.LBB4_2493:                             ;   in Loop: Header=BB4_2190 Depth=2
	s_andn2_saveexec_b64 s[18:19], s[78:79]
; %bb.2494:                             ;   in Loop: Header=BB4_2190 Depth=2
	v_or_b32_e32 v59, 0x7e, v0
; %bb.2495:                             ;   in Loop: Header=BB4_2190 Depth=2
	s_or_b64 exec, exec, s[18:19]
                                        ; implicit-def: $vgpr1
.LBB4_2496:                             ;   in Loop: Header=BB4_2190 Depth=2
	s_andn2_saveexec_b64 s[18:19], s[76:77]
; %bb.2497:                             ;   in Loop: Header=BB4_2190 Depth=2
	v_or_b32_sdwa v59, v1, s50 dst_sel:DWORD dst_unused:UNUSED_PAD src0_sel:BYTE_3 src1_sel:DWORD
; %bb.2498:                             ;   in Loop: Header=BB4_2190 Depth=2
	s_or_b64 exec, exec, s[18:19]
	v_cmp_lt_u32_e32 vcc, s61, v24
	v_mov_b32_e32 v0, 0
	v_mov_b32_e32 v1, 0
	s_and_saveexec_b64 s[18:19], vcc
	s_cbranch_execz .LBB4_2504
; %bb.2499:                             ;   in Loop: Header=BB4_2190 Depth=2
	v_lshrrev_b32_e32 v18, 24, v24
	v_cmp_ne_u32_e32 vcc, s49, v18
	v_bfrev_b32_e32 v1, 1
	s_and_saveexec_b64 s[76:77], vcc
	s_cbranch_execz .LBB4_2503
; %bb.2500:                             ;   in Loop: Header=BB4_2190 Depth=2
	v_bfe_u32 v2, v24, 24, 7
	v_cmp_ne_u32_e32 vcc, s50, v2
	v_mov_b32_e32 v1, 0x7f800001
	s_and_saveexec_b64 s[78:79], vcc
	s_cbranch_execz .LBB4_2502
; %bb.2501:                             ;   in Loop: Header=BB4_2190 Depth=2
	v_and_b32_e32 v4, 7, v18
	v_ffbh_u32_e32 v1, v4
	v_min_u32_e32 v19, 32, v1
	v_subrev_u32_e32 v1, 28, v19
	v_lshrrev_b32_e32 v5, 3, v2
	v_cmp_gt_u32_e32 vcc, 8, v2
	v_lshlrev_b64 v[1:2], v1, v[18:19]
	v_sub_u32_e32 v2, 29, v19
	v_and_b32_e32 v1, 7, v1
	v_cndmask_b32_e32 v2, v5, v2, vcc
	v_cndmask_b32_e32 v1, v4, v1, vcc
	v_lshlrev_b32_e32 v4, 24, v18
	v_lshlrev_b32_e32 v1, 20, v1
	v_and_b32_e32 v4, 0x80000000, v4
	v_lshl_add_u32 v2, v2, 23, v62
	v_or3_b32 v1, v4, v2, v1
.LBB4_2502:                             ;   in Loop: Header=BB4_2190 Depth=2
	s_or_b64 exec, exec, s[78:79]
.LBB4_2503:                             ;   in Loop: Header=BB4_2190 Depth=2
	s_or_b64 exec, exec, s[76:77]
.LBB4_2504:                             ;   in Loop: Header=BB4_2190 Depth=2
	s_or_b64 exec, exec, s[18:19]
	v_cmp_lt_u32_e32 vcc, s61, v20
	s_and_saveexec_b64 s[18:19], vcc
	s_cbranch_execz .LBB4_2510
; %bb.2505:                             ;   in Loop: Header=BB4_2190 Depth=2
	v_lshrrev_b32_e32 v18, 24, v20
	v_cmp_ne_u32_e32 vcc, s49, v18
	v_bfrev_b32_e32 v0, 1
	s_and_saveexec_b64 s[76:77], vcc
	s_cbranch_execz .LBB4_2509
; %bb.2506:                             ;   in Loop: Header=BB4_2190 Depth=2
	v_bfe_u32 v2, v20, 24, 7
	v_cmp_ne_u32_e32 vcc, s50, v2
	v_mov_b32_e32 v0, 0x7f800001
	s_and_saveexec_b64 s[78:79], vcc
	s_cbranch_execz .LBB4_2508
; %bb.2507:                             ;   in Loop: Header=BB4_2190 Depth=2
	v_and_b32_e32 v0, 7, v18
	v_lshrrev_b32_e32 v19, 3, v2
	v_cmp_gt_u32_e32 vcc, 8, v2
	v_ffbh_u32_e32 v2, v0
	v_min_u32_e32 v2, 32, v2
	v_subrev_u32_e32 v4, 28, v2
	v_lshlrev_b64 v[4:5], v4, v[18:19]
	v_sub_u32_e32 v2, 29, v2
	v_and_b32_e32 v4, 7, v4
	v_cndmask_b32_e32 v2, v19, v2, vcc
	v_cndmask_b32_e32 v0, v0, v4, vcc
	v_lshlrev_b32_e32 v4, 24, v18
	v_lshlrev_b32_e32 v0, 20, v0
	v_and_b32_e32 v4, 0x80000000, v4
	v_lshl_add_u32 v2, v2, 23, v62
	v_or3_b32 v0, v4, v2, v0
.LBB4_2508:                             ;   in Loop: Header=BB4_2190 Depth=2
	s_or_b64 exec, exec, s[78:79]
.LBB4_2509:                             ;   in Loop: Header=BB4_2190 Depth=2
	s_or_b64 exec, exec, s[76:77]
.LBB4_2510:                             ;   in Loop: Header=BB4_2190 Depth=2
	s_or_b64 exec, exec, s[18:19]
	v_add_f32_e32 v2, v1, v0
	v_and_b32_e32 v50, 0x7f800000, v2
	v_cmp_ne_u64_e32 vcc, s[46:47], v[50:51]
                                        ; implicit-def: $vgpr0
	s_and_saveexec_b64 s[18:19], vcc
	s_xor_b64 s[76:77], exec, s[18:19]
	s_cbranch_execz .LBB4_2524
; %bb.2511:                             ;   in Loop: Header=BB4_2190 Depth=2
	v_and_b32_e32 v50, 0x7fffffff, v2
	v_cmp_gt_u64_e32 vcc, s[56:57], v[50:51]
	v_and_b32_sdwa v1, v2, s49 dst_sel:DWORD dst_unused:UNUSED_PAD src0_sel:BYTE_3 src1_sel:DWORD
                                        ; implicit-def: $vgpr0
	s_and_saveexec_b64 s[18:19], vcc
	s_xor_b64 s[78:79], exec, s[18:19]
	s_cbranch_execz .LBB4_2521
; %bb.2512:                             ;   in Loop: Header=BB4_2190 Depth=2
	v_mov_b32_e32 v0, 0
	v_cmp_ne_u32_e32 vcc, 0, v2
	s_and_saveexec_b64 s[88:89], vcc
	s_cbranch_execz .LBB4_2520
; %bb.2513:                             ;   in Loop: Header=BB4_2190 Depth=2
	v_bfe_u32 v0, v2, 23, 8
	v_and_b32_e32 v4, 0x7fffff, v2
	v_cmp_gt_u32_e64 s[18:19], s51, v0
	v_sub_u32_e32 v2, 0x79, v0
	v_cmp_eq_u32_e32 vcc, 0, v0
	v_cndmask_b32_e64 v2, 0, v2, s[18:19]
	v_or_b32_e32 v5, 0x800000, v4
	v_cndmask_b32_e32 v2, v2, v49, vcc
	v_cndmask_b32_e32 v50, v5, v4, vcc
	v_add_u32_e32 v4, 20, v2
	v_lshlrev_b64 v[4:5], v4, -1
	v_add_u32_e32 v18, 19, v2
	v_lshlrev_b64 v[18:19], v18, 1
	v_bfi_b32 v5, v5, 0, 0
	v_bfi_b32 v4, v4, 0, v50
	v_cmp_eq_u64_e64 s[18:19], v[4:5], v[18:19]
	v_lshrrev_b64 v[18:19], v2, v[50:51]
	v_mov_b32_e32 v23, v19
	v_mov_b32_e32 v22, v18
	s_and_saveexec_b64 s[90:91], s[18:19]
; %bb.2514:                             ;   in Loop: Header=BB4_2190 Depth=2
	v_bfe_u32 v4, v18, 20, 1
	v_add_co_u32_e64 v4, s[18:19], v18, v4
	v_add_co_u32_e64 v22, s[18:19], -1, v4
; %bb.2515:                             ;   in Loop: Header=BB4_2190 Depth=2
	s_or_b64 exec, exec, s[90:91]
	v_add_u32_e32 v0, 0xffffff81, v0
	v_mov_b32_e32 v4, 0xffffff82
	v_cndmask_b32_e32 v0, v0, v4, vcc
	v_lshrrev_b32_e32 v4, 23, v18
	v_add3_u32 v4, v2, v0, v4
	v_add_u32_e32 v2, 6, v4
	v_and_b32_e32 v0, 0xfffff, v22
	v_add_u32_e32 v50, v0, v18
	v_cmp_ne_u32_e32 vcc, 0, v2
                                        ; implicit-def: $vgpr18_vgpr19
                                        ; implicit-def: $vgpr0
	s_and_saveexec_b64 s[18:19], vcc
	s_xor_b64 s[18:19], exec, s[18:19]
; %bb.2516:                             ;   in Loop: Header=BB4_2190 Depth=2
	v_cmp_lt_u64_e32 vcc, s[58:59], v[50:51]
	v_add_u32_e32 v0, 7, v4
	v_cndmask_b32_e32 v0, v2, v0, vcc
	v_cndmask_b32_e64 v2, 0, 1, vcc
	v_lshrrev_b64 v[18:19], v2, v[50:51]
; %bb.2517:                             ;   in Loop: Header=BB4_2190 Depth=2
	s_andn2_saveexec_b64 s[18:19], s[18:19]
; %bb.2518:                             ;   in Loop: Header=BB4_2190 Depth=2
	v_mov_b32_e32 v18, v50
	v_bfe_u32 v0, v50, 23, 1
	v_mov_b32_e32 v19, v51
; %bb.2519:                             ;   in Loop: Header=BB4_2190 Depth=2
	s_or_b64 exec, exec, s[18:19]
	v_lshrrev_b64 v[4:5], 20, v[18:19]
	v_cmp_gt_i32_e32 vcc, 16, v0
	v_cndmask_b32_e32 v5, 0, v5, vcc
	v_cndmask_b32_e32 v4, 7, v4, vcc
	v_cmp_eq_u32_e32 vcc, 0, v0
	v_min_i32_e32 v0, 15, v0
	v_cmp_eq_u64_e64 s[18:19], 0, v[4:5]
	v_lshlrev_b32_e32 v0, 3, v0
	v_and_b32_e32 v0, 0xf8, v0
	v_and_or_b32 v0, v4, 7, v0
	s_and_b64 s[18:19], vcc, s[18:19]
	v_cndmask_b32_e64 v0, v0, 0, s[18:19]
	v_or_b32_e32 v0, v0, v1
.LBB4_2520:                             ;   in Loop: Header=BB4_2190 Depth=2
	s_or_b64 exec, exec, s[88:89]
                                        ; implicit-def: $vgpr1
.LBB4_2521:                             ;   in Loop: Header=BB4_2190 Depth=2
	s_andn2_saveexec_b64 s[18:19], s[78:79]
; %bb.2522:                             ;   in Loop: Header=BB4_2190 Depth=2
	v_or_b32_e32 v0, 0x7e, v1
; %bb.2523:                             ;   in Loop: Header=BB4_2190 Depth=2
	s_or_b64 exec, exec, s[18:19]
                                        ; implicit-def: $vgpr2
.LBB4_2524:                             ;   in Loop: Header=BB4_2190 Depth=2
	s_andn2_saveexec_b64 s[18:19], s[76:77]
; %bb.2525:                             ;   in Loop: Header=BB4_2190 Depth=2
	v_or_b32_sdwa v0, v2, s50 dst_sel:DWORD dst_unused:UNUSED_PAD src0_sel:BYTE_3 src1_sel:DWORD
; %bb.2526:                             ;   in Loop: Header=BB4_2190 Depth=2
	s_or_b64 exec, exec, s[18:19]
	v_mov_b32_e32 v50, v25
	v_cmp_ne_u16_sdwa s[76:77], v25, v51 src0_sel:BYTE_0 src1_sel:DWORD
	v_mov_b32_e32 v2, 0
	v_mov_b32_e32 v1, 0
	s_and_saveexec_b64 s[18:19], s[76:77]
	s_cbranch_execz .LBB4_2532
; %bb.2527:                             ;   in Loop: Header=BB4_2190 Depth=2
	v_cmp_ne_u16_sdwa s[78:79], v25, s49 src0_sel:BYTE_0 src1_sel:DWORD
	v_bfrev_b32_e32 v1, 1
	s_and_saveexec_b64 s[76:77], s[78:79]
	s_cbranch_execz .LBB4_2531
; %bb.2528:                             ;   in Loop: Header=BB4_2190 Depth=2
	v_and_b32_e32 v4, 0x7f, v25
	v_cmp_ne_u32_e32 vcc, s50, v4
	v_mov_b32_e32 v1, 0x7f800001
	s_and_saveexec_b64 s[78:79], vcc
	s_cbranch_execz .LBB4_2530
; %bb.2529:                             ;   in Loop: Header=BB4_2190 Depth=2
	v_and_b32_e32 v1, 7, v25
	v_ffbh_u32_e32 v1, v1
	v_min_u32_e32 v1, 32, v1
	v_lshrrev_b32_e32 v5, 3, v4
	v_cmp_gt_u32_e32 vcc, 8, v4
	v_subrev_u32_e32 v4, 28, v1
	v_sub_u32_e32 v1, 29, v1
	v_cndmask_b32_e32 v4, 0, v4, vcc
	v_cndmask_b32_e32 v1, v5, v1, vcc
	v_lshlrev_b64 v[4:5], v4, v[50:51]
	v_lshlrev_b32_e32 v5, 24, v50
	v_lshlrev_b32_e32 v4, 20, v4
	v_and_b32_e32 v4, 0x700000, v4
	v_and_b32_e32 v5, 0x80000000, v5
	v_lshl_add_u32 v1, v1, 23, v62
	v_or3_b32 v1, v5, v1, v4
.LBB4_2530:                             ;   in Loop: Header=BB4_2190 Depth=2
	s_or_b64 exec, exec, s[78:79]
.LBB4_2531:                             ;   in Loop: Header=BB4_2190 Depth=2
	s_or_b64 exec, exec, s[76:77]
.LBB4_2532:                             ;   in Loop: Header=BB4_2190 Depth=2
	s_or_b64 exec, exec, s[18:19]
	v_cmp_ne_u16_sdwa s[76:77], v21, v51 src0_sel:BYTE_0 src1_sel:DWORD
	s_and_saveexec_b64 s[18:19], s[76:77]
	s_cbranch_execz .LBB4_2538
; %bb.2533:                             ;   in Loop: Header=BB4_2190 Depth=2
	v_cmp_ne_u16_sdwa s[78:79], v21, s49 src0_sel:BYTE_0 src1_sel:DWORD
	v_bfrev_b32_e32 v2, 1
	s_and_saveexec_b64 s[76:77], s[78:79]
	s_cbranch_execz .LBB4_2537
; %bb.2534:                             ;   in Loop: Header=BB4_2190 Depth=2
	v_and_b32_e32 v4, 0x7f, v21
	v_cmp_ne_u32_e32 vcc, s50, v4
	v_mov_b32_e32 v2, 0x7f800001
	s_and_saveexec_b64 s[78:79], vcc
	s_cbranch_execz .LBB4_2536
; %bb.2535:                             ;   in Loop: Header=BB4_2190 Depth=2
	v_and_b32_e32 v2, 7, v21
	v_ffbh_u32_e32 v2, v2
	v_min_u32_e32 v2, 32, v2
	v_lshrrev_b32_e32 v5, 3, v4
	v_cmp_gt_u32_e32 vcc, 8, v4
	v_subrev_u32_e32 v4, 28, v2
	v_mov_b32_e32 v18, v21
	v_mov_b32_e32 v19, v51
	v_sub_u32_e32 v2, 29, v2
	v_cndmask_b32_e32 v4, 0, v4, vcc
	v_cndmask_b32_e32 v2, v5, v2, vcc
	v_lshlrev_b64 v[4:5], v4, v[18:19]
	v_lshlrev_b32_e32 v5, 24, v18
	v_lshlrev_b32_e32 v4, 20, v4
	v_and_b32_e32 v4, 0x700000, v4
	v_and_b32_e32 v5, 0x80000000, v5
	v_lshl_add_u32 v2, v2, 23, v62
	v_or3_b32 v2, v5, v2, v4
.LBB4_2536:                             ;   in Loop: Header=BB4_2190 Depth=2
	s_or_b64 exec, exec, s[78:79]
.LBB4_2537:                             ;   in Loop: Header=BB4_2190 Depth=2
	s_or_b64 exec, exec, s[76:77]
.LBB4_2538:                             ;   in Loop: Header=BB4_2190 Depth=2
	s_or_b64 exec, exec, s[18:19]
	v_add_f32_e32 v2, v1, v2
	v_and_b32_e32 v4, 0x7f800000, v2
	v_mov_b32_e32 v5, v51
	v_cmp_ne_u64_e32 vcc, s[46:47], v[4:5]
                                        ; implicit-def: $vgpr34
	s_and_saveexec_b64 s[18:19], vcc
	s_xor_b64 s[76:77], exec, s[18:19]
	s_cbranch_execz .LBB4_2552
; %bb.2539:                             ;   in Loop: Header=BB4_2190 Depth=2
	v_and_b32_e32 v4, 0x7fffffff, v2
	v_mov_b32_e32 v5, v51
	v_cmp_gt_u64_e32 vcc, s[56:57], v[4:5]
	v_and_b32_sdwa v1, v2, s49 dst_sel:DWORD dst_unused:UNUSED_PAD src0_sel:BYTE_3 src1_sel:DWORD
                                        ; implicit-def: $vgpr34
	s_and_saveexec_b64 s[18:19], vcc
	s_xor_b64 s[78:79], exec, s[18:19]
	s_cbranch_execz .LBB4_2549
; %bb.2540:                             ;   in Loop: Header=BB4_2190 Depth=2
	v_mov_b32_e32 v34, 0
	v_cmp_ne_u32_e32 vcc, 0, v2
	s_and_saveexec_b64 s[88:89], vcc
	s_cbranch_execz .LBB4_2548
; %bb.2541:                             ;   in Loop: Header=BB4_2190 Depth=2
	v_and_b32_e32 v5, 0x7fffff, v2
	v_bfe_u32 v2, v2, 23, 8
	v_cmp_gt_u32_e64 s[18:19], s51, v2
	v_sub_u32_e32 v4, 0x79, v2
	v_cmp_eq_u32_e32 vcc, 0, v2
	v_cndmask_b32_e64 v4, 0, v4, s[18:19]
	v_or_b32_e32 v18, 0x800000, v5
	v_cndmask_b32_e32 v4, v4, v49, vcc
	v_cndmask_b32_e32 v18, v18, v5, vcc
	v_add_u32_e32 v5, 20, v4
	v_lshlrev_b64 v[22:23], v5, -1
	v_mov_b32_e32 v19, v51
	v_add_u32_e32 v5, 19, v4
	v_bfi_b32 v22, v22, 0, v18
	v_lshlrev_b64 v[28:29], v5, 1
	v_lshrrev_b64 v[18:19], v4, v[18:19]
	v_bfi_b32 v23, v23, 0, 0
	v_cmp_eq_u64_e64 s[18:19], v[22:23], v[28:29]
	v_mov_b32_e32 v23, v19
	v_mov_b32_e32 v22, v18
	s_and_saveexec_b64 s[90:91], s[18:19]
; %bb.2542:                             ;   in Loop: Header=BB4_2190 Depth=2
	v_bfe_u32 v5, v18, 20, 1
	v_add_co_u32_e64 v5, s[18:19], v18, v5
	v_add_co_u32_e64 v22, s[18:19], -1, v5
; %bb.2543:                             ;   in Loop: Header=BB4_2190 Depth=2
	s_or_b64 exec, exec, s[90:91]
	v_add_u32_e32 v2, 0xffffff81, v2
	v_mov_b32_e32 v5, 0xffffff82
	v_cndmask_b32_e32 v2, v2, v5, vcc
	v_lshrrev_b32_e32 v5, 23, v18
	v_add3_u32 v5, v4, v2, v5
	v_add_u32_e32 v4, 6, v5
	v_and_b32_e32 v2, 0xfffff, v22
	v_add_u32_e32 v18, v2, v18
	v_mov_b32_e32 v19, v51
	v_cmp_ne_u32_e32 vcc, 0, v4
                                        ; implicit-def: $vgpr2
	s_and_saveexec_b64 s[18:19], vcc
	s_xor_b64 s[18:19], exec, s[18:19]
; %bb.2544:                             ;   in Loop: Header=BB4_2190 Depth=2
	v_cmp_lt_u64_e32 vcc, s[58:59], v[18:19]
	v_add_u32_e32 v2, 7, v5
	v_cndmask_b32_e32 v2, v4, v2, vcc
	v_cndmask_b32_e64 v4, 0, 1, vcc
	v_lshrrev_b64 v[18:19], v4, v[18:19]
; %bb.2545:                             ;   in Loop: Header=BB4_2190 Depth=2
	s_andn2_saveexec_b64 s[18:19], s[18:19]
; %bb.2546:                             ;   in Loop: Header=BB4_2190 Depth=2
	v_bfe_u32 v2, v18, 23, 1
; %bb.2547:                             ;   in Loop: Header=BB4_2190 Depth=2
	s_or_b64 exec, exec, s[18:19]
	v_lshrrev_b64 v[4:5], 20, v[18:19]
	v_cmp_gt_i32_e32 vcc, 16, v2
	v_cndmask_b32_e32 v5, 0, v5, vcc
	v_cndmask_b32_e32 v4, 7, v4, vcc
	v_cmp_eq_u32_e32 vcc, 0, v2
	v_min_i32_e32 v2, 15, v2
	v_cmp_eq_u64_e64 s[18:19], 0, v[4:5]
	v_lshlrev_b32_e32 v2, 3, v2
	v_and_b32_e32 v2, 0xf8, v2
	v_and_or_b32 v2, v4, 7, v2
	s_and_b64 s[18:19], vcc, s[18:19]
	v_cndmask_b32_e64 v2, v2, 0, s[18:19]
	v_or_b32_e32 v34, v2, v1
.LBB4_2548:                             ;   in Loop: Header=BB4_2190 Depth=2
	s_or_b64 exec, exec, s[88:89]
                                        ; implicit-def: $vgpr1
.LBB4_2549:                             ;   in Loop: Header=BB4_2190 Depth=2
	s_andn2_saveexec_b64 s[18:19], s[78:79]
; %bb.2550:                             ;   in Loop: Header=BB4_2190 Depth=2
	v_or_b32_e32 v34, 0x7e, v1
; %bb.2551:                             ;   in Loop: Header=BB4_2190 Depth=2
	s_or_b64 exec, exec, s[18:19]
                                        ; implicit-def: $vgpr2
.LBB4_2552:                             ;   in Loop: Header=BB4_2190 Depth=2
	s_andn2_saveexec_b64 s[18:19], s[76:77]
; %bb.2553:                             ;   in Loop: Header=BB4_2190 Depth=2
	v_or_b32_sdwa v34, v2, s50 dst_sel:DWORD dst_unused:UNUSED_PAD src0_sel:BYTE_3 src1_sel:DWORD
; %bb.2554:                             ;   in Loop: Header=BB4_2190 Depth=2
	s_or_b64 exec, exec, s[18:19]
	v_lshrrev_b16_e32 v18, 8, v50
	v_cmp_ne_u16_e32 vcc, 0, v18
	v_mov_b32_e32 v1, 0
	v_mov_b32_e32 v2, 0
	s_and_saveexec_b64 s[18:19], vcc
	s_cbranch_execz .LBB4_2560
; %bb.2555:                             ;   in Loop: Header=BB4_2190 Depth=2
	v_cmp_ne_u16_e32 vcc, s49, v18
	v_bfrev_b32_e32 v2, 1
	s_and_saveexec_b64 s[76:77], vcc
	s_cbranch_execz .LBB4_2559
; %bb.2556:                             ;   in Loop: Header=BB4_2190 Depth=2
	v_and_b32_e32 v4, 0x7f, v18
	v_cmp_ne_u32_e32 vcc, s50, v4
	v_mov_b32_e32 v2, 0x7f800001
	s_and_saveexec_b64 s[78:79], vcc
	s_cbranch_execz .LBB4_2558
; %bb.2557:                             ;   in Loop: Header=BB4_2190 Depth=2
	v_and_b32_e32 v2, 7, v18
	v_lshrrev_b32_e32 v19, 3, v4
	v_cmp_gt_u32_e32 vcc, 8, v4
	v_ffbh_u32_e32 v4, v2
	v_min_u32_e32 v22, 32, v4
	v_subrev_u32_e32 v4, 28, v22
	v_lshlrev_b64 v[4:5], v4, v[18:19]
	v_sub_u32_e32 v5, 29, v22
	v_and_b32_e32 v4, 7, v4
	v_cndmask_b32_e32 v5, v19, v5, vcc
	v_cndmask_b32_e32 v2, v2, v4, vcc
	v_lshlrev_b32_e32 v4, 16, v50
	v_lshlrev_b32_e32 v2, 20, v2
	v_and_b32_e32 v4, 0x80000000, v4
	v_lshl_add_u32 v5, v5, 23, v62
	v_or3_b32 v2, v4, v5, v2
.LBB4_2558:                             ;   in Loop: Header=BB4_2190 Depth=2
	s_or_b64 exec, exec, s[78:79]
.LBB4_2559:                             ;   in Loop: Header=BB4_2190 Depth=2
	s_or_b64 exec, exec, s[76:77]
.LBB4_2560:                             ;   in Loop: Header=BB4_2190 Depth=2
	s_or_b64 exec, exec, s[18:19]
	v_lshrrev_b16_e32 v18, 8, v21
	v_cmp_ne_u16_e32 vcc, 0, v18
	s_and_saveexec_b64 s[18:19], vcc
	s_cbranch_execz .LBB4_2566
; %bb.2561:                             ;   in Loop: Header=BB4_2190 Depth=2
	v_cmp_ne_u16_e32 vcc, s49, v18
	v_bfrev_b32_e32 v1, 1
	s_and_saveexec_b64 s[76:77], vcc
	s_cbranch_execz .LBB4_2565
; %bb.2562:                             ;   in Loop: Header=BB4_2190 Depth=2
	v_and_b32_e32 v4, 0x7f, v18
	v_cmp_ne_u32_e32 vcc, s50, v4
	v_mov_b32_e32 v1, 0x7f800001
	s_and_saveexec_b64 s[78:79], vcc
	s_cbranch_execz .LBB4_2564
; %bb.2563:                             ;   in Loop: Header=BB4_2190 Depth=2
	v_and_b32_e32 v1, 7, v18
	v_lshrrev_b32_e32 v19, 3, v4
	v_cmp_gt_u32_e32 vcc, 8, v4
	v_ffbh_u32_e32 v4, v1
	v_min_u32_e32 v22, 32, v4
	v_subrev_u32_e32 v4, 28, v22
	v_lshlrev_b64 v[4:5], v4, v[18:19]
	v_sub_u32_e32 v5, 29, v22
	v_and_b32_e32 v4, 7, v4
	v_cndmask_b32_e32 v5, v19, v5, vcc
	v_cndmask_b32_e32 v1, v1, v4, vcc
	v_lshlrev_b32_e32 v4, 16, v21
	v_lshlrev_b32_e32 v1, 20, v1
	v_and_b32_e32 v4, 0x80000000, v4
	v_lshl_add_u32 v5, v5, 23, v62
	v_or3_b32 v1, v4, v5, v1
.LBB4_2564:                             ;   in Loop: Header=BB4_2190 Depth=2
	s_or_b64 exec, exec, s[78:79]
.LBB4_2565:                             ;   in Loop: Header=BB4_2190 Depth=2
	s_or_b64 exec, exec, s[76:77]
.LBB4_2566:                             ;   in Loop: Header=BB4_2190 Depth=2
	s_or_b64 exec, exec, s[18:19]
	v_add_f32_e32 v2, v2, v1
	v_and_b32_e32 v50, 0x7f800000, v2
	v_cmp_ne_u64_e32 vcc, s[46:47], v[50:51]
                                        ; implicit-def: $vgpr35
	s_and_saveexec_b64 s[18:19], vcc
	s_xor_b64 s[76:77], exec, s[18:19]
	s_cbranch_execz .LBB4_2580
; %bb.2567:                             ;   in Loop: Header=BB4_2190 Depth=2
	v_and_b32_e32 v50, 0x7fffffff, v2
	v_cmp_gt_u64_e32 vcc, s[56:57], v[50:51]
	v_and_b32_sdwa v1, v2, s49 dst_sel:DWORD dst_unused:UNUSED_PAD src0_sel:BYTE_3 src1_sel:DWORD
                                        ; implicit-def: $vgpr35
	s_and_saveexec_b64 s[18:19], vcc
	s_xor_b64 s[78:79], exec, s[18:19]
	s_cbranch_execz .LBB4_2577
; %bb.2568:                             ;   in Loop: Header=BB4_2190 Depth=2
	v_mov_b32_e32 v35, 0
	v_cmp_ne_u32_e32 vcc, 0, v2
	s_and_saveexec_b64 s[88:89], vcc
	s_cbranch_execz .LBB4_2576
; %bb.2569:                             ;   in Loop: Header=BB4_2190 Depth=2
	v_and_b32_e32 v5, 0x7fffff, v2
	v_bfe_u32 v2, v2, 23, 8
	v_cmp_gt_u32_e64 s[18:19], s51, v2
	v_sub_u32_e32 v4, 0x79, v2
	v_cmp_eq_u32_e32 vcc, 0, v2
	v_cndmask_b32_e64 v4, 0, v4, s[18:19]
	v_or_b32_e32 v18, 0x800000, v5
	v_cndmask_b32_e32 v4, v4, v49, vcc
	v_cndmask_b32_e32 v50, v18, v5, vcc
	v_add_u32_e32 v5, 20, v4
	v_lshlrev_b64 v[18:19], v5, -1
	v_add_u32_e32 v5, 19, v4
	v_lshlrev_b64 v[22:23], v5, 1
	v_bfi_b32 v19, v19, 0, 0
	v_bfi_b32 v18, v18, 0, v50
	v_cmp_eq_u64_e64 s[18:19], v[18:19], v[22:23]
	v_lshrrev_b64 v[18:19], v4, v[50:51]
	v_mov_b32_e32 v23, v19
	v_mov_b32_e32 v22, v18
	s_and_saveexec_b64 s[90:91], s[18:19]
; %bb.2570:                             ;   in Loop: Header=BB4_2190 Depth=2
	v_bfe_u32 v5, v18, 20, 1
	v_add_co_u32_e64 v5, s[18:19], v18, v5
	v_add_co_u32_e64 v22, s[18:19], -1, v5
; %bb.2571:                             ;   in Loop: Header=BB4_2190 Depth=2
	s_or_b64 exec, exec, s[90:91]
	v_add_u32_e32 v2, 0xffffff81, v2
	v_mov_b32_e32 v5, 0xffffff82
	v_cndmask_b32_e32 v2, v2, v5, vcc
	v_lshrrev_b32_e32 v5, 23, v18
	v_add3_u32 v5, v4, v2, v5
	v_add_u32_e32 v4, 6, v5
	v_and_b32_e32 v2, 0xfffff, v22
	v_add_u32_e32 v50, v2, v18
	v_cmp_ne_u32_e32 vcc, 0, v4
                                        ; implicit-def: $vgpr18_vgpr19
                                        ; implicit-def: $vgpr2
	s_and_saveexec_b64 s[18:19], vcc
	s_xor_b64 s[18:19], exec, s[18:19]
; %bb.2572:                             ;   in Loop: Header=BB4_2190 Depth=2
	v_cmp_lt_u64_e32 vcc, s[58:59], v[50:51]
	v_add_u32_e32 v2, 7, v5
	v_cndmask_b32_e32 v2, v4, v2, vcc
	v_cndmask_b32_e64 v4, 0, 1, vcc
	v_lshrrev_b64 v[18:19], v4, v[50:51]
; %bb.2573:                             ;   in Loop: Header=BB4_2190 Depth=2
	s_andn2_saveexec_b64 s[18:19], s[18:19]
; %bb.2574:                             ;   in Loop: Header=BB4_2190 Depth=2
	v_mov_b32_e32 v18, v50
	v_bfe_u32 v2, v50, 23, 1
	v_mov_b32_e32 v19, v51
; %bb.2575:                             ;   in Loop: Header=BB4_2190 Depth=2
	s_or_b64 exec, exec, s[18:19]
	v_lshrrev_b64 v[4:5], 20, v[18:19]
	v_cmp_gt_i32_e32 vcc, 16, v2
	v_cndmask_b32_e32 v5, 0, v5, vcc
	v_cndmask_b32_e32 v4, 7, v4, vcc
	v_cmp_eq_u32_e32 vcc, 0, v2
	v_min_i32_e32 v2, 15, v2
	v_cmp_eq_u64_e64 s[18:19], 0, v[4:5]
	v_lshlrev_b32_e32 v2, 3, v2
	v_and_b32_e32 v2, 0xf8, v2
	v_and_or_b32 v2, v4, 7, v2
	s_and_b64 s[18:19], vcc, s[18:19]
	v_cndmask_b32_e64 v2, v2, 0, s[18:19]
	v_or_b32_e32 v35, v2, v1
.LBB4_2576:                             ;   in Loop: Header=BB4_2190 Depth=2
	s_or_b64 exec, exec, s[88:89]
                                        ; implicit-def: $vgpr1
.LBB4_2577:                             ;   in Loop: Header=BB4_2190 Depth=2
	s_andn2_saveexec_b64 s[18:19], s[78:79]
; %bb.2578:                             ;   in Loop: Header=BB4_2190 Depth=2
	v_or_b32_e32 v35, 0x7e, v1
; %bb.2579:                             ;   in Loop: Header=BB4_2190 Depth=2
	s_or_b64 exec, exec, s[18:19]
                                        ; implicit-def: $vgpr2
.LBB4_2580:                             ;   in Loop: Header=BB4_2190 Depth=2
	s_andn2_saveexec_b64 s[18:19], s[76:77]
; %bb.2581:                             ;   in Loop: Header=BB4_2190 Depth=2
	v_or_b32_sdwa v35, v2, s50 dst_sel:DWORD dst_unused:UNUSED_PAD src0_sel:BYTE_3 src1_sel:DWORD
; %bb.2582:                             ;   in Loop: Header=BB4_2190 Depth=2
	s_or_b64 exec, exec, s[18:19]
	v_lshrrev_b32_e32 v18, 16, v25
	v_cmp_ne_u16_sdwa s[76:77], v18, v51 src0_sel:BYTE_0 src1_sel:DWORD
	v_mov_b32_e32 v1, 0
	v_mov_b32_e32 v2, 0
	s_and_saveexec_b64 s[18:19], s[76:77]
	s_cbranch_execz .LBB4_2588
; %bb.2583:                             ;   in Loop: Header=BB4_2190 Depth=2
	v_cmp_ne_u16_sdwa s[78:79], v18, s49 src0_sel:BYTE_0 src1_sel:DWORD
	v_bfrev_b32_e32 v2, 1
	s_and_saveexec_b64 s[76:77], s[78:79]
	s_cbranch_execz .LBB4_2587
; %bb.2584:                             ;   in Loop: Header=BB4_2190 Depth=2
	v_bfe_u32 v4, v25, 16, 7
	v_cmp_ne_u32_e32 vcc, s50, v4
	v_mov_b32_e32 v2, 0x7f800001
	s_and_saveexec_b64 s[78:79], vcc
	s_cbranch_execz .LBB4_2586
; %bb.2585:                             ;   in Loop: Header=BB4_2190 Depth=2
	v_and_b32_e32 v2, 7, v18
	v_lshrrev_b32_e32 v19, 3, v4
	v_cmp_gt_u32_e32 vcc, 8, v4
	v_ffbh_u32_e32 v4, v2
	v_min_u32_e32 v22, 32, v4
	v_subrev_u32_e32 v4, 28, v22
	v_lshlrev_b64 v[4:5], v4, v[18:19]
	v_sub_u32_e32 v5, 29, v22
	v_and_b32_e32 v4, 7, v4
	v_cndmask_b32_e32 v5, v19, v5, vcc
	v_cndmask_b32_e32 v2, v2, v4, vcc
	v_lshlrev_b32_e32 v4, 24, v18
	v_lshlrev_b32_e32 v2, 20, v2
	v_and_b32_e32 v4, 0x80000000, v4
	v_lshl_add_u32 v5, v5, 23, v62
	v_or3_b32 v2, v4, v5, v2
.LBB4_2586:                             ;   in Loop: Header=BB4_2190 Depth=2
	s_or_b64 exec, exec, s[78:79]
.LBB4_2587:                             ;   in Loop: Header=BB4_2190 Depth=2
	s_or_b64 exec, exec, s[76:77]
.LBB4_2588:                             ;   in Loop: Header=BB4_2190 Depth=2
	s_or_b64 exec, exec, s[18:19]
	v_lshrrev_b32_e32 v18, 16, v21
	v_cmp_ne_u16_sdwa s[76:77], v18, v51 src0_sel:BYTE_0 src1_sel:DWORD
	s_and_saveexec_b64 s[18:19], s[76:77]
	s_cbranch_execz .LBB4_2594
; %bb.2589:                             ;   in Loop: Header=BB4_2190 Depth=2
	v_cmp_ne_u16_sdwa s[78:79], v18, s49 src0_sel:BYTE_0 src1_sel:DWORD
	v_bfrev_b32_e32 v1, 1
	s_and_saveexec_b64 s[76:77], s[78:79]
	s_cbranch_execz .LBB4_2593
; %bb.2590:                             ;   in Loop: Header=BB4_2190 Depth=2
	v_bfe_u32 v4, v21, 16, 7
	v_cmp_ne_u32_e32 vcc, s50, v4
	v_mov_b32_e32 v1, 0x7f800001
	s_and_saveexec_b64 s[78:79], vcc
	s_cbranch_execz .LBB4_2592
; %bb.2591:                             ;   in Loop: Header=BB4_2190 Depth=2
	v_and_b32_e32 v1, 7, v18
	v_lshrrev_b32_e32 v19, 3, v4
	v_cmp_gt_u32_e32 vcc, 8, v4
	v_ffbh_u32_e32 v4, v1
	v_min_u32_e32 v22, 32, v4
	v_subrev_u32_e32 v4, 28, v22
	v_lshlrev_b64 v[4:5], v4, v[18:19]
	v_sub_u32_e32 v5, 29, v22
	v_and_b32_e32 v4, 7, v4
	v_cndmask_b32_e32 v5, v19, v5, vcc
	v_cndmask_b32_e32 v1, v1, v4, vcc
	v_lshlrev_b32_e32 v4, 8, v21
	v_lshlrev_b32_e32 v1, 20, v1
	v_and_b32_e32 v4, 0x80000000, v4
	v_lshl_add_u32 v5, v5, 23, v62
	v_or3_b32 v1, v4, v5, v1
.LBB4_2592:                             ;   in Loop: Header=BB4_2190 Depth=2
	s_or_b64 exec, exec, s[78:79]
.LBB4_2593:                             ;   in Loop: Header=BB4_2190 Depth=2
	s_or_b64 exec, exec, s[76:77]
.LBB4_2594:                             ;   in Loop: Header=BB4_2190 Depth=2
	s_or_b64 exec, exec, s[18:19]
	v_add_f32_e32 v2, v2, v1
	v_and_b32_e32 v50, 0x7f800000, v2
	v_cmp_ne_u64_e32 vcc, s[46:47], v[50:51]
                                        ; implicit-def: $vgpr22
	s_and_saveexec_b64 s[18:19], vcc
	s_xor_b64 s[76:77], exec, s[18:19]
	s_cbranch_execz .LBB4_2608
; %bb.2595:                             ;   in Loop: Header=BB4_2190 Depth=2
	v_and_b32_e32 v50, 0x7fffffff, v2
	v_cmp_gt_u64_e32 vcc, s[56:57], v[50:51]
	v_and_b32_sdwa v1, v2, s49 dst_sel:DWORD dst_unused:UNUSED_PAD src0_sel:BYTE_3 src1_sel:DWORD
                                        ; implicit-def: $vgpr22
	s_and_saveexec_b64 s[18:19], vcc
	s_xor_b64 s[78:79], exec, s[18:19]
	s_cbranch_execz .LBB4_2605
; %bb.2596:                             ;   in Loop: Header=BB4_2190 Depth=2
	v_mov_b32_e32 v22, 0
	v_cmp_ne_u32_e32 vcc, 0, v2
	s_and_saveexec_b64 s[88:89], vcc
	s_cbranch_execz .LBB4_2604
; %bb.2597:                             ;   in Loop: Header=BB4_2190 Depth=2
	v_and_b32_e32 v5, 0x7fffff, v2
	v_bfe_u32 v2, v2, 23, 8
	v_cmp_gt_u32_e64 s[18:19], s51, v2
	v_sub_u32_e32 v4, 0x79, v2
	v_cmp_eq_u32_e32 vcc, 0, v2
	v_cndmask_b32_e64 v4, 0, v4, s[18:19]
	v_or_b32_e32 v18, 0x800000, v5
	v_cndmask_b32_e32 v4, v4, v49, vcc
	v_cndmask_b32_e32 v50, v18, v5, vcc
	v_add_u32_e32 v5, 20, v4
	v_lshlrev_b64 v[18:19], v5, -1
	v_add_u32_e32 v5, 19, v4
	v_lshlrev_b64 v[22:23], v5, 1
	v_bfi_b32 v19, v19, 0, 0
	v_bfi_b32 v18, v18, 0, v50
	v_cmp_eq_u64_e64 s[18:19], v[18:19], v[22:23]
	v_lshrrev_b64 v[18:19], v4, v[50:51]
	v_mov_b32_e32 v23, v19
	v_mov_b32_e32 v22, v18
	s_and_saveexec_b64 s[90:91], s[18:19]
; %bb.2598:                             ;   in Loop: Header=BB4_2190 Depth=2
	v_bfe_u32 v5, v18, 20, 1
	v_add_co_u32_e64 v5, s[18:19], v18, v5
	v_add_co_u32_e64 v22, s[18:19], -1, v5
; %bb.2599:                             ;   in Loop: Header=BB4_2190 Depth=2
	s_or_b64 exec, exec, s[90:91]
	v_add_u32_e32 v2, 0xffffff81, v2
	v_mov_b32_e32 v5, 0xffffff82
	v_cndmask_b32_e32 v2, v2, v5, vcc
	v_lshrrev_b32_e32 v5, 23, v18
	v_add3_u32 v5, v4, v2, v5
	v_add_u32_e32 v4, 6, v5
	v_and_b32_e32 v2, 0xfffff, v22
	v_add_u32_e32 v50, v2, v18
	v_cmp_ne_u32_e32 vcc, 0, v4
                                        ; implicit-def: $vgpr18_vgpr19
                                        ; implicit-def: $vgpr2
	s_and_saveexec_b64 s[18:19], vcc
	s_xor_b64 s[18:19], exec, s[18:19]
; %bb.2600:                             ;   in Loop: Header=BB4_2190 Depth=2
	v_cmp_lt_u64_e32 vcc, s[58:59], v[50:51]
	v_add_u32_e32 v2, 7, v5
	v_cndmask_b32_e32 v2, v4, v2, vcc
	v_cndmask_b32_e64 v4, 0, 1, vcc
	v_lshrrev_b64 v[18:19], v4, v[50:51]
; %bb.2601:                             ;   in Loop: Header=BB4_2190 Depth=2
	s_andn2_saveexec_b64 s[18:19], s[18:19]
; %bb.2602:                             ;   in Loop: Header=BB4_2190 Depth=2
	v_mov_b32_e32 v18, v50
	v_bfe_u32 v2, v50, 23, 1
	v_mov_b32_e32 v19, v51
; %bb.2603:                             ;   in Loop: Header=BB4_2190 Depth=2
	s_or_b64 exec, exec, s[18:19]
	v_lshrrev_b64 v[4:5], 20, v[18:19]
	v_cmp_gt_i32_e32 vcc, 16, v2
	v_cndmask_b32_e32 v5, 0, v5, vcc
	v_cndmask_b32_e32 v4, 7, v4, vcc
	v_cmp_eq_u32_e32 vcc, 0, v2
	v_min_i32_e32 v2, 15, v2
	v_cmp_eq_u64_e64 s[18:19], 0, v[4:5]
	v_lshlrev_b32_e32 v2, 3, v2
	v_and_b32_e32 v2, 0xf8, v2
	v_and_or_b32 v2, v4, 7, v2
	s_and_b64 s[18:19], vcc, s[18:19]
	v_cndmask_b32_e64 v2, v2, 0, s[18:19]
	v_or_b32_e32 v22, v2, v1
.LBB4_2604:                             ;   in Loop: Header=BB4_2190 Depth=2
	s_or_b64 exec, exec, s[88:89]
                                        ; implicit-def: $vgpr1
.LBB4_2605:                             ;   in Loop: Header=BB4_2190 Depth=2
	s_andn2_saveexec_b64 s[18:19], s[78:79]
; %bb.2606:                             ;   in Loop: Header=BB4_2190 Depth=2
	v_or_b32_e32 v22, 0x7e, v1
; %bb.2607:                             ;   in Loop: Header=BB4_2190 Depth=2
	s_or_b64 exec, exec, s[18:19]
                                        ; implicit-def: $vgpr2
.LBB4_2608:                             ;   in Loop: Header=BB4_2190 Depth=2
	s_andn2_saveexec_b64 s[18:19], s[76:77]
; %bb.2609:                             ;   in Loop: Header=BB4_2190 Depth=2
	v_or_b32_sdwa v22, v2, s50 dst_sel:DWORD dst_unused:UNUSED_PAD src0_sel:BYTE_3 src1_sel:DWORD
; %bb.2610:                             ;   in Loop: Header=BB4_2190 Depth=2
	s_or_b64 exec, exec, s[18:19]
	v_cmp_lt_u64_e32 vcc, s[60:61], v[24:25]
	v_mov_b32_e32 v1, 0
	v_mov_b32_e32 v2, 0
	s_and_saveexec_b64 s[18:19], vcc
	s_cbranch_execz .LBB4_2616
; %bb.2611:                             ;   in Loop: Header=BB4_2190 Depth=2
	v_lshrrev_b32_e32 v18, 24, v25
	v_cmp_ne_u32_e32 vcc, s49, v18
	v_bfrev_b32_e32 v2, 1
	s_and_saveexec_b64 s[76:77], vcc
	s_cbranch_execz .LBB4_2615
; %bb.2612:                             ;   in Loop: Header=BB4_2190 Depth=2
	v_bfe_u32 v4, v25, 24, 7
	v_cmp_ne_u32_e32 vcc, s50, v4
	v_mov_b32_e32 v2, 0x7f800001
	s_and_saveexec_b64 s[78:79], vcc
	s_cbranch_execz .LBB4_2614
; %bb.2613:                             ;   in Loop: Header=BB4_2190 Depth=2
	v_and_b32_e32 v2, 7, v18
	v_lshrrev_b32_e32 v19, 3, v4
	v_cmp_gt_u32_e32 vcc, 8, v4
	v_ffbh_u32_e32 v4, v2
	v_min_u32_e32 v23, 32, v4
	v_subrev_u32_e32 v4, 28, v23
	v_lshlrev_b64 v[4:5], v4, v[18:19]
	v_sub_u32_e32 v5, 29, v23
	v_and_b32_e32 v4, 7, v4
	v_cndmask_b32_e32 v5, v19, v5, vcc
	v_cndmask_b32_e32 v2, v2, v4, vcc
	v_lshlrev_b32_e32 v4, 24, v18
	v_lshlrev_b32_e32 v2, 20, v2
	v_and_b32_e32 v4, 0x80000000, v4
	v_lshl_add_u32 v5, v5, 23, v62
	v_or3_b32 v2, v4, v5, v2
.LBB4_2614:                             ;   in Loop: Header=BB4_2190 Depth=2
	s_or_b64 exec, exec, s[78:79]
.LBB4_2615:                             ;   in Loop: Header=BB4_2190 Depth=2
	s_or_b64 exec, exec, s[76:77]
.LBB4_2616:                             ;   in Loop: Header=BB4_2190 Depth=2
	s_or_b64 exec, exec, s[18:19]
	v_cmp_lt_u64_e32 vcc, s[60:61], v[20:21]
	s_and_saveexec_b64 s[18:19], vcc
	s_cbranch_execz .LBB4_2622
; %bb.2617:                             ;   in Loop: Header=BB4_2190 Depth=2
	v_lshrrev_b32_e32 v18, 24, v21
	v_cmp_ne_u32_e32 vcc, s49, v18
	v_bfrev_b32_e32 v1, 1
	s_and_saveexec_b64 s[76:77], vcc
	s_cbranch_execz .LBB4_2621
; %bb.2618:                             ;   in Loop: Header=BB4_2190 Depth=2
	v_bfe_u32 v4, v21, 24, 7
	v_cmp_ne_u32_e32 vcc, s50, v4
	v_mov_b32_e32 v1, 0x7f800001
	s_and_saveexec_b64 s[78:79], vcc
	s_cbranch_execz .LBB4_2620
; %bb.2619:                             ;   in Loop: Header=BB4_2190 Depth=2
	v_and_b32_e32 v1, 7, v18
	v_lshrrev_b32_e32 v19, 3, v4
	v_cmp_gt_u32_e32 vcc, 8, v4
	v_ffbh_u32_e32 v4, v1
	v_min_u32_e32 v20, 32, v4
	v_subrev_u32_e32 v4, 28, v20
	v_lshlrev_b64 v[4:5], v4, v[18:19]
	v_sub_u32_e32 v5, 29, v20
	v_and_b32_e32 v4, 7, v4
	v_cndmask_b32_e32 v5, v19, v5, vcc
	v_cndmask_b32_e32 v1, v1, v4, vcc
	v_lshlrev_b32_e32 v4, 24, v18
	v_lshlrev_b32_e32 v1, 20, v1
	v_and_b32_e32 v4, 0x80000000, v4
	v_lshl_add_u32 v5, v5, 23, v62
	v_or3_b32 v1, v4, v5, v1
.LBB4_2620:                             ;   in Loop: Header=BB4_2190 Depth=2
	s_or_b64 exec, exec, s[78:79]
.LBB4_2621:                             ;   in Loop: Header=BB4_2190 Depth=2
	s_or_b64 exec, exec, s[76:77]
.LBB4_2622:                             ;   in Loop: Header=BB4_2190 Depth=2
	s_or_b64 exec, exec, s[18:19]
	v_add_f32_e32 v2, v2, v1
	v_and_b32_e32 v50, 0x7f800000, v2
	v_cmp_ne_u64_e32 vcc, s[46:47], v[50:51]
                                        ; implicit-def: $vgpr21
	s_and_saveexec_b64 s[18:19], vcc
	s_xor_b64 s[76:77], exec, s[18:19]
	s_cbranch_execz .LBB4_2636
; %bb.2623:                             ;   in Loop: Header=BB4_2190 Depth=2
	v_and_b32_e32 v50, 0x7fffffff, v2
	v_cmp_gt_u64_e32 vcc, s[56:57], v[50:51]
	v_and_b32_sdwa v1, v2, s49 dst_sel:DWORD dst_unused:UNUSED_PAD src0_sel:BYTE_3 src1_sel:DWORD
                                        ; implicit-def: $vgpr21
	s_and_saveexec_b64 s[18:19], vcc
	s_xor_b64 s[78:79], exec, s[18:19]
	s_cbranch_execz .LBB4_2633
; %bb.2624:                             ;   in Loop: Header=BB4_2190 Depth=2
	v_mov_b32_e32 v21, 0
	v_cmp_ne_u32_e32 vcc, 0, v2
	s_and_saveexec_b64 s[88:89], vcc
	s_cbranch_execz .LBB4_2632
; %bb.2625:                             ;   in Loop: Header=BB4_2190 Depth=2
	v_and_b32_e32 v5, 0x7fffff, v2
	v_bfe_u32 v2, v2, 23, 8
	v_cmp_gt_u32_e64 s[18:19], s51, v2
	v_sub_u32_e32 v4, 0x79, v2
	v_cmp_eq_u32_e32 vcc, 0, v2
	v_cndmask_b32_e64 v4, 0, v4, s[18:19]
	v_or_b32_e32 v18, 0x800000, v5
	v_cndmask_b32_e32 v4, v4, v49, vcc
	v_cndmask_b32_e32 v50, v18, v5, vcc
	v_add_u32_e32 v5, 20, v4
	v_lshlrev_b64 v[18:19], v5, -1
	v_add_u32_e32 v5, 19, v4
	v_lshlrev_b64 v[20:21], v5, 1
	v_bfi_b32 v19, v19, 0, 0
	v_bfi_b32 v18, v18, 0, v50
	v_cmp_eq_u64_e64 s[18:19], v[18:19], v[20:21]
	v_lshrrev_b64 v[18:19], v4, v[50:51]
	v_mov_b32_e32 v20, v19
	v_mov_b32_e32 v19, v18
	s_and_saveexec_b64 s[90:91], s[18:19]
; %bb.2626:                             ;   in Loop: Header=BB4_2190 Depth=2
	v_bfe_u32 v5, v18, 20, 1
	v_add_co_u32_e64 v5, s[18:19], v18, v5
	v_add_co_u32_e64 v19, s[18:19], -1, v5
; %bb.2627:                             ;   in Loop: Header=BB4_2190 Depth=2
	s_or_b64 exec, exec, s[90:91]
	v_add_u32_e32 v2, 0xffffff81, v2
	v_mov_b32_e32 v5, 0xffffff82
	v_cndmask_b32_e32 v2, v2, v5, vcc
	v_lshrrev_b32_e32 v5, 23, v18
	v_add3_u32 v5, v4, v2, v5
	v_add_u32_e32 v4, 6, v5
	v_and_b32_e32 v2, 0xfffff, v19
	v_add_u32_e32 v50, v2, v18
	v_cmp_ne_u32_e32 vcc, 0, v4
                                        ; implicit-def: $vgpr18_vgpr19
                                        ; implicit-def: $vgpr2
	s_and_saveexec_b64 s[18:19], vcc
	s_xor_b64 s[18:19], exec, s[18:19]
; %bb.2628:                             ;   in Loop: Header=BB4_2190 Depth=2
	v_cmp_lt_u64_e32 vcc, s[58:59], v[50:51]
	v_add_u32_e32 v2, 7, v5
	v_cndmask_b32_e32 v2, v4, v2, vcc
	v_cndmask_b32_e64 v4, 0, 1, vcc
	v_lshrrev_b64 v[18:19], v4, v[50:51]
; %bb.2629:                             ;   in Loop: Header=BB4_2190 Depth=2
	s_andn2_saveexec_b64 s[18:19], s[18:19]
; %bb.2630:                             ;   in Loop: Header=BB4_2190 Depth=2
	v_mov_b32_e32 v18, v50
	v_bfe_u32 v2, v50, 23, 1
	v_mov_b32_e32 v19, v51
; %bb.2631:                             ;   in Loop: Header=BB4_2190 Depth=2
	s_or_b64 exec, exec, s[18:19]
	v_lshrrev_b64 v[4:5], 20, v[18:19]
	v_cmp_gt_i32_e32 vcc, 16, v2
	v_cndmask_b32_e32 v5, 0, v5, vcc
	v_cndmask_b32_e32 v4, 7, v4, vcc
	v_cmp_eq_u32_e32 vcc, 0, v2
	v_min_i32_e32 v2, 15, v2
	v_cmp_eq_u64_e64 s[18:19], 0, v[4:5]
	v_lshlrev_b32_e32 v2, 3, v2
	v_and_b32_e32 v2, 0xf8, v2
	v_and_or_b32 v2, v4, 7, v2
	s_and_b64 s[18:19], vcc, s[18:19]
	v_cndmask_b32_e64 v2, v2, 0, s[18:19]
	v_or_b32_e32 v21, v2, v1
.LBB4_2632:                             ;   in Loop: Header=BB4_2190 Depth=2
	s_or_b64 exec, exec, s[88:89]
                                        ; implicit-def: $vgpr1
.LBB4_2633:                             ;   in Loop: Header=BB4_2190 Depth=2
	s_andn2_saveexec_b64 s[18:19], s[78:79]
; %bb.2634:                             ;   in Loop: Header=BB4_2190 Depth=2
	v_or_b32_e32 v21, 0x7e, v1
; %bb.2635:                             ;   in Loop: Header=BB4_2190 Depth=2
	s_or_b64 exec, exec, s[18:19]
                                        ; implicit-def: $vgpr2
.LBB4_2636:                             ;   in Loop: Header=BB4_2190 Depth=2
	s_andn2_saveexec_b64 s[18:19], s[76:77]
; %bb.2637:                             ;   in Loop: Header=BB4_2190 Depth=2
	v_or_b32_sdwa v21, v2, s50 dst_sel:DWORD dst_unused:UNUSED_PAD src0_sel:BYTE_3 src1_sel:DWORD
; %bb.2638:                             ;   in Loop: Header=BB4_2190 Depth=2
	s_or_b64 exec, exec, s[18:19]
	v_cmp_ne_u16_sdwa s[76:77], v14, v51 src0_sel:BYTE_0 src1_sel:DWORD
	v_mov_b32_e32 v1, 0
	v_mov_b32_e32 v2, 0
	s_and_saveexec_b64 s[18:19], s[76:77]
	s_cbranch_execz .LBB4_2644
; %bb.2639:                             ;   in Loop: Header=BB4_2190 Depth=2
	v_cmp_ne_u16_sdwa s[78:79], v14, s49 src0_sel:BYTE_0 src1_sel:DWORD
	v_bfrev_b32_e32 v2, 1
	s_and_saveexec_b64 s[76:77], s[78:79]
	s_cbranch_execz .LBB4_2643
; %bb.2640:                             ;   in Loop: Header=BB4_2190 Depth=2
	v_and_b32_e32 v4, 0x7f, v14
	v_cmp_ne_u32_e32 vcc, s50, v4
	v_mov_b32_e32 v2, 0x7f800001
	s_and_saveexec_b64 s[78:79], vcc
	s_cbranch_execz .LBB4_2642
; %bb.2641:                             ;   in Loop: Header=BB4_2190 Depth=2
	v_and_b32_e32 v2, 7, v14
	v_ffbh_u32_e32 v2, v2
	v_min_u32_e32 v2, 32, v2
	v_lshrrev_b32_e32 v5, 3, v4
	v_cmp_gt_u32_e32 vcc, 8, v4
	v_subrev_u32_e32 v4, 28, v2
	v_sub_u32_e32 v2, 29, v2
	v_cndmask_b32_e32 v4, 0, v4, vcc
	v_cndmask_b32_e32 v2, v5, v2, vcc
	v_lshlrev_b64 v[4:5], v4, v[14:15]
	v_lshlrev_b32_e32 v5, 24, v14
	v_lshlrev_b32_e32 v4, 20, v4
	v_and_b32_e32 v4, 0x700000, v4
	v_and_b32_e32 v5, 0x80000000, v5
	v_lshl_add_u32 v2, v2, 23, v62
	v_or3_b32 v2, v5, v2, v4
.LBB4_2642:                             ;   in Loop: Header=BB4_2190 Depth=2
	s_or_b64 exec, exec, s[78:79]
.LBB4_2643:                             ;   in Loop: Header=BB4_2190 Depth=2
	s_or_b64 exec, exec, s[76:77]
.LBB4_2644:                             ;   in Loop: Header=BB4_2190 Depth=2
	s_or_b64 exec, exec, s[18:19]
	s_waitcnt vmcnt(0)
	v_cmp_ne_u16_sdwa s[76:77], v10, v51 src0_sel:BYTE_0 src1_sel:DWORD
	s_and_saveexec_b64 s[18:19], s[76:77]
	s_cbranch_execz .LBB4_2650
; %bb.2645:                             ;   in Loop: Header=BB4_2190 Depth=2
	v_cmp_ne_u16_sdwa s[78:79], v10, s49 src0_sel:BYTE_0 src1_sel:DWORD
	v_bfrev_b32_e32 v1, 1
	s_and_saveexec_b64 s[76:77], s[78:79]
	s_cbranch_execz .LBB4_2649
; %bb.2646:                             ;   in Loop: Header=BB4_2190 Depth=2
	v_and_b32_e32 v4, 0x7f, v10
	v_cmp_ne_u32_e32 vcc, s50, v4
	v_mov_b32_e32 v1, 0x7f800001
	s_and_saveexec_b64 s[78:79], vcc
	s_cbranch_execz .LBB4_2648
; %bb.2647:                             ;   in Loop: Header=BB4_2190 Depth=2
	v_and_b32_e32 v1, 7, v10
	v_ffbh_u32_e32 v1, v1
	v_min_u32_e32 v1, 32, v1
	v_lshrrev_b32_e32 v5, 3, v4
	v_cmp_gt_u32_e32 vcc, 8, v4
	v_subrev_u32_e32 v4, 28, v1
	v_sub_u32_e32 v1, 29, v1
	v_cndmask_b32_e32 v4, 0, v4, vcc
	v_cndmask_b32_e32 v1, v5, v1, vcc
	v_lshlrev_b64 v[4:5], v4, v[10:11]
	v_lshlrev_b32_e32 v5, 24, v10
	v_lshlrev_b32_e32 v4, 20, v4
	v_and_b32_e32 v4, 0x700000, v4
	v_and_b32_e32 v5, 0x80000000, v5
	v_lshl_add_u32 v1, v1, 23, v62
	v_or3_b32 v1, v5, v1, v4
.LBB4_2648:                             ;   in Loop: Header=BB4_2190 Depth=2
	s_or_b64 exec, exec, s[78:79]
.LBB4_2649:                             ;   in Loop: Header=BB4_2190 Depth=2
	s_or_b64 exec, exec, s[76:77]
.LBB4_2650:                             ;   in Loop: Header=BB4_2190 Depth=2
	s_or_b64 exec, exec, s[18:19]
	v_add_f32_e32 v2, v2, v1
	v_and_b32_e32 v50, 0x7f800000, v2
	v_cmp_ne_u64_e32 vcc, s[46:47], v[50:51]
                                        ; implicit-def: $vgpr23
	s_and_saveexec_b64 s[18:19], vcc
	s_xor_b64 s[76:77], exec, s[18:19]
	s_cbranch_execz .LBB4_2664
; %bb.2651:                             ;   in Loop: Header=BB4_2190 Depth=2
	v_and_b32_e32 v50, 0x7fffffff, v2
	v_cmp_gt_u64_e32 vcc, s[56:57], v[50:51]
	v_and_b32_sdwa v1, v2, s49 dst_sel:DWORD dst_unused:UNUSED_PAD src0_sel:BYTE_3 src1_sel:DWORD
                                        ; implicit-def: $vgpr23
	s_and_saveexec_b64 s[18:19], vcc
	s_xor_b64 s[78:79], exec, s[18:19]
	s_cbranch_execz .LBB4_2661
; %bb.2652:                             ;   in Loop: Header=BB4_2190 Depth=2
	v_mov_b32_e32 v23, 0
	v_cmp_ne_u32_e32 vcc, 0, v2
	s_and_saveexec_b64 s[88:89], vcc
	s_cbranch_execz .LBB4_2660
; %bb.2653:                             ;   in Loop: Header=BB4_2190 Depth=2
	v_and_b32_e32 v5, 0x7fffff, v2
	v_bfe_u32 v2, v2, 23, 8
	v_cmp_gt_u32_e64 s[18:19], s51, v2
	v_sub_u32_e32 v4, 0x79, v2
	v_cmp_eq_u32_e32 vcc, 0, v2
	v_cndmask_b32_e64 v4, 0, v4, s[18:19]
	v_or_b32_e32 v18, 0x800000, v5
	v_cndmask_b32_e32 v4, v4, v49, vcc
	v_cndmask_b32_e32 v50, v18, v5, vcc
	v_add_u32_e32 v5, 20, v4
	v_lshlrev_b64 v[18:19], v5, -1
	v_add_u32_e32 v5, 19, v4
	v_lshlrev_b64 v[23:24], v5, 1
	v_bfi_b32 v19, v19, 0, 0
	v_bfi_b32 v18, v18, 0, v50
	v_cmp_eq_u64_e64 s[18:19], v[18:19], v[23:24]
	v_lshrrev_b64 v[18:19], v4, v[50:51]
	v_mov_b32_e32 v20, v19
	v_mov_b32_e32 v19, v18
	s_and_saveexec_b64 s[90:91], s[18:19]
; %bb.2654:                             ;   in Loop: Header=BB4_2190 Depth=2
	v_bfe_u32 v5, v18, 20, 1
	v_add_co_u32_e64 v5, s[18:19], v18, v5
	v_add_co_u32_e64 v19, s[18:19], -1, v5
; %bb.2655:                             ;   in Loop: Header=BB4_2190 Depth=2
	s_or_b64 exec, exec, s[90:91]
	v_add_u32_e32 v2, 0xffffff81, v2
	v_mov_b32_e32 v5, 0xffffff82
	v_cndmask_b32_e32 v2, v2, v5, vcc
	v_lshrrev_b32_e32 v5, 23, v18
	v_add3_u32 v5, v4, v2, v5
	v_add_u32_e32 v4, 6, v5
	v_and_b32_e32 v2, 0xfffff, v19
	v_add_u32_e32 v50, v2, v18
	v_cmp_ne_u32_e32 vcc, 0, v4
                                        ; implicit-def: $vgpr18_vgpr19
                                        ; implicit-def: $vgpr2
	s_and_saveexec_b64 s[18:19], vcc
	s_xor_b64 s[18:19], exec, s[18:19]
; %bb.2656:                             ;   in Loop: Header=BB4_2190 Depth=2
	v_cmp_lt_u64_e32 vcc, s[58:59], v[50:51]
	v_add_u32_e32 v2, 7, v5
	v_cndmask_b32_e32 v2, v4, v2, vcc
	v_cndmask_b32_e64 v4, 0, 1, vcc
	v_lshrrev_b64 v[18:19], v4, v[50:51]
; %bb.2657:                             ;   in Loop: Header=BB4_2190 Depth=2
	s_andn2_saveexec_b64 s[18:19], s[18:19]
; %bb.2658:                             ;   in Loop: Header=BB4_2190 Depth=2
	v_mov_b32_e32 v18, v50
	v_bfe_u32 v2, v50, 23, 1
	v_mov_b32_e32 v19, v51
; %bb.2659:                             ;   in Loop: Header=BB4_2190 Depth=2
	s_or_b64 exec, exec, s[18:19]
	v_lshrrev_b64 v[4:5], 20, v[18:19]
	v_cmp_gt_i32_e32 vcc, 16, v2
	v_cndmask_b32_e32 v5, 0, v5, vcc
	v_cndmask_b32_e32 v4, 7, v4, vcc
	v_cmp_eq_u32_e32 vcc, 0, v2
	v_min_i32_e32 v2, 15, v2
	v_cmp_eq_u64_e64 s[18:19], 0, v[4:5]
	v_lshlrev_b32_e32 v2, 3, v2
	v_and_b32_e32 v2, 0xf8, v2
	v_and_or_b32 v2, v4, 7, v2
	s_and_b64 s[18:19], vcc, s[18:19]
	v_cndmask_b32_e64 v2, v2, 0, s[18:19]
	v_or_b32_e32 v23, v2, v1
.LBB4_2660:                             ;   in Loop: Header=BB4_2190 Depth=2
	s_or_b64 exec, exec, s[88:89]
                                        ; implicit-def: $vgpr1
.LBB4_2661:                             ;   in Loop: Header=BB4_2190 Depth=2
	s_andn2_saveexec_b64 s[18:19], s[78:79]
; %bb.2662:                             ;   in Loop: Header=BB4_2190 Depth=2
	v_or_b32_e32 v23, 0x7e, v1
; %bb.2663:                             ;   in Loop: Header=BB4_2190 Depth=2
	s_or_b64 exec, exec, s[18:19]
                                        ; implicit-def: $vgpr2
.LBB4_2664:                             ;   in Loop: Header=BB4_2190 Depth=2
	s_andn2_saveexec_b64 s[18:19], s[76:77]
; %bb.2665:                             ;   in Loop: Header=BB4_2190 Depth=2
	v_or_b32_sdwa v23, v2, s50 dst_sel:DWORD dst_unused:UNUSED_PAD src0_sel:BYTE_3 src1_sel:DWORD
; %bb.2666:                             ;   in Loop: Header=BB4_2190 Depth=2
	s_or_b64 exec, exec, s[18:19]
	v_lshrrev_b16_e32 v18, 8, v14
	v_cmp_ne_u16_e32 vcc, 0, v18
	v_mov_b32_e32 v1, 0
	v_mov_b32_e32 v2, 0
	s_and_saveexec_b64 s[18:19], vcc
	s_cbranch_execz .LBB4_2672
; %bb.2667:                             ;   in Loop: Header=BB4_2190 Depth=2
	v_cmp_ne_u16_e32 vcc, s49, v18
	v_bfrev_b32_e32 v2, 1
	s_and_saveexec_b64 s[76:77], vcc
	s_cbranch_execz .LBB4_2671
; %bb.2668:                             ;   in Loop: Header=BB4_2190 Depth=2
	v_and_b32_e32 v4, 0x7f, v18
	v_cmp_ne_u32_e32 vcc, s50, v4
	v_mov_b32_e32 v2, 0x7f800001
	s_and_saveexec_b64 s[78:79], vcc
	s_cbranch_execz .LBB4_2670
; %bb.2669:                             ;   in Loop: Header=BB4_2190 Depth=2
	v_and_b32_e32 v2, 7, v18
	v_lshrrev_b32_e32 v19, 3, v4
	v_cmp_gt_u32_e32 vcc, 8, v4
	v_ffbh_u32_e32 v4, v2
	v_min_u32_e32 v20, 32, v4
	v_subrev_u32_e32 v4, 28, v20
	v_lshlrev_b64 v[4:5], v4, v[18:19]
	v_sub_u32_e32 v5, 29, v20
	v_and_b32_e32 v4, 7, v4
	v_cndmask_b32_e32 v5, v19, v5, vcc
	v_cndmask_b32_e32 v2, v2, v4, vcc
	v_lshlrev_b32_e32 v4, 16, v14
	v_lshlrev_b32_e32 v2, 20, v2
	v_and_b32_e32 v4, 0x80000000, v4
	v_lshl_add_u32 v5, v5, 23, v62
	v_or3_b32 v2, v4, v5, v2
.LBB4_2670:                             ;   in Loop: Header=BB4_2190 Depth=2
	s_or_b64 exec, exec, s[78:79]
.LBB4_2671:                             ;   in Loop: Header=BB4_2190 Depth=2
	s_or_b64 exec, exec, s[76:77]
.LBB4_2672:                             ;   in Loop: Header=BB4_2190 Depth=2
	s_or_b64 exec, exec, s[18:19]
	v_lshrrev_b16_e32 v18, 8, v10
	v_cmp_ne_u16_e32 vcc, 0, v18
	s_and_saveexec_b64 s[18:19], vcc
	s_cbranch_execz .LBB4_2678
; %bb.2673:                             ;   in Loop: Header=BB4_2190 Depth=2
	v_cmp_ne_u16_e32 vcc, s49, v18
	v_bfrev_b32_e32 v1, 1
	s_and_saveexec_b64 s[76:77], vcc
	s_cbranch_execz .LBB4_2677
; %bb.2674:                             ;   in Loop: Header=BB4_2190 Depth=2
	v_and_b32_e32 v4, 0x7f, v18
	v_cmp_ne_u32_e32 vcc, s50, v4
	v_mov_b32_e32 v1, 0x7f800001
	s_and_saveexec_b64 s[78:79], vcc
	s_cbranch_execz .LBB4_2676
; %bb.2675:                             ;   in Loop: Header=BB4_2190 Depth=2
	v_and_b32_e32 v1, 7, v18
	v_lshrrev_b32_e32 v19, 3, v4
	v_cmp_gt_u32_e32 vcc, 8, v4
	v_ffbh_u32_e32 v4, v1
	v_min_u32_e32 v20, 32, v4
	v_subrev_u32_e32 v4, 28, v20
	v_lshlrev_b64 v[4:5], v4, v[18:19]
	v_sub_u32_e32 v5, 29, v20
	v_and_b32_e32 v4, 7, v4
	v_cndmask_b32_e32 v5, v19, v5, vcc
	v_cndmask_b32_e32 v1, v1, v4, vcc
	v_lshlrev_b32_e32 v4, 16, v10
	v_lshlrev_b32_e32 v1, 20, v1
	v_and_b32_e32 v4, 0x80000000, v4
	v_lshl_add_u32 v5, v5, 23, v62
	v_or3_b32 v1, v4, v5, v1
.LBB4_2676:                             ;   in Loop: Header=BB4_2190 Depth=2
	s_or_b64 exec, exec, s[78:79]
.LBB4_2677:                             ;   in Loop: Header=BB4_2190 Depth=2
	s_or_b64 exec, exec, s[76:77]
.LBB4_2678:                             ;   in Loop: Header=BB4_2190 Depth=2
	s_or_b64 exec, exec, s[18:19]
	v_add_f32_e32 v2, v2, v1
	v_and_b32_e32 v50, 0x7f800000, v2
	v_cmp_ne_u64_e32 vcc, s[46:47], v[50:51]
                                        ; implicit-def: $vgpr24
	s_and_saveexec_b64 s[18:19], vcc
	s_xor_b64 s[76:77], exec, s[18:19]
	s_cbranch_execz .LBB4_2692
; %bb.2679:                             ;   in Loop: Header=BB4_2190 Depth=2
	v_and_b32_e32 v50, 0x7fffffff, v2
	v_cmp_gt_u64_e32 vcc, s[56:57], v[50:51]
	v_and_b32_sdwa v1, v2, s49 dst_sel:DWORD dst_unused:UNUSED_PAD src0_sel:BYTE_3 src1_sel:DWORD
                                        ; implicit-def: $vgpr24
	s_and_saveexec_b64 s[18:19], vcc
	s_xor_b64 s[78:79], exec, s[18:19]
	s_cbranch_execz .LBB4_2689
; %bb.2680:                             ;   in Loop: Header=BB4_2190 Depth=2
	v_mov_b32_e32 v24, 0
	v_cmp_ne_u32_e32 vcc, 0, v2
	s_and_saveexec_b64 s[88:89], vcc
	s_cbranch_execz .LBB4_2688
; %bb.2681:                             ;   in Loop: Header=BB4_2190 Depth=2
	v_and_b32_e32 v5, 0x7fffff, v2
	v_bfe_u32 v2, v2, 23, 8
	v_cmp_gt_u32_e64 s[18:19], s51, v2
	v_sub_u32_e32 v4, 0x79, v2
	v_cmp_eq_u32_e32 vcc, 0, v2
	v_cndmask_b32_e64 v4, 0, v4, s[18:19]
	v_or_b32_e32 v18, 0x800000, v5
	v_cndmask_b32_e32 v4, v4, v49, vcc
	v_cndmask_b32_e32 v50, v18, v5, vcc
	v_add_u32_e32 v5, 20, v4
	v_lshlrev_b64 v[18:19], v5, -1
	v_add_u32_e32 v5, 19, v4
	v_lshlrev_b64 v[24:25], v5, 1
	v_bfi_b32 v19, v19, 0, 0
	v_bfi_b32 v18, v18, 0, v50
	v_cmp_eq_u64_e64 s[18:19], v[18:19], v[24:25]
	v_lshrrev_b64 v[18:19], v4, v[50:51]
	v_mov_b32_e32 v20, v19
	v_mov_b32_e32 v19, v18
	s_and_saveexec_b64 s[90:91], s[18:19]
; %bb.2682:                             ;   in Loop: Header=BB4_2190 Depth=2
	v_bfe_u32 v5, v18, 20, 1
	v_add_co_u32_e64 v5, s[18:19], v18, v5
	v_add_co_u32_e64 v19, s[18:19], -1, v5
; %bb.2683:                             ;   in Loop: Header=BB4_2190 Depth=2
	s_or_b64 exec, exec, s[90:91]
	v_add_u32_e32 v2, 0xffffff81, v2
	v_mov_b32_e32 v5, 0xffffff82
	v_cndmask_b32_e32 v2, v2, v5, vcc
	v_lshrrev_b32_e32 v5, 23, v18
	v_add3_u32 v5, v4, v2, v5
	v_add_u32_e32 v4, 6, v5
	v_and_b32_e32 v2, 0xfffff, v19
	v_add_u32_e32 v50, v2, v18
	v_cmp_ne_u32_e32 vcc, 0, v4
                                        ; implicit-def: $vgpr18_vgpr19
                                        ; implicit-def: $vgpr2
	s_and_saveexec_b64 s[18:19], vcc
	s_xor_b64 s[18:19], exec, s[18:19]
; %bb.2684:                             ;   in Loop: Header=BB4_2190 Depth=2
	v_cmp_lt_u64_e32 vcc, s[58:59], v[50:51]
	v_add_u32_e32 v2, 7, v5
	v_cndmask_b32_e32 v2, v4, v2, vcc
	v_cndmask_b32_e64 v4, 0, 1, vcc
	v_lshrrev_b64 v[18:19], v4, v[50:51]
; %bb.2685:                             ;   in Loop: Header=BB4_2190 Depth=2
	s_andn2_saveexec_b64 s[18:19], s[18:19]
; %bb.2686:                             ;   in Loop: Header=BB4_2190 Depth=2
	v_mov_b32_e32 v18, v50
	v_bfe_u32 v2, v50, 23, 1
	v_mov_b32_e32 v19, v51
; %bb.2687:                             ;   in Loop: Header=BB4_2190 Depth=2
	s_or_b64 exec, exec, s[18:19]
	v_lshrrev_b64 v[4:5], 20, v[18:19]
	v_cmp_gt_i32_e32 vcc, 16, v2
	v_cndmask_b32_e32 v5, 0, v5, vcc
	v_cndmask_b32_e32 v4, 7, v4, vcc
	v_cmp_eq_u32_e32 vcc, 0, v2
	v_min_i32_e32 v2, 15, v2
	v_cmp_eq_u64_e64 s[18:19], 0, v[4:5]
	v_lshlrev_b32_e32 v2, 3, v2
	v_and_b32_e32 v2, 0xf8, v2
	v_and_or_b32 v2, v4, 7, v2
	s_and_b64 s[18:19], vcc, s[18:19]
	v_cndmask_b32_e64 v2, v2, 0, s[18:19]
	v_or_b32_e32 v24, v2, v1
.LBB4_2688:                             ;   in Loop: Header=BB4_2190 Depth=2
	s_or_b64 exec, exec, s[88:89]
                                        ; implicit-def: $vgpr1
.LBB4_2689:                             ;   in Loop: Header=BB4_2190 Depth=2
	s_andn2_saveexec_b64 s[18:19], s[78:79]
; %bb.2690:                             ;   in Loop: Header=BB4_2190 Depth=2
	v_or_b32_e32 v24, 0x7e, v1
; %bb.2691:                             ;   in Loop: Header=BB4_2190 Depth=2
	s_or_b64 exec, exec, s[18:19]
                                        ; implicit-def: $vgpr2
.LBB4_2692:                             ;   in Loop: Header=BB4_2190 Depth=2
	s_andn2_saveexec_b64 s[18:19], s[76:77]
; %bb.2693:                             ;   in Loop: Header=BB4_2190 Depth=2
	v_or_b32_sdwa v24, v2, s50 dst_sel:DWORD dst_unused:UNUSED_PAD src0_sel:BYTE_3 src1_sel:DWORD
; %bb.2694:                             ;   in Loop: Header=BB4_2190 Depth=2
	s_or_b64 exec, exec, s[18:19]
	v_lshrrev_b32_e32 v18, 16, v14
	v_cmp_ne_u16_sdwa s[76:77], v18, v51 src0_sel:BYTE_0 src1_sel:DWORD
	v_mov_b32_e32 v1, 0
	v_mov_b32_e32 v2, 0
	s_and_saveexec_b64 s[18:19], s[76:77]
	s_cbranch_execz .LBB4_2700
; %bb.2695:                             ;   in Loop: Header=BB4_2190 Depth=2
	v_cmp_ne_u16_sdwa s[78:79], v18, s49 src0_sel:BYTE_0 src1_sel:DWORD
	v_bfrev_b32_e32 v2, 1
	s_and_saveexec_b64 s[76:77], s[78:79]
	s_cbranch_execz .LBB4_2699
; %bb.2696:                             ;   in Loop: Header=BB4_2190 Depth=2
	v_bfe_u32 v4, v14, 16, 7
	v_cmp_ne_u32_e32 vcc, s50, v4
	v_mov_b32_e32 v2, 0x7f800001
	s_and_saveexec_b64 s[78:79], vcc
	s_cbranch_execz .LBB4_2698
; %bb.2697:                             ;   in Loop: Header=BB4_2190 Depth=2
	v_and_b32_e32 v2, 7, v18
	v_lshrrev_b32_e32 v19, 3, v4
	v_cmp_gt_u32_e32 vcc, 8, v4
	v_ffbh_u32_e32 v4, v2
	v_min_u32_e32 v20, 32, v4
	v_subrev_u32_e32 v4, 28, v20
	v_lshlrev_b64 v[4:5], v4, v[18:19]
	v_sub_u32_e32 v5, 29, v20
	v_and_b32_e32 v4, 7, v4
	v_cndmask_b32_e32 v5, v19, v5, vcc
	v_cndmask_b32_e32 v2, v2, v4, vcc
	v_lshlrev_b32_e32 v4, 24, v18
	v_lshlrev_b32_e32 v2, 20, v2
	v_and_b32_e32 v4, 0x80000000, v4
	v_lshl_add_u32 v5, v5, 23, v62
	v_or3_b32 v2, v4, v5, v2
.LBB4_2698:                             ;   in Loop: Header=BB4_2190 Depth=2
	s_or_b64 exec, exec, s[78:79]
.LBB4_2699:                             ;   in Loop: Header=BB4_2190 Depth=2
	s_or_b64 exec, exec, s[76:77]
.LBB4_2700:                             ;   in Loop: Header=BB4_2190 Depth=2
	s_or_b64 exec, exec, s[18:19]
	v_lshrrev_b32_e32 v18, 16, v10
	v_cmp_ne_u16_sdwa s[76:77], v18, v51 src0_sel:BYTE_0 src1_sel:DWORD
	s_and_saveexec_b64 s[18:19], s[76:77]
	s_cbranch_execz .LBB4_2706
; %bb.2701:                             ;   in Loop: Header=BB4_2190 Depth=2
	v_cmp_ne_u16_sdwa s[78:79], v18, s49 src0_sel:BYTE_0 src1_sel:DWORD
	v_bfrev_b32_e32 v1, 1
	s_and_saveexec_b64 s[76:77], s[78:79]
	s_cbranch_execz .LBB4_2705
; %bb.2702:                             ;   in Loop: Header=BB4_2190 Depth=2
	v_bfe_u32 v4, v10, 16, 7
	v_cmp_ne_u32_e32 vcc, s50, v4
	v_mov_b32_e32 v1, 0x7f800001
	s_and_saveexec_b64 s[78:79], vcc
	s_cbranch_execz .LBB4_2704
; %bb.2703:                             ;   in Loop: Header=BB4_2190 Depth=2
	v_and_b32_e32 v1, 7, v18
	v_lshrrev_b32_e32 v19, 3, v4
	v_cmp_gt_u32_e32 vcc, 8, v4
	v_ffbh_u32_e32 v4, v1
	v_min_u32_e32 v20, 32, v4
	v_subrev_u32_e32 v4, 28, v20
	v_lshlrev_b64 v[4:5], v4, v[18:19]
	v_sub_u32_e32 v5, 29, v20
	v_and_b32_e32 v4, 7, v4
	v_cndmask_b32_e32 v5, v19, v5, vcc
	v_cndmask_b32_e32 v1, v1, v4, vcc
	v_lshlrev_b32_e32 v4, 8, v10
	v_lshlrev_b32_e32 v1, 20, v1
	v_and_b32_e32 v4, 0x80000000, v4
	v_lshl_add_u32 v5, v5, 23, v62
	v_or3_b32 v1, v4, v5, v1
.LBB4_2704:                             ;   in Loop: Header=BB4_2190 Depth=2
	s_or_b64 exec, exec, s[78:79]
.LBB4_2705:                             ;   in Loop: Header=BB4_2190 Depth=2
	s_or_b64 exec, exec, s[76:77]
.LBB4_2706:                             ;   in Loop: Header=BB4_2190 Depth=2
	s_or_b64 exec, exec, s[18:19]
	v_add_f32_e32 v2, v2, v1
	v_and_b32_e32 v50, 0x7f800000, v2
	v_cmp_ne_u64_e32 vcc, s[46:47], v[50:51]
                                        ; implicit-def: $vgpr25
	s_and_saveexec_b64 s[18:19], vcc
	s_xor_b64 s[76:77], exec, s[18:19]
	s_cbranch_execz .LBB4_2720
; %bb.2707:                             ;   in Loop: Header=BB4_2190 Depth=2
	v_and_b32_e32 v50, 0x7fffffff, v2
	v_cmp_gt_u64_e32 vcc, s[56:57], v[50:51]
	v_and_b32_sdwa v1, v2, s49 dst_sel:DWORD dst_unused:UNUSED_PAD src0_sel:BYTE_3 src1_sel:DWORD
                                        ; implicit-def: $vgpr25
	s_and_saveexec_b64 s[18:19], vcc
	s_xor_b64 s[78:79], exec, s[18:19]
	s_cbranch_execz .LBB4_2717
; %bb.2708:                             ;   in Loop: Header=BB4_2190 Depth=2
	v_mov_b32_e32 v25, 0
	v_cmp_ne_u32_e32 vcc, 0, v2
	s_and_saveexec_b64 s[88:89], vcc
	s_cbranch_execz .LBB4_2716
; %bb.2709:                             ;   in Loop: Header=BB4_2190 Depth=2
	v_and_b32_e32 v5, 0x7fffff, v2
	v_bfe_u32 v2, v2, 23, 8
	v_cmp_gt_u32_e64 s[18:19], s51, v2
	v_sub_u32_e32 v4, 0x79, v2
	v_cmp_eq_u32_e32 vcc, 0, v2
	v_cndmask_b32_e64 v4, 0, v4, s[18:19]
	v_or_b32_e32 v18, 0x800000, v5
	v_cndmask_b32_e32 v4, v4, v49, vcc
	v_cndmask_b32_e32 v50, v18, v5, vcc
	v_add_u32_e32 v5, 20, v4
	v_lshlrev_b64 v[18:19], v5, -1
	v_add_u32_e32 v5, 19, v4
	v_lshlrev_b64 v[25:26], v5, 1
	v_bfi_b32 v19, v19, 0, 0
	v_bfi_b32 v18, v18, 0, v50
	v_cmp_eq_u64_e64 s[18:19], v[18:19], v[25:26]
	v_lshrrev_b64 v[18:19], v4, v[50:51]
	v_mov_b32_e32 v20, v19
	v_mov_b32_e32 v19, v18
	s_and_saveexec_b64 s[90:91], s[18:19]
; %bb.2710:                             ;   in Loop: Header=BB4_2190 Depth=2
	v_bfe_u32 v5, v18, 20, 1
	v_add_co_u32_e64 v5, s[18:19], v18, v5
	v_add_co_u32_e64 v19, s[18:19], -1, v5
; %bb.2711:                             ;   in Loop: Header=BB4_2190 Depth=2
	s_or_b64 exec, exec, s[90:91]
	v_add_u32_e32 v2, 0xffffff81, v2
	v_mov_b32_e32 v5, 0xffffff82
	v_cndmask_b32_e32 v2, v2, v5, vcc
	v_lshrrev_b32_e32 v5, 23, v18
	v_add3_u32 v5, v4, v2, v5
	v_add_u32_e32 v4, 6, v5
	v_and_b32_e32 v2, 0xfffff, v19
	v_add_u32_e32 v50, v2, v18
	v_cmp_ne_u32_e32 vcc, 0, v4
                                        ; implicit-def: $vgpr18_vgpr19
                                        ; implicit-def: $vgpr2
	s_and_saveexec_b64 s[18:19], vcc
	s_xor_b64 s[18:19], exec, s[18:19]
; %bb.2712:                             ;   in Loop: Header=BB4_2190 Depth=2
	v_cmp_lt_u64_e32 vcc, s[58:59], v[50:51]
	v_add_u32_e32 v2, 7, v5
	v_cndmask_b32_e32 v2, v4, v2, vcc
	v_cndmask_b32_e64 v4, 0, 1, vcc
	v_lshrrev_b64 v[18:19], v4, v[50:51]
; %bb.2713:                             ;   in Loop: Header=BB4_2190 Depth=2
	s_andn2_saveexec_b64 s[18:19], s[18:19]
; %bb.2714:                             ;   in Loop: Header=BB4_2190 Depth=2
	v_mov_b32_e32 v18, v50
	v_bfe_u32 v2, v50, 23, 1
	v_mov_b32_e32 v19, v51
; %bb.2715:                             ;   in Loop: Header=BB4_2190 Depth=2
	s_or_b64 exec, exec, s[18:19]
	v_lshrrev_b64 v[4:5], 20, v[18:19]
	v_cmp_gt_i32_e32 vcc, 16, v2
	v_cndmask_b32_e32 v5, 0, v5, vcc
	v_cndmask_b32_e32 v4, 7, v4, vcc
	v_cmp_eq_u32_e32 vcc, 0, v2
	v_min_i32_e32 v2, 15, v2
	v_cmp_eq_u64_e64 s[18:19], 0, v[4:5]
	v_lshlrev_b32_e32 v2, 3, v2
	v_and_b32_e32 v2, 0xf8, v2
	v_and_or_b32 v2, v4, 7, v2
	s_and_b64 s[18:19], vcc, s[18:19]
	v_cndmask_b32_e64 v2, v2, 0, s[18:19]
	v_or_b32_e32 v25, v2, v1
.LBB4_2716:                             ;   in Loop: Header=BB4_2190 Depth=2
	s_or_b64 exec, exec, s[88:89]
                                        ; implicit-def: $vgpr1
.LBB4_2717:                             ;   in Loop: Header=BB4_2190 Depth=2
	s_andn2_saveexec_b64 s[18:19], s[78:79]
; %bb.2718:                             ;   in Loop: Header=BB4_2190 Depth=2
	v_or_b32_e32 v25, 0x7e, v1
; %bb.2719:                             ;   in Loop: Header=BB4_2190 Depth=2
	s_or_b64 exec, exec, s[18:19]
                                        ; implicit-def: $vgpr2
.LBB4_2720:                             ;   in Loop: Header=BB4_2190 Depth=2
	s_andn2_saveexec_b64 s[18:19], s[76:77]
; %bb.2721:                             ;   in Loop: Header=BB4_2190 Depth=2
	v_or_b32_sdwa v25, v2, s50 dst_sel:DWORD dst_unused:UNUSED_PAD src0_sel:BYTE_3 src1_sel:DWORD
; %bb.2722:                             ;   in Loop: Header=BB4_2190 Depth=2
	s_or_b64 exec, exec, s[18:19]
	v_cmp_lt_u32_e32 vcc, s61, v14
	v_mov_b32_e32 v1, 0
	v_mov_b32_e32 v2, 0
	s_and_saveexec_b64 s[18:19], vcc
	s_cbranch_execz .LBB4_2728
; %bb.2723:                             ;   in Loop: Header=BB4_2190 Depth=2
	v_lshrrev_b32_e32 v18, 24, v14
	v_cmp_ne_u32_e32 vcc, s49, v18
	v_bfrev_b32_e32 v2, 1
	s_and_saveexec_b64 s[76:77], vcc
	s_cbranch_execz .LBB4_2727
; %bb.2724:                             ;   in Loop: Header=BB4_2190 Depth=2
	v_bfe_u32 v4, v14, 24, 7
	v_cmp_ne_u32_e32 vcc, s50, v4
	v_mov_b32_e32 v2, 0x7f800001
	s_and_saveexec_b64 s[78:79], vcc
	s_cbranch_execz .LBB4_2726
; %bb.2725:                             ;   in Loop: Header=BB4_2190 Depth=2
	v_and_b32_e32 v2, 7, v18
	v_lshrrev_b32_e32 v19, 3, v4
	v_cmp_gt_u32_e32 vcc, 8, v4
	v_ffbh_u32_e32 v4, v2
	v_min_u32_e32 v20, 32, v4
	v_subrev_u32_e32 v4, 28, v20
	v_lshlrev_b64 v[4:5], v4, v[18:19]
	v_sub_u32_e32 v5, 29, v20
	v_and_b32_e32 v4, 7, v4
	v_cndmask_b32_e32 v5, v19, v5, vcc
	v_cndmask_b32_e32 v2, v2, v4, vcc
	v_lshlrev_b32_e32 v4, 24, v18
	v_lshlrev_b32_e32 v2, 20, v2
	v_and_b32_e32 v4, 0x80000000, v4
	v_lshl_add_u32 v5, v5, 23, v62
	v_or3_b32 v2, v4, v5, v2
.LBB4_2726:                             ;   in Loop: Header=BB4_2190 Depth=2
	s_or_b64 exec, exec, s[78:79]
.LBB4_2727:                             ;   in Loop: Header=BB4_2190 Depth=2
	s_or_b64 exec, exec, s[76:77]
.LBB4_2728:                             ;   in Loop: Header=BB4_2190 Depth=2
	s_or_b64 exec, exec, s[18:19]
	v_cmp_lt_u32_e32 vcc, s61, v10
	s_and_saveexec_b64 s[18:19], vcc
	s_cbranch_execz .LBB4_2734
; %bb.2729:                             ;   in Loop: Header=BB4_2190 Depth=2
	v_lshrrev_b32_e32 v18, 24, v10
	v_cmp_ne_u32_e32 vcc, s49, v18
	v_bfrev_b32_e32 v1, 1
	s_and_saveexec_b64 s[76:77], vcc
	s_cbranch_execz .LBB4_2733
; %bb.2730:                             ;   in Loop: Header=BB4_2190 Depth=2
	v_bfe_u32 v4, v10, 24, 7
	v_cmp_ne_u32_e32 vcc, s50, v4
	v_mov_b32_e32 v1, 0x7f800001
	s_and_saveexec_b64 s[78:79], vcc
	s_cbranch_execz .LBB4_2732
; %bb.2731:                             ;   in Loop: Header=BB4_2190 Depth=2
	v_and_b32_e32 v1, 7, v18
	v_lshrrev_b32_e32 v19, 3, v4
	v_cmp_gt_u32_e32 vcc, 8, v4
	v_ffbh_u32_e32 v4, v1
	v_min_u32_e32 v20, 32, v4
	v_subrev_u32_e32 v4, 28, v20
	v_lshlrev_b64 v[4:5], v4, v[18:19]
	v_sub_u32_e32 v5, 29, v20
	v_and_b32_e32 v4, 7, v4
	v_cndmask_b32_e32 v5, v19, v5, vcc
	v_cndmask_b32_e32 v1, v1, v4, vcc
	v_lshlrev_b32_e32 v4, 24, v18
	v_lshlrev_b32_e32 v1, 20, v1
	v_and_b32_e32 v4, 0x80000000, v4
	v_lshl_add_u32 v5, v5, 23, v62
	v_or3_b32 v1, v4, v5, v1
.LBB4_2732:                             ;   in Loop: Header=BB4_2190 Depth=2
	s_or_b64 exec, exec, s[78:79]
.LBB4_2733:                             ;   in Loop: Header=BB4_2190 Depth=2
	s_or_b64 exec, exec, s[76:77]
.LBB4_2734:                             ;   in Loop: Header=BB4_2190 Depth=2
	s_or_b64 exec, exec, s[18:19]
	v_add_f32_e32 v2, v2, v1
	v_and_b32_e32 v50, 0x7f800000, v2
	v_cmp_ne_u64_e32 vcc, s[46:47], v[50:51]
                                        ; implicit-def: $vgpr28
	s_and_saveexec_b64 s[18:19], vcc
	s_xor_b64 s[76:77], exec, s[18:19]
	s_cbranch_execz .LBB4_2748
; %bb.2735:                             ;   in Loop: Header=BB4_2190 Depth=2
	v_and_b32_e32 v50, 0x7fffffff, v2
	v_cmp_gt_u64_e32 vcc, s[56:57], v[50:51]
	v_and_b32_sdwa v1, v2, s49 dst_sel:DWORD dst_unused:UNUSED_PAD src0_sel:BYTE_3 src1_sel:DWORD
                                        ; implicit-def: $vgpr28
	s_and_saveexec_b64 s[18:19], vcc
	s_xor_b64 s[78:79], exec, s[18:19]
	s_cbranch_execz .LBB4_2745
; %bb.2736:                             ;   in Loop: Header=BB4_2190 Depth=2
	v_mov_b32_e32 v28, 0
	v_cmp_ne_u32_e32 vcc, 0, v2
	s_and_saveexec_b64 s[88:89], vcc
	s_cbranch_execz .LBB4_2744
; %bb.2737:                             ;   in Loop: Header=BB4_2190 Depth=2
	v_and_b32_e32 v5, 0x7fffff, v2
	v_bfe_u32 v2, v2, 23, 8
	v_cmp_gt_u32_e64 s[18:19], s51, v2
	v_sub_u32_e32 v4, 0x79, v2
	v_cmp_eq_u32_e32 vcc, 0, v2
	v_cndmask_b32_e64 v4, 0, v4, s[18:19]
	v_or_b32_e32 v18, 0x800000, v5
	v_cndmask_b32_e32 v4, v4, v49, vcc
	v_cndmask_b32_e32 v50, v18, v5, vcc
	v_add_u32_e32 v5, 20, v4
	v_lshlrev_b64 v[18:19], v5, -1
	v_add_u32_e32 v5, 19, v4
	v_lshlrev_b64 v[28:29], v5, 1
	v_bfi_b32 v19, v19, 0, 0
	v_bfi_b32 v18, v18, 0, v50
	v_cmp_eq_u64_e64 s[18:19], v[18:19], v[28:29]
	v_lshrrev_b64 v[18:19], v4, v[50:51]
	v_mov_b32_e32 v20, v19
	v_mov_b32_e32 v19, v18
	s_and_saveexec_b64 s[90:91], s[18:19]
; %bb.2738:                             ;   in Loop: Header=BB4_2190 Depth=2
	v_bfe_u32 v5, v18, 20, 1
	v_add_co_u32_e64 v5, s[18:19], v18, v5
	v_add_co_u32_e64 v19, s[18:19], -1, v5
; %bb.2739:                             ;   in Loop: Header=BB4_2190 Depth=2
	s_or_b64 exec, exec, s[90:91]
	v_add_u32_e32 v2, 0xffffff81, v2
	v_mov_b32_e32 v5, 0xffffff82
	v_cndmask_b32_e32 v2, v2, v5, vcc
	v_lshrrev_b32_e32 v5, 23, v18
	v_add3_u32 v5, v4, v2, v5
	v_add_u32_e32 v4, 6, v5
	v_and_b32_e32 v2, 0xfffff, v19
	v_add_u32_e32 v50, v2, v18
	v_cmp_ne_u32_e32 vcc, 0, v4
                                        ; implicit-def: $vgpr18_vgpr19
                                        ; implicit-def: $vgpr2
	s_and_saveexec_b64 s[18:19], vcc
	s_xor_b64 s[18:19], exec, s[18:19]
; %bb.2740:                             ;   in Loop: Header=BB4_2190 Depth=2
	v_cmp_lt_u64_e32 vcc, s[58:59], v[50:51]
	v_add_u32_e32 v2, 7, v5
	v_cndmask_b32_e32 v2, v4, v2, vcc
	v_cndmask_b32_e64 v4, 0, 1, vcc
	v_lshrrev_b64 v[18:19], v4, v[50:51]
; %bb.2741:                             ;   in Loop: Header=BB4_2190 Depth=2
	s_andn2_saveexec_b64 s[18:19], s[18:19]
; %bb.2742:                             ;   in Loop: Header=BB4_2190 Depth=2
	v_mov_b32_e32 v18, v50
	v_bfe_u32 v2, v50, 23, 1
	v_mov_b32_e32 v19, v51
; %bb.2743:                             ;   in Loop: Header=BB4_2190 Depth=2
	s_or_b64 exec, exec, s[18:19]
	v_lshrrev_b64 v[4:5], 20, v[18:19]
	v_cmp_gt_i32_e32 vcc, 16, v2
	v_cndmask_b32_e32 v5, 0, v5, vcc
	v_cndmask_b32_e32 v4, 7, v4, vcc
	v_cmp_eq_u32_e32 vcc, 0, v2
	v_min_i32_e32 v2, 15, v2
	v_cmp_eq_u64_e64 s[18:19], 0, v[4:5]
	v_lshlrev_b32_e32 v2, 3, v2
	v_and_b32_e32 v2, 0xf8, v2
	v_and_or_b32 v2, v4, 7, v2
	s_and_b64 s[18:19], vcc, s[18:19]
	v_cndmask_b32_e64 v2, v2, 0, s[18:19]
	v_or_b32_e32 v28, v2, v1
.LBB4_2744:                             ;   in Loop: Header=BB4_2190 Depth=2
	s_or_b64 exec, exec, s[88:89]
                                        ; implicit-def: $vgpr1
.LBB4_2745:                             ;   in Loop: Header=BB4_2190 Depth=2
	s_andn2_saveexec_b64 s[18:19], s[78:79]
; %bb.2746:                             ;   in Loop: Header=BB4_2190 Depth=2
	v_or_b32_e32 v28, 0x7e, v1
; %bb.2747:                             ;   in Loop: Header=BB4_2190 Depth=2
	s_or_b64 exec, exec, s[18:19]
                                        ; implicit-def: $vgpr2
.LBB4_2748:                             ;   in Loop: Header=BB4_2190 Depth=2
	s_andn2_saveexec_b64 s[18:19], s[76:77]
; %bb.2749:                             ;   in Loop: Header=BB4_2190 Depth=2
	v_or_b32_sdwa v28, v2, s50 dst_sel:DWORD dst_unused:UNUSED_PAD src0_sel:BYTE_3 src1_sel:DWORD
; %bb.2750:                             ;   in Loop: Header=BB4_2190 Depth=2
	s_or_b64 exec, exec, s[18:19]
	v_mov_b32_e32 v50, v15
	v_cmp_ne_u16_sdwa s[76:77], v15, v51 src0_sel:BYTE_0 src1_sel:DWORD
	v_mov_b32_e32 v2, 0
	v_mov_b32_e32 v1, 0
	s_and_saveexec_b64 s[18:19], s[76:77]
	s_cbranch_execz .LBB4_2756
; %bb.2751:                             ;   in Loop: Header=BB4_2190 Depth=2
	v_cmp_ne_u16_sdwa s[78:79], v15, s49 src0_sel:BYTE_0 src1_sel:DWORD
	v_bfrev_b32_e32 v1, 1
	s_and_saveexec_b64 s[76:77], s[78:79]
	s_cbranch_execz .LBB4_2755
; %bb.2752:                             ;   in Loop: Header=BB4_2190 Depth=2
	v_and_b32_e32 v4, 0x7f, v15
	v_cmp_ne_u32_e32 vcc, s50, v4
	v_mov_b32_e32 v1, 0x7f800001
	s_and_saveexec_b64 s[78:79], vcc
	s_cbranch_execz .LBB4_2754
; %bb.2753:                             ;   in Loop: Header=BB4_2190 Depth=2
	v_and_b32_e32 v1, 7, v15
	v_ffbh_u32_e32 v1, v1
	v_min_u32_e32 v1, 32, v1
	v_lshrrev_b32_e32 v5, 3, v4
	v_cmp_gt_u32_e32 vcc, 8, v4
	v_subrev_u32_e32 v4, 28, v1
	v_sub_u32_e32 v1, 29, v1
	v_cndmask_b32_e32 v4, 0, v4, vcc
	v_cndmask_b32_e32 v1, v5, v1, vcc
	v_lshlrev_b64 v[4:5], v4, v[50:51]
	v_lshlrev_b32_e32 v5, 24, v50
	v_lshlrev_b32_e32 v4, 20, v4
	v_and_b32_e32 v4, 0x700000, v4
	v_and_b32_e32 v5, 0x80000000, v5
	v_lshl_add_u32 v1, v1, 23, v62
	v_or3_b32 v1, v5, v1, v4
.LBB4_2754:                             ;   in Loop: Header=BB4_2190 Depth=2
	s_or_b64 exec, exec, s[78:79]
.LBB4_2755:                             ;   in Loop: Header=BB4_2190 Depth=2
	s_or_b64 exec, exec, s[76:77]
.LBB4_2756:                             ;   in Loop: Header=BB4_2190 Depth=2
	s_or_b64 exec, exec, s[18:19]
	v_cmp_ne_u16_sdwa s[76:77], v11, v51 src0_sel:BYTE_0 src1_sel:DWORD
	s_and_saveexec_b64 s[18:19], s[76:77]
	s_cbranch_execz .LBB4_2762
; %bb.2757:                             ;   in Loop: Header=BB4_2190 Depth=2
	v_cmp_ne_u16_sdwa s[78:79], v11, s49 src0_sel:BYTE_0 src1_sel:DWORD
	v_bfrev_b32_e32 v2, 1
	s_and_saveexec_b64 s[76:77], s[78:79]
	s_cbranch_execz .LBB4_2761
; %bb.2758:                             ;   in Loop: Header=BB4_2190 Depth=2
	v_and_b32_e32 v4, 0x7f, v11
	v_cmp_ne_u32_e32 vcc, s50, v4
	v_mov_b32_e32 v2, 0x7f800001
	s_and_saveexec_b64 s[78:79], vcc
	s_cbranch_execz .LBB4_2760
; %bb.2759:                             ;   in Loop: Header=BB4_2190 Depth=2
	v_and_b32_e32 v2, 7, v11
	v_ffbh_u32_e32 v2, v2
	v_min_u32_e32 v2, 32, v2
	v_lshrrev_b32_e32 v5, 3, v4
	v_cmp_gt_u32_e32 vcc, 8, v4
	v_subrev_u32_e32 v4, 28, v2
	v_mov_b32_e32 v18, v11
	v_mov_b32_e32 v19, v51
	v_sub_u32_e32 v2, 29, v2
	v_cndmask_b32_e32 v4, 0, v4, vcc
	v_cndmask_b32_e32 v2, v5, v2, vcc
	v_lshlrev_b64 v[4:5], v4, v[18:19]
	v_lshlrev_b32_e32 v5, 24, v18
	v_lshlrev_b32_e32 v4, 20, v4
	v_and_b32_e32 v4, 0x700000, v4
	v_and_b32_e32 v5, 0x80000000, v5
	v_lshl_add_u32 v2, v2, 23, v62
	v_or3_b32 v2, v5, v2, v4
.LBB4_2760:                             ;   in Loop: Header=BB4_2190 Depth=2
	s_or_b64 exec, exec, s[78:79]
.LBB4_2761:                             ;   in Loop: Header=BB4_2190 Depth=2
	s_or_b64 exec, exec, s[76:77]
.LBB4_2762:                             ;   in Loop: Header=BB4_2190 Depth=2
	s_or_b64 exec, exec, s[18:19]
	v_add_f32_e32 v4, v1, v2
	v_and_b32_e32 v1, 0x7f800000, v4
	v_mov_b32_e32 v2, v51
	v_cmp_ne_u64_e32 vcc, s[46:47], v[1:2]
                                        ; implicit-def: $vgpr1
	s_and_saveexec_b64 s[18:19], vcc
	s_xor_b64 s[76:77], exec, s[18:19]
	s_cbranch_execz .LBB4_2776
; %bb.2763:                             ;   in Loop: Header=BB4_2190 Depth=2
	v_and_b32_e32 v1, 0x7fffffff, v4
	v_mov_b32_e32 v2, v51
	v_cmp_gt_u64_e32 vcc, s[56:57], v[1:2]
	v_and_b32_sdwa v2, v4, s49 dst_sel:DWORD dst_unused:UNUSED_PAD src0_sel:BYTE_3 src1_sel:DWORD
                                        ; implicit-def: $vgpr1
	s_and_saveexec_b64 s[18:19], vcc
	s_xor_b64 s[78:79], exec, s[18:19]
	s_cbranch_execz .LBB4_2773
; %bb.2764:                             ;   in Loop: Header=BB4_2190 Depth=2
	v_mov_b32_e32 v1, 0
	v_cmp_ne_u32_e32 vcc, 0, v4
	s_and_saveexec_b64 s[88:89], vcc
	s_cbranch_execz .LBB4_2772
; %bb.2765:                             ;   in Loop: Header=BB4_2190 Depth=2
	v_bfe_u32 v1, v4, 23, 8
	v_and_b32_e32 v5, 0x7fffff, v4
	v_cmp_gt_u32_e64 s[18:19], s51, v1
	v_sub_u32_e32 v4, 0x79, v1
	v_cmp_eq_u32_e32 vcc, 0, v1
	v_cndmask_b32_e64 v4, 0, v4, s[18:19]
	v_or_b32_e32 v18, 0x800000, v5
	v_cndmask_b32_e32 v4, v4, v49, vcc
	v_cndmask_b32_e32 v18, v18, v5, vcc
	v_add_u32_e32 v5, 20, v4
	v_lshlrev_b64 v[48:49], v5, -1
	v_mov_b32_e32 v19, v51
	v_add_u32_e32 v5, 19, v4
	v_mov_b32_e32 v29, v27
	v_bfi_b32 v48, v48, 0, v18
	v_lshlrev_b64 v[26:27], v5, 1
	v_lshrrev_b64 v[18:19], v4, v[18:19]
	v_bfi_b32 v49, v49, 0, 0
	v_cmp_eq_u64_e64 s[18:19], v[48:49], v[26:27]
	v_mov_b32_e32 v20, v19
	v_mov_b32_e32 v19, v18
	s_and_saveexec_b64 s[90:91], s[18:19]
; %bb.2766:                             ;   in Loop: Header=BB4_2190 Depth=2
	v_bfe_u32 v5, v18, 20, 1
	v_add_co_u32_e64 v5, s[18:19], v18, v5
	v_add_co_u32_e64 v19, s[18:19], -1, v5
; %bb.2767:                             ;   in Loop: Header=BB4_2190 Depth=2
	s_or_b64 exec, exec, s[90:91]
	v_add_u32_e32 v1, 0xffffff81, v1
	v_mov_b32_e32 v5, 0xffffff82
	v_cndmask_b32_e32 v1, v1, v5, vcc
	v_lshrrev_b32_e32 v5, 23, v18
	v_add3_u32 v5, v4, v1, v5
	v_add_u32_e32 v4, 6, v5
	v_and_b32_e32 v1, 0xfffff, v19
	v_add_u32_e32 v18, v1, v18
	v_mov_b32_e32 v19, v51
	v_cmp_ne_u32_e32 vcc, 0, v4
                                        ; implicit-def: $vgpr1
	s_and_saveexec_b64 s[18:19], vcc
	s_xor_b64 s[18:19], exec, s[18:19]
; %bb.2768:                             ;   in Loop: Header=BB4_2190 Depth=2
	v_cmp_lt_u64_e32 vcc, s[58:59], v[18:19]
	v_add_u32_e32 v1, 7, v5
	v_cndmask_b32_e32 v1, v4, v1, vcc
	v_cndmask_b32_e64 v4, 0, 1, vcc
	v_lshrrev_b64 v[18:19], v4, v[18:19]
; %bb.2769:                             ;   in Loop: Header=BB4_2190 Depth=2
	s_or_saveexec_b64 s[18:19], s[18:19]
	v_mov_b32_e32 v49, 0x78
	v_mov_b32_e32 v27, v29
	s_xor_b64 exec, exec, s[18:19]
; %bb.2770:                             ;   in Loop: Header=BB4_2190 Depth=2
	v_bfe_u32 v1, v18, 23, 1
; %bb.2771:                             ;   in Loop: Header=BB4_2190 Depth=2
	s_or_b64 exec, exec, s[18:19]
	v_lshrrev_b64 v[4:5], 20, v[18:19]
	v_cmp_gt_i32_e32 vcc, 16, v1
	v_cndmask_b32_e32 v5, 0, v5, vcc
	v_cndmask_b32_e32 v4, 7, v4, vcc
	v_cmp_eq_u32_e32 vcc, 0, v1
	v_min_i32_e32 v1, 15, v1
	v_cmp_eq_u64_e64 s[18:19], 0, v[4:5]
	v_lshlrev_b32_e32 v1, 3, v1
	v_and_b32_e32 v1, 0xf8, v1
	v_and_or_b32 v1, v4, 7, v1
	s_and_b64 s[18:19], vcc, s[18:19]
	v_cndmask_b32_e64 v1, v1, 0, s[18:19]
	v_or_b32_e32 v1, v1, v2
.LBB4_2772:                             ;   in Loop: Header=BB4_2190 Depth=2
	s_or_b64 exec, exec, s[88:89]
                                        ; implicit-def: $vgpr2
.LBB4_2773:                             ;   in Loop: Header=BB4_2190 Depth=2
	s_andn2_saveexec_b64 s[18:19], s[78:79]
; %bb.2774:                             ;   in Loop: Header=BB4_2190 Depth=2
	v_or_b32_e32 v1, 0x7e, v2
; %bb.2775:                             ;   in Loop: Header=BB4_2190 Depth=2
	s_or_b64 exec, exec, s[18:19]
                                        ; implicit-def: $vgpr4
.LBB4_2776:                             ;   in Loop: Header=BB4_2190 Depth=2
	s_andn2_saveexec_b64 s[18:19], s[76:77]
; %bb.2777:                             ;   in Loop: Header=BB4_2190 Depth=2
	v_or_b32_sdwa v1, v4, s50 dst_sel:DWORD dst_unused:UNUSED_PAD src0_sel:BYTE_3 src1_sel:DWORD
; %bb.2778:                             ;   in Loop: Header=BB4_2190 Depth=2
	s_or_b64 exec, exec, s[18:19]
	v_lshrrev_b16_e32 v18, 8, v50
	v_cmp_ne_u16_e32 vcc, 0, v18
	v_mov_b32_e32 v2, 0
	v_mov_b32_e32 v4, 0
	s_and_saveexec_b64 s[18:19], vcc
	s_cbranch_execz .LBB4_2784
; %bb.2779:                             ;   in Loop: Header=BB4_2190 Depth=2
	v_cmp_ne_u16_e32 vcc, s49, v18
	v_bfrev_b32_e32 v4, 1
	s_and_saveexec_b64 s[76:77], vcc
	s_cbranch_execz .LBB4_2783
; %bb.2780:                             ;   in Loop: Header=BB4_2190 Depth=2
	v_and_b32_e32 v5, 0x7f, v18
	v_cmp_ne_u32_e32 vcc, s50, v5
	v_mov_b32_e32 v4, 0x7f800001
	s_and_saveexec_b64 s[78:79], vcc
	s_cbranch_execz .LBB4_2782
; %bb.2781:                             ;   in Loop: Header=BB4_2190 Depth=2
	v_and_b32_e32 v19, 7, v18
	v_ffbh_u32_e32 v4, v19
	v_min_u32_e32 v26, 32, v4
	v_subrev_u32_e32 v4, 28, v26
	v_lshrrev_b32_e32 v20, 3, v5
	v_cmp_gt_u32_e32 vcc, 8, v5
	v_lshlrev_b64 v[4:5], v4, v[18:19]
	v_sub_u32_e32 v5, 29, v26
	v_and_b32_e32 v4, 7, v4
	v_cndmask_b32_e32 v5, v20, v5, vcc
	v_cndmask_b32_e32 v4, v19, v4, vcc
	v_lshlrev_b32_e32 v18, 16, v50
	v_lshlrev_b32_e32 v4, 20, v4
	v_and_b32_e32 v18, 0x80000000, v18
	v_lshl_add_u32 v5, v5, 23, v62
	v_or3_b32 v4, v18, v5, v4
.LBB4_2782:                             ;   in Loop: Header=BB4_2190 Depth=2
	s_or_b64 exec, exec, s[78:79]
.LBB4_2783:                             ;   in Loop: Header=BB4_2190 Depth=2
	s_or_b64 exec, exec, s[76:77]
.LBB4_2784:                             ;   in Loop: Header=BB4_2190 Depth=2
	s_or_b64 exec, exec, s[18:19]
	v_lshrrev_b16_e32 v18, 8, v11
	v_cmp_ne_u16_e32 vcc, 0, v18
	s_and_saveexec_b64 s[18:19], vcc
	s_cbranch_execz .LBB4_2790
; %bb.2785:                             ;   in Loop: Header=BB4_2190 Depth=2
	v_cmp_ne_u16_e32 vcc, s49, v18
	v_bfrev_b32_e32 v2, 1
	s_and_saveexec_b64 s[76:77], vcc
	s_cbranch_execz .LBB4_2789
; %bb.2786:                             ;   in Loop: Header=BB4_2190 Depth=2
	v_and_b32_e32 v5, 0x7f, v18
	v_cmp_ne_u32_e32 vcc, s50, v5
	v_mov_b32_e32 v2, 0x7f800001
	s_and_saveexec_b64 s[78:79], vcc
	s_cbranch_execz .LBB4_2788
; %bb.2787:                             ;   in Loop: Header=BB4_2190 Depth=2
	v_and_b32_e32 v2, 7, v18
	v_lshrrev_b32_e32 v20, 3, v5
	v_cmp_gt_u32_e32 vcc, 8, v5
	v_ffbh_u32_e32 v5, v2
	v_min_u32_e32 v5, 32, v5
	v_subrev_u32_e32 v19, 28, v5
	v_lshlrev_b64 v[18:19], v19, v[18:19]
	v_sub_u32_e32 v5, 29, v5
	v_and_b32_e32 v18, 7, v18
	v_cndmask_b32_e32 v5, v20, v5, vcc
	v_cndmask_b32_e32 v2, v2, v18, vcc
	v_lshlrev_b32_e32 v18, 16, v11
	v_lshlrev_b32_e32 v2, 20, v2
	v_and_b32_e32 v18, 0x80000000, v18
	v_lshl_add_u32 v5, v5, 23, v62
	v_or3_b32 v2, v18, v5, v2
.LBB4_2788:                             ;   in Loop: Header=BB4_2190 Depth=2
	s_or_b64 exec, exec, s[78:79]
.LBB4_2789:                             ;   in Loop: Header=BB4_2190 Depth=2
	s_or_b64 exec, exec, s[76:77]
.LBB4_2790:                             ;   in Loop: Header=BB4_2190 Depth=2
	s_or_b64 exec, exec, s[18:19]
	v_add_f32_e32 v4, v4, v2
	v_and_b32_e32 v50, 0x7f800000, v4
	v_cmp_ne_u64_e32 vcc, s[46:47], v[50:51]
                                        ; implicit-def: $vgpr60
	s_and_saveexec_b64 s[18:19], vcc
	s_xor_b64 s[76:77], exec, s[18:19]
	s_cbranch_execz .LBB4_2804
; %bb.2791:                             ;   in Loop: Header=BB4_2190 Depth=2
	v_and_b32_e32 v50, 0x7fffffff, v4
	v_cmp_gt_u64_e32 vcc, s[56:57], v[50:51]
	v_and_b32_sdwa v2, v4, s49 dst_sel:DWORD dst_unused:UNUSED_PAD src0_sel:BYTE_3 src1_sel:DWORD
                                        ; implicit-def: $vgpr60
	s_and_saveexec_b64 s[18:19], vcc
	s_xor_b64 s[78:79], exec, s[18:19]
	s_cbranch_execz .LBB4_2801
; %bb.2792:                             ;   in Loop: Header=BB4_2190 Depth=2
	v_mov_b32_e32 v60, 0
	v_cmp_ne_u32_e32 vcc, 0, v4
	s_and_saveexec_b64 s[88:89], vcc
	s_cbranch_execz .LBB4_2800
; %bb.2793:                             ;   in Loop: Header=BB4_2190 Depth=2
	v_and_b32_e32 v18, 0x7fffff, v4
	v_bfe_u32 v4, v4, 23, 8
	v_cmp_gt_u32_e64 s[18:19], s51, v4
	v_sub_u32_e32 v5, 0x79, v4
	v_cmp_eq_u32_e32 vcc, 0, v4
	v_cndmask_b32_e64 v5, 0, v5, s[18:19]
	v_or_b32_e32 v19, 0x800000, v18
	v_cndmask_b32_e32 v5, v5, v49, vcc
	v_cndmask_b32_e32 v50, v19, v18, vcc
	v_add_u32_e32 v18, 20, v5
	v_lshlrev_b64 v[18:19], v18, -1
	v_add_u32_e32 v20, 19, v5
	v_mov_b32_e32 v29, v27
	v_lshlrev_b64 v[26:27], v20, 1
	v_bfi_b32 v19, v19, 0, 0
	v_bfi_b32 v18, v18, 0, v50
	v_cmp_eq_u64_e64 s[18:19], v[18:19], v[26:27]
	v_lshrrev_b64 v[18:19], v5, v[50:51]
	v_mov_b32_e32 v20, v19
	v_mov_b32_e32 v19, v18
	s_and_saveexec_b64 s[90:91], s[18:19]
; %bb.2794:                             ;   in Loop: Header=BB4_2190 Depth=2
	v_bfe_u32 v19, v18, 20, 1
	v_add_co_u32_e64 v19, s[18:19], v18, v19
	v_add_co_u32_e64 v19, s[18:19], -1, v19
; %bb.2795:                             ;   in Loop: Header=BB4_2190 Depth=2
	s_or_b64 exec, exec, s[90:91]
	v_add_u32_e32 v4, 0xffffff81, v4
	v_mov_b32_e32 v20, 0xffffff82
	v_cndmask_b32_e32 v4, v4, v20, vcc
	v_lshrrev_b32_e32 v20, 23, v18
	v_add3_u32 v20, v5, v4, v20
	v_add_u32_e32 v5, 6, v20
	v_and_b32_e32 v4, 0xfffff, v19
	v_add_u32_e32 v50, v4, v18
	v_cmp_ne_u32_e32 vcc, 0, v5
                                        ; implicit-def: $vgpr18_vgpr19
                                        ; implicit-def: $vgpr4
	s_and_saveexec_b64 s[18:19], vcc
	s_xor_b64 s[18:19], exec, s[18:19]
; %bb.2796:                             ;   in Loop: Header=BB4_2190 Depth=2
	v_cmp_lt_u64_e32 vcc, s[58:59], v[50:51]
	v_add_u32_e32 v4, 7, v20
	v_cndmask_b32_e32 v4, v5, v4, vcc
	v_cndmask_b32_e64 v5, 0, 1, vcc
	v_lshrrev_b64 v[18:19], v5, v[50:51]
; %bb.2797:                             ;   in Loop: Header=BB4_2190 Depth=2
	s_or_saveexec_b64 s[18:19], s[18:19]
	v_mov_b32_e32 v27, v29
	s_xor_b64 exec, exec, s[18:19]
; %bb.2798:                             ;   in Loop: Header=BB4_2190 Depth=2
	v_mov_b32_e32 v18, v50
	v_bfe_u32 v4, v50, 23, 1
	v_mov_b32_e32 v19, v51
; %bb.2799:                             ;   in Loop: Header=BB4_2190 Depth=2
	s_or_b64 exec, exec, s[18:19]
	v_lshrrev_b64 v[18:19], 20, v[18:19]
	v_cmp_gt_i32_e32 vcc, 16, v4
	v_cndmask_b32_e32 v19, 0, v19, vcc
	v_cndmask_b32_e32 v18, 7, v18, vcc
	v_cmp_eq_u32_e32 vcc, 0, v4
	v_min_i32_e32 v4, 15, v4
	v_cmp_eq_u64_e64 s[18:19], 0, v[18:19]
	v_lshlrev_b32_e32 v4, 3, v4
	v_and_b32_e32 v4, 0xf8, v4
	v_and_or_b32 v4, v18, 7, v4
	s_and_b64 s[18:19], vcc, s[18:19]
	v_cndmask_b32_e64 v4, v4, 0, s[18:19]
	v_or_b32_e32 v60, v4, v2
.LBB4_2800:                             ;   in Loop: Header=BB4_2190 Depth=2
	s_or_b64 exec, exec, s[88:89]
                                        ; implicit-def: $vgpr2
.LBB4_2801:                             ;   in Loop: Header=BB4_2190 Depth=2
	s_andn2_saveexec_b64 s[18:19], s[78:79]
; %bb.2802:                             ;   in Loop: Header=BB4_2190 Depth=2
	v_or_b32_e32 v60, 0x7e, v2
; %bb.2803:                             ;   in Loop: Header=BB4_2190 Depth=2
	s_or_b64 exec, exec, s[18:19]
                                        ; implicit-def: $vgpr4
.LBB4_2804:                             ;   in Loop: Header=BB4_2190 Depth=2
	s_andn2_saveexec_b64 s[18:19], s[76:77]
; %bb.2805:                             ;   in Loop: Header=BB4_2190 Depth=2
	v_or_b32_sdwa v60, v4, s50 dst_sel:DWORD dst_unused:UNUSED_PAD src0_sel:BYTE_3 src1_sel:DWORD
; %bb.2806:                             ;   in Loop: Header=BB4_2190 Depth=2
	s_or_b64 exec, exec, s[18:19]
	v_lshrrev_b32_e32 v18, 16, v15
	v_cmp_ne_u16_sdwa s[76:77], v18, v51 src0_sel:BYTE_0 src1_sel:DWORD
	v_mov_b32_e32 v2, 0
	v_mov_b32_e32 v4, 0
	s_and_saveexec_b64 s[18:19], s[76:77]
	s_cbranch_execz .LBB4_2812
; %bb.2807:                             ;   in Loop: Header=BB4_2190 Depth=2
	v_cmp_ne_u16_sdwa s[78:79], v18, s49 src0_sel:BYTE_0 src1_sel:DWORD
	v_bfrev_b32_e32 v4, 1
	s_and_saveexec_b64 s[76:77], s[78:79]
	s_cbranch_execz .LBB4_2811
; %bb.2808:                             ;   in Loop: Header=BB4_2190 Depth=2
	v_bfe_u32 v5, v15, 16, 7
	v_cmp_ne_u32_e32 vcc, s50, v5
	v_mov_b32_e32 v4, 0x7f800001
	s_and_saveexec_b64 s[78:79], vcc
	s_cbranch_execz .LBB4_2810
; %bb.2809:                             ;   in Loop: Header=BB4_2190 Depth=2
	v_and_b32_e32 v19, 7, v18
	v_ffbh_u32_e32 v4, v19
	v_min_u32_e32 v26, 32, v4
	v_subrev_u32_e32 v4, 28, v26
	v_lshrrev_b32_e32 v20, 3, v5
	v_cmp_gt_u32_e32 vcc, 8, v5
	v_lshlrev_b64 v[4:5], v4, v[18:19]
	v_sub_u32_e32 v5, 29, v26
	v_and_b32_e32 v4, 7, v4
	v_cndmask_b32_e32 v5, v20, v5, vcc
	v_cndmask_b32_e32 v4, v19, v4, vcc
	v_lshlrev_b32_e32 v18, 24, v18
	v_lshlrev_b32_e32 v4, 20, v4
	v_and_b32_e32 v18, 0x80000000, v18
	v_lshl_add_u32 v5, v5, 23, v62
	v_or3_b32 v4, v18, v5, v4
.LBB4_2810:                             ;   in Loop: Header=BB4_2190 Depth=2
	s_or_b64 exec, exec, s[78:79]
.LBB4_2811:                             ;   in Loop: Header=BB4_2190 Depth=2
	s_or_b64 exec, exec, s[76:77]
.LBB4_2812:                             ;   in Loop: Header=BB4_2190 Depth=2
	s_or_b64 exec, exec, s[18:19]
	v_lshrrev_b32_e32 v18, 16, v11
	v_cmp_ne_u16_sdwa s[76:77], v18, v51 src0_sel:BYTE_0 src1_sel:DWORD
	s_and_saveexec_b64 s[18:19], s[76:77]
	s_cbranch_execz .LBB4_2818
; %bb.2813:                             ;   in Loop: Header=BB4_2190 Depth=2
	v_cmp_ne_u16_sdwa s[78:79], v18, s49 src0_sel:BYTE_0 src1_sel:DWORD
	v_bfrev_b32_e32 v2, 1
	s_and_saveexec_b64 s[76:77], s[78:79]
	s_cbranch_execz .LBB4_2817
; %bb.2814:                             ;   in Loop: Header=BB4_2190 Depth=2
	v_bfe_u32 v5, v11, 16, 7
	v_cmp_ne_u32_e32 vcc, s50, v5
	v_mov_b32_e32 v2, 0x7f800001
	s_and_saveexec_b64 s[78:79], vcc
	s_cbranch_execz .LBB4_2816
; %bb.2815:                             ;   in Loop: Header=BB4_2190 Depth=2
	v_and_b32_e32 v2, 7, v18
	v_lshrrev_b32_e32 v20, 3, v5
	v_cmp_gt_u32_e32 vcc, 8, v5
	v_ffbh_u32_e32 v5, v2
	v_min_u32_e32 v5, 32, v5
	v_subrev_u32_e32 v19, 28, v5
	v_lshlrev_b64 v[18:19], v19, v[18:19]
	v_sub_u32_e32 v5, 29, v5
	v_and_b32_e32 v18, 7, v18
	v_cndmask_b32_e32 v5, v20, v5, vcc
	v_cndmask_b32_e32 v2, v2, v18, vcc
	v_lshlrev_b32_e32 v18, 8, v11
	v_lshlrev_b32_e32 v2, 20, v2
	v_and_b32_e32 v18, 0x80000000, v18
	v_lshl_add_u32 v5, v5, 23, v62
	v_or3_b32 v2, v18, v5, v2
.LBB4_2816:                             ;   in Loop: Header=BB4_2190 Depth=2
	s_or_b64 exec, exec, s[78:79]
.LBB4_2817:                             ;   in Loop: Header=BB4_2190 Depth=2
	s_or_b64 exec, exec, s[76:77]
.LBB4_2818:                             ;   in Loop: Header=BB4_2190 Depth=2
	s_or_b64 exec, exec, s[18:19]
	v_add_f32_e32 v4, v4, v2
	v_and_b32_e32 v50, 0x7f800000, v4
	v_cmp_ne_u64_e32 vcc, s[46:47], v[50:51]
                                        ; implicit-def: $vgpr18
	s_and_saveexec_b64 s[18:19], vcc
	s_xor_b64 s[76:77], exec, s[18:19]
	s_cbranch_execz .LBB4_2832
; %bb.2819:                             ;   in Loop: Header=BB4_2190 Depth=2
	v_and_b32_e32 v50, 0x7fffffff, v4
	v_cmp_gt_u64_e32 vcc, s[56:57], v[50:51]
	v_and_b32_sdwa v2, v4, s49 dst_sel:DWORD dst_unused:UNUSED_PAD src0_sel:BYTE_3 src1_sel:DWORD
                                        ; implicit-def: $vgpr18
	s_and_saveexec_b64 s[18:19], vcc
	s_xor_b64 s[78:79], exec, s[18:19]
	s_cbranch_execz .LBB4_2829
; %bb.2820:                             ;   in Loop: Header=BB4_2190 Depth=2
	v_mov_b32_e32 v18, 0
	v_cmp_ne_u32_e32 vcc, 0, v4
	s_and_saveexec_b64 s[88:89], vcc
	s_cbranch_execz .LBB4_2828
; %bb.2821:                             ;   in Loop: Header=BB4_2190 Depth=2
	v_and_b32_e32 v18, 0x7fffff, v4
	v_bfe_u32 v4, v4, 23, 8
	v_cmp_gt_u32_e64 s[18:19], s51, v4
	v_sub_u32_e32 v5, 0x79, v4
	v_cmp_eq_u32_e32 vcc, 0, v4
	v_cndmask_b32_e64 v5, 0, v5, s[18:19]
	v_or_b32_e32 v19, 0x800000, v18
	v_cndmask_b32_e32 v5, v5, v49, vcc
	v_cndmask_b32_e32 v50, v19, v18, vcc
	v_add_u32_e32 v18, 20, v5
	v_lshlrev_b64 v[18:19], v18, -1
	v_add_u32_e32 v20, 19, v5
	v_mov_b32_e32 v29, v27
	v_lshlrev_b64 v[26:27], v20, 1
	v_bfi_b32 v19, v19, 0, 0
	v_bfi_b32 v18, v18, 0, v50
	v_cmp_eq_u64_e64 s[18:19], v[18:19], v[26:27]
	v_lshrrev_b64 v[18:19], v5, v[50:51]
	v_mov_b32_e32 v20, v19
	v_mov_b32_e32 v19, v18
	s_and_saveexec_b64 s[90:91], s[18:19]
; %bb.2822:                             ;   in Loop: Header=BB4_2190 Depth=2
	v_bfe_u32 v19, v18, 20, 1
	v_add_co_u32_e64 v19, s[18:19], v18, v19
	v_add_co_u32_e64 v19, s[18:19], -1, v19
; %bb.2823:                             ;   in Loop: Header=BB4_2190 Depth=2
	s_or_b64 exec, exec, s[90:91]
	v_add_u32_e32 v4, 0xffffff81, v4
	v_mov_b32_e32 v20, 0xffffff82
	v_cndmask_b32_e32 v4, v4, v20, vcc
	v_lshrrev_b32_e32 v20, 23, v18
	v_add3_u32 v20, v5, v4, v20
	v_add_u32_e32 v5, 6, v20
	v_and_b32_e32 v4, 0xfffff, v19
	v_add_u32_e32 v50, v4, v18
	v_cmp_ne_u32_e32 vcc, 0, v5
                                        ; implicit-def: $vgpr18_vgpr19
                                        ; implicit-def: $vgpr4
	s_and_saveexec_b64 s[18:19], vcc
	s_xor_b64 s[18:19], exec, s[18:19]
; %bb.2824:                             ;   in Loop: Header=BB4_2190 Depth=2
	v_cmp_lt_u64_e32 vcc, s[58:59], v[50:51]
	v_add_u32_e32 v4, 7, v20
	v_cndmask_b32_e32 v4, v5, v4, vcc
	v_cndmask_b32_e64 v5, 0, 1, vcc
	v_lshrrev_b64 v[18:19], v5, v[50:51]
; %bb.2825:                             ;   in Loop: Header=BB4_2190 Depth=2
	s_or_saveexec_b64 s[18:19], s[18:19]
	v_mov_b32_e32 v27, v29
	s_xor_b64 exec, exec, s[18:19]
; %bb.2826:                             ;   in Loop: Header=BB4_2190 Depth=2
	v_mov_b32_e32 v18, v50
	v_bfe_u32 v4, v50, 23, 1
	v_mov_b32_e32 v19, v51
; %bb.2827:                             ;   in Loop: Header=BB4_2190 Depth=2
	s_or_b64 exec, exec, s[18:19]
	v_lshrrev_b64 v[18:19], 20, v[18:19]
	v_cmp_gt_i32_e32 vcc, 16, v4
	v_cndmask_b32_e32 v19, 0, v19, vcc
	v_cndmask_b32_e32 v18, 7, v18, vcc
	v_cmp_eq_u32_e32 vcc, 0, v4
	v_min_i32_e32 v4, 15, v4
	v_cmp_eq_u64_e64 s[18:19], 0, v[18:19]
	v_lshlrev_b32_e32 v4, 3, v4
	v_and_b32_e32 v4, 0xf8, v4
	v_and_or_b32 v4, v18, 7, v4
	s_and_b64 s[18:19], vcc, s[18:19]
	v_cndmask_b32_e64 v4, v4, 0, s[18:19]
	v_or_b32_e32 v18, v4, v2
.LBB4_2828:                             ;   in Loop: Header=BB4_2190 Depth=2
	s_or_b64 exec, exec, s[88:89]
                                        ; implicit-def: $vgpr2
.LBB4_2829:                             ;   in Loop: Header=BB4_2190 Depth=2
	s_andn2_saveexec_b64 s[18:19], s[78:79]
; %bb.2830:                             ;   in Loop: Header=BB4_2190 Depth=2
	v_or_b32_e32 v18, 0x7e, v2
; %bb.2831:                             ;   in Loop: Header=BB4_2190 Depth=2
	s_or_b64 exec, exec, s[18:19]
                                        ; implicit-def: $vgpr4
.LBB4_2832:                             ;   in Loop: Header=BB4_2190 Depth=2
	s_andn2_saveexec_b64 s[18:19], s[76:77]
; %bb.2833:                             ;   in Loop: Header=BB4_2190 Depth=2
	v_or_b32_sdwa v18, v4, s50 dst_sel:DWORD dst_unused:UNUSED_PAD src0_sel:BYTE_3 src1_sel:DWORD
; %bb.2834:                             ;   in Loop: Header=BB4_2190 Depth=2
	s_or_b64 exec, exec, s[18:19]
	v_cmp_lt_u64_e32 vcc, s[60:61], v[14:15]
	v_mov_b32_e32 v2, 0
	v_mov_b32_e32 v4, 0
	s_and_saveexec_b64 s[18:19], vcc
	s_cbranch_execz .LBB4_2840
; %bb.2835:                             ;   in Loop: Header=BB4_2190 Depth=2
	v_lshrrev_b32_e32 v14, 24, v15
	v_cmp_ne_u32_e32 vcc, s49, v14
	v_bfrev_b32_e32 v4, 1
	s_and_saveexec_b64 s[76:77], vcc
	s_cbranch_execz .LBB4_2839
; %bb.2836:                             ;   in Loop: Header=BB4_2190 Depth=2
	v_bfe_u32 v5, v15, 24, 7
	v_cmp_ne_u32_e32 vcc, s50, v5
	v_mov_b32_e32 v4, 0x7f800001
	s_and_saveexec_b64 s[78:79], vcc
	s_cbranch_execz .LBB4_2838
; %bb.2837:                             ;   in Loop: Header=BB4_2190 Depth=2
	v_and_b32_e32 v15, 7, v14
	v_ffbh_u32_e32 v4, v15
	v_min_u32_e32 v20, 32, v4
	v_subrev_u32_e32 v4, 28, v20
	v_lshrrev_b32_e32 v19, 3, v5
	v_cmp_gt_u32_e32 vcc, 8, v5
	v_lshlrev_b64 v[4:5], v4, v[14:15]
	v_sub_u32_e32 v5, 29, v20
	v_and_b32_e32 v4, 7, v4
	v_cndmask_b32_e32 v5, v19, v5, vcc
	v_cndmask_b32_e32 v4, v15, v4, vcc
	v_lshlrev_b32_e32 v14, 24, v14
	v_lshlrev_b32_e32 v4, 20, v4
	v_and_b32_e32 v14, 0x80000000, v14
	v_lshl_add_u32 v5, v5, 23, v62
	v_or3_b32 v4, v14, v5, v4
.LBB4_2838:                             ;   in Loop: Header=BB4_2190 Depth=2
	s_or_b64 exec, exec, s[78:79]
.LBB4_2839:                             ;   in Loop: Header=BB4_2190 Depth=2
	s_or_b64 exec, exec, s[76:77]
.LBB4_2840:                             ;   in Loop: Header=BB4_2190 Depth=2
	s_or_b64 exec, exec, s[18:19]
	v_cmp_lt_u64_e32 vcc, s[60:61], v[10:11]
	s_and_saveexec_b64 s[18:19], vcc
	s_cbranch_execz .LBB4_2846
; %bb.2841:                             ;   in Loop: Header=BB4_2190 Depth=2
	v_lshrrev_b32_e32 v10, 24, v11
	v_cmp_ne_u32_e32 vcc, s49, v10
	v_bfrev_b32_e32 v2, 1
	s_and_saveexec_b64 s[76:77], vcc
	s_cbranch_execz .LBB4_2845
; %bb.2842:                             ;   in Loop: Header=BB4_2190 Depth=2
	v_bfe_u32 v5, v11, 24, 7
	v_cmp_ne_u32_e32 vcc, s50, v5
	v_mov_b32_e32 v2, 0x7f800001
	s_and_saveexec_b64 s[78:79], vcc
	s_cbranch_execz .LBB4_2844
; %bb.2843:                             ;   in Loop: Header=BB4_2190 Depth=2
	v_and_b32_e32 v2, 7, v10
	v_lshrrev_b32_e32 v11, 3, v5
	v_cmp_gt_u32_e32 vcc, 8, v5
	v_ffbh_u32_e32 v5, v2
	v_min_u32_e32 v5, 32, v5
	v_subrev_u32_e32 v14, 28, v5
	v_lshlrev_b64 v[14:15], v14, v[10:11]
	v_sub_u32_e32 v5, 29, v5
	v_and_b32_e32 v14, 7, v14
	v_cndmask_b32_e32 v5, v11, v5, vcc
	v_cndmask_b32_e32 v2, v2, v14, vcc
	v_lshlrev_b32_e32 v10, 24, v10
	v_lshlrev_b32_e32 v2, 20, v2
	v_and_b32_e32 v10, 0x80000000, v10
	v_lshl_add_u32 v5, v5, 23, v62
	v_or3_b32 v2, v10, v5, v2
.LBB4_2844:                             ;   in Loop: Header=BB4_2190 Depth=2
	s_or_b64 exec, exec, s[78:79]
.LBB4_2845:                             ;   in Loop: Header=BB4_2190 Depth=2
	s_or_b64 exec, exec, s[76:77]
.LBB4_2846:                             ;   in Loop: Header=BB4_2190 Depth=2
	s_or_b64 exec, exec, s[18:19]
	v_add_f32_e32 v4, v4, v2
	v_and_b32_e32 v50, 0x7f800000, v4
	v_cmp_ne_u64_e32 vcc, s[46:47], v[50:51]
                                        ; implicit-def: $vgpr19
	s_and_saveexec_b64 s[18:19], vcc
	s_xor_b64 s[76:77], exec, s[18:19]
	s_cbranch_execz .LBB4_2860
; %bb.2847:                             ;   in Loop: Header=BB4_2190 Depth=2
	v_and_b32_e32 v50, 0x7fffffff, v4
	v_cmp_gt_u64_e32 vcc, s[56:57], v[50:51]
	v_and_b32_sdwa v2, v4, s49 dst_sel:DWORD dst_unused:UNUSED_PAD src0_sel:BYTE_3 src1_sel:DWORD
                                        ; implicit-def: $vgpr19
	s_and_saveexec_b64 s[18:19], vcc
	s_xor_b64 s[78:79], exec, s[18:19]
	s_cbranch_execz .LBB4_2857
; %bb.2848:                             ;   in Loop: Header=BB4_2190 Depth=2
	v_mov_b32_e32 v19, 0
	v_cmp_ne_u32_e32 vcc, 0, v4
	s_and_saveexec_b64 s[88:89], vcc
	s_cbranch_execz .LBB4_2856
; %bb.2849:                             ;   in Loop: Header=BB4_2190 Depth=2
	v_and_b32_e32 v10, 0x7fffff, v4
	v_bfe_u32 v4, v4, 23, 8
	v_cmp_gt_u32_e64 s[18:19], s51, v4
	v_sub_u32_e32 v5, 0x79, v4
	v_cmp_eq_u32_e32 vcc, 0, v4
	v_cndmask_b32_e64 v5, 0, v5, s[18:19]
	v_or_b32_e32 v11, 0x800000, v10
	v_cndmask_b32_e32 v5, v5, v49, vcc
	v_cndmask_b32_e32 v50, v11, v10, vcc
	v_add_u32_e32 v10, 20, v5
	v_lshlrev_b64 v[10:11], v10, -1
	v_add_u32_e32 v14, 19, v5
	v_lshlrev_b64 v[14:15], v14, 1
	v_bfi_b32 v11, v11, 0, 0
	v_bfi_b32 v10, v10, 0, v50
	v_cmp_eq_u64_e64 s[18:19], v[10:11], v[14:15]
	v_lshrrev_b64 v[10:11], v5, v[50:51]
	v_mov_b32_e32 v15, v11
	v_mov_b32_e32 v14, v10
	s_and_saveexec_b64 s[90:91], s[18:19]
; %bb.2850:                             ;   in Loop: Header=BB4_2190 Depth=2
	v_bfe_u32 v11, v10, 20, 1
	v_add_co_u32_e64 v11, s[18:19], v10, v11
	v_add_co_u32_e64 v14, s[18:19], -1, v11
; %bb.2851:                             ;   in Loop: Header=BB4_2190 Depth=2
	s_or_b64 exec, exec, s[90:91]
	v_add_u32_e32 v4, 0xffffff81, v4
	v_mov_b32_e32 v11, 0xffffff82
	v_cndmask_b32_e32 v4, v4, v11, vcc
	v_lshrrev_b32_e32 v11, 23, v10
	v_add3_u32 v15, v5, v4, v11
	v_add_u32_e32 v5, 6, v15
	v_and_b32_e32 v4, 0xfffff, v14
	v_add_u32_e32 v50, v4, v10
	v_cmp_ne_u32_e32 vcc, 0, v5
                                        ; implicit-def: $vgpr10_vgpr11
                                        ; implicit-def: $vgpr4
	s_and_saveexec_b64 s[18:19], vcc
	s_xor_b64 s[18:19], exec, s[18:19]
; %bb.2852:                             ;   in Loop: Header=BB4_2190 Depth=2
	v_cmp_lt_u64_e32 vcc, s[58:59], v[50:51]
	v_add_u32_e32 v4, 7, v15
	v_cndmask_b32_e32 v4, v5, v4, vcc
	v_cndmask_b32_e64 v5, 0, 1, vcc
	v_lshrrev_b64 v[10:11], v5, v[50:51]
; %bb.2853:                             ;   in Loop: Header=BB4_2190 Depth=2
	s_andn2_saveexec_b64 s[18:19], s[18:19]
; %bb.2854:                             ;   in Loop: Header=BB4_2190 Depth=2
	v_mov_b32_e32 v10, v50
	v_bfe_u32 v4, v50, 23, 1
	v_mov_b32_e32 v11, v51
; %bb.2855:                             ;   in Loop: Header=BB4_2190 Depth=2
	s_or_b64 exec, exec, s[18:19]
	v_lshrrev_b64 v[10:11], 20, v[10:11]
	v_cmp_gt_i32_e32 vcc, 16, v4
	v_cndmask_b32_e32 v11, 0, v11, vcc
	v_cndmask_b32_e32 v10, 7, v10, vcc
	v_cmp_eq_u32_e32 vcc, 0, v4
	v_min_i32_e32 v4, 15, v4
	v_cmp_eq_u64_e64 s[18:19], 0, v[10:11]
	v_lshlrev_b32_e32 v4, 3, v4
	v_and_b32_e32 v4, 0xf8, v4
	v_and_or_b32 v4, v10, 7, v4
	s_and_b64 s[18:19], vcc, s[18:19]
	v_cndmask_b32_e64 v4, v4, 0, s[18:19]
	v_or_b32_e32 v19, v4, v2
.LBB4_2856:                             ;   in Loop: Header=BB4_2190 Depth=2
	s_or_b64 exec, exec, s[88:89]
                                        ; implicit-def: $vgpr2
.LBB4_2857:                             ;   in Loop: Header=BB4_2190 Depth=2
	s_andn2_saveexec_b64 s[18:19], s[78:79]
; %bb.2858:                             ;   in Loop: Header=BB4_2190 Depth=2
	v_or_b32_e32 v19, 0x7e, v2
; %bb.2859:                             ;   in Loop: Header=BB4_2190 Depth=2
	s_or_b64 exec, exec, s[18:19]
                                        ; implicit-def: $vgpr4
.LBB4_2860:                             ;   in Loop: Header=BB4_2190 Depth=2
	s_andn2_saveexec_b64 s[18:19], s[76:77]
; %bb.2861:                             ;   in Loop: Header=BB4_2190 Depth=2
	v_or_b32_sdwa v19, v4, s50 dst_sel:DWORD dst_unused:UNUSED_PAD src0_sel:BYTE_3 src1_sel:DWORD
; %bb.2862:                             ;   in Loop: Header=BB4_2190 Depth=2
	s_or_b64 exec, exec, s[18:19]
	v_cmp_ne_u16_sdwa s[76:77], v16, v51 src0_sel:BYTE_0 src1_sel:DWORD
	v_mov_b32_e32 v2, 0
	v_mov_b32_e32 v4, 0
	s_and_saveexec_b64 s[18:19], s[76:77]
	s_cbranch_execz .LBB4_2868
; %bb.2863:                             ;   in Loop: Header=BB4_2190 Depth=2
	v_cmp_ne_u16_sdwa s[78:79], v16, s49 src0_sel:BYTE_0 src1_sel:DWORD
	v_bfrev_b32_e32 v4, 1
	s_and_saveexec_b64 s[76:77], s[78:79]
	s_cbranch_execz .LBB4_2867
; %bb.2864:                             ;   in Loop: Header=BB4_2190 Depth=2
	v_and_b32_e32 v5, 0x7f, v16
	v_cmp_ne_u32_e32 vcc, s50, v5
	v_mov_b32_e32 v4, 0x7f800001
	s_and_saveexec_b64 s[78:79], vcc
	s_cbranch_execz .LBB4_2866
; %bb.2865:                             ;   in Loop: Header=BB4_2190 Depth=2
	v_and_b32_e32 v4, 7, v16
	v_ffbh_u32_e32 v4, v4
	v_min_u32_e32 v4, 32, v4
	v_lshrrev_b32_e32 v10, 3, v5
	v_cmp_gt_u32_e32 vcc, 8, v5
	v_subrev_u32_e32 v5, 28, v4
	v_sub_u32_e32 v4, 29, v4
	v_cndmask_b32_e32 v10, v10, v4, vcc
	v_cndmask_b32_e32 v4, 0, v5, vcc
	v_lshlrev_b64 v[4:5], v4, v[16:17]
	v_lshlrev_b32_e32 v5, 24, v16
	v_lshlrev_b32_e32 v4, 20, v4
	v_and_b32_e32 v4, 0x700000, v4
	v_and_b32_e32 v5, 0x80000000, v5
	v_lshl_add_u32 v10, v10, 23, v62
	v_or3_b32 v4, v5, v10, v4
.LBB4_2866:                             ;   in Loop: Header=BB4_2190 Depth=2
	s_or_b64 exec, exec, s[78:79]
.LBB4_2867:                             ;   in Loop: Header=BB4_2190 Depth=2
	s_or_b64 exec, exec, s[76:77]
.LBB4_2868:                             ;   in Loop: Header=BB4_2190 Depth=2
	s_or_b64 exec, exec, s[18:19]
	v_cmp_ne_u16_sdwa s[76:77], v12, v51 src0_sel:BYTE_0 src1_sel:DWORD
	s_and_saveexec_b64 s[18:19], s[76:77]
	s_cbranch_execz .LBB4_2874
; %bb.2869:                             ;   in Loop: Header=BB4_2190 Depth=2
	v_cmp_ne_u16_sdwa s[78:79], v12, s49 src0_sel:BYTE_0 src1_sel:DWORD
	v_bfrev_b32_e32 v2, 1
	s_and_saveexec_b64 s[76:77], s[78:79]
	s_cbranch_execz .LBB4_2873
; %bb.2870:                             ;   in Loop: Header=BB4_2190 Depth=2
	v_and_b32_e32 v5, 0x7f, v12
	v_cmp_ne_u32_e32 vcc, s50, v5
	v_mov_b32_e32 v2, 0x7f800001
	s_and_saveexec_b64 s[78:79], vcc
	s_cbranch_execz .LBB4_2872
; %bb.2871:                             ;   in Loop: Header=BB4_2190 Depth=2
	v_and_b32_e32 v2, 7, v12
	v_ffbh_u32_e32 v2, v2
	v_min_u32_e32 v2, 32, v2
	v_lshrrev_b32_e32 v10, 3, v5
	v_cmp_gt_u32_e32 vcc, 8, v5
	v_subrev_u32_e32 v5, 28, v2
	v_sub_u32_e32 v2, 29, v2
	v_cndmask_b32_e32 v5, 0, v5, vcc
	v_cndmask_b32_e32 v2, v10, v2, vcc
	v_lshlrev_b64 v[10:11], v5, v[12:13]
	v_lshl_add_u32 v2, v2, 23, v62
	v_lshlrev_b32_e32 v5, 20, v10
	v_lshlrev_b32_e32 v10, 24, v12
	v_and_b32_e32 v5, 0x700000, v5
	v_and_b32_e32 v10, 0x80000000, v10
	v_or3_b32 v2, v10, v2, v5
.LBB4_2872:                             ;   in Loop: Header=BB4_2190 Depth=2
	s_or_b64 exec, exec, s[78:79]
.LBB4_2873:                             ;   in Loop: Header=BB4_2190 Depth=2
	s_or_b64 exec, exec, s[76:77]
.LBB4_2874:                             ;   in Loop: Header=BB4_2190 Depth=2
	s_or_b64 exec, exec, s[18:19]
	v_add_f32_e32 v4, v4, v2
	v_and_b32_e32 v50, 0x7f800000, v4
	v_cmp_ne_u64_e32 vcc, s[46:47], v[50:51]
                                        ; implicit-def: $vgpr20
	s_and_saveexec_b64 s[18:19], vcc
	s_xor_b64 s[76:77], exec, s[18:19]
	s_cbranch_execz .LBB4_2888
; %bb.2875:                             ;   in Loop: Header=BB4_2190 Depth=2
	v_and_b32_e32 v50, 0x7fffffff, v4
	v_cmp_gt_u64_e32 vcc, s[56:57], v[50:51]
	v_and_b32_sdwa v2, v4, s49 dst_sel:DWORD dst_unused:UNUSED_PAD src0_sel:BYTE_3 src1_sel:DWORD
                                        ; implicit-def: $vgpr20
	s_and_saveexec_b64 s[18:19], vcc
	s_xor_b64 s[78:79], exec, s[18:19]
	s_cbranch_execz .LBB4_2885
; %bb.2876:                             ;   in Loop: Header=BB4_2190 Depth=2
	v_mov_b32_e32 v20, 0
	v_cmp_ne_u32_e32 vcc, 0, v4
	s_and_saveexec_b64 s[88:89], vcc
	s_cbranch_execz .LBB4_2884
; %bb.2877:                             ;   in Loop: Header=BB4_2190 Depth=2
	v_and_b32_e32 v10, 0x7fffff, v4
	v_bfe_u32 v4, v4, 23, 8
	v_cmp_gt_u32_e64 s[18:19], s51, v4
	v_sub_u32_e32 v5, 0x79, v4
	v_cmp_eq_u32_e32 vcc, 0, v4
	v_cndmask_b32_e64 v5, 0, v5, s[18:19]
	v_or_b32_e32 v11, 0x800000, v10
	v_cndmask_b32_e32 v5, v5, v49, vcc
	v_cndmask_b32_e32 v50, v11, v10, vcc
	v_add_u32_e32 v10, 20, v5
	v_lshlrev_b64 v[10:11], v10, -1
	v_add_u32_e32 v14, 19, v5
	v_lshlrev_b64 v[14:15], v14, 1
	v_bfi_b32 v11, v11, 0, 0
	v_bfi_b32 v10, v10, 0, v50
	v_cmp_eq_u64_e64 s[18:19], v[10:11], v[14:15]
	v_lshrrev_b64 v[10:11], v5, v[50:51]
	v_mov_b32_e32 v15, v11
	v_mov_b32_e32 v14, v10
	s_and_saveexec_b64 s[90:91], s[18:19]
; %bb.2878:                             ;   in Loop: Header=BB4_2190 Depth=2
	v_bfe_u32 v11, v10, 20, 1
	v_add_co_u32_e64 v11, s[18:19], v10, v11
	v_add_co_u32_e64 v14, s[18:19], -1, v11
; %bb.2879:                             ;   in Loop: Header=BB4_2190 Depth=2
	s_or_b64 exec, exec, s[90:91]
	v_add_u32_e32 v4, 0xffffff81, v4
	v_mov_b32_e32 v11, 0xffffff82
	v_cndmask_b32_e32 v4, v4, v11, vcc
	v_lshrrev_b32_e32 v11, 23, v10
	v_add3_u32 v15, v5, v4, v11
	v_add_u32_e32 v5, 6, v15
	v_and_b32_e32 v4, 0xfffff, v14
	v_add_u32_e32 v50, v4, v10
	v_cmp_ne_u32_e32 vcc, 0, v5
                                        ; implicit-def: $vgpr10_vgpr11
                                        ; implicit-def: $vgpr4
	s_and_saveexec_b64 s[18:19], vcc
	s_xor_b64 s[18:19], exec, s[18:19]
; %bb.2880:                             ;   in Loop: Header=BB4_2190 Depth=2
	v_cmp_lt_u64_e32 vcc, s[58:59], v[50:51]
	v_add_u32_e32 v4, 7, v15
	v_cndmask_b32_e32 v4, v5, v4, vcc
	v_cndmask_b32_e64 v5, 0, 1, vcc
	v_lshrrev_b64 v[10:11], v5, v[50:51]
; %bb.2881:                             ;   in Loop: Header=BB4_2190 Depth=2
	s_andn2_saveexec_b64 s[18:19], s[18:19]
; %bb.2882:                             ;   in Loop: Header=BB4_2190 Depth=2
	v_mov_b32_e32 v10, v50
	v_bfe_u32 v4, v50, 23, 1
	v_mov_b32_e32 v11, v51
; %bb.2883:                             ;   in Loop: Header=BB4_2190 Depth=2
	s_or_b64 exec, exec, s[18:19]
	v_lshrrev_b64 v[10:11], 20, v[10:11]
	v_cmp_gt_i32_e32 vcc, 16, v4
	v_cndmask_b32_e32 v11, 0, v11, vcc
	v_cndmask_b32_e32 v10, 7, v10, vcc
	v_cmp_eq_u32_e32 vcc, 0, v4
	v_min_i32_e32 v4, 15, v4
	v_cmp_eq_u64_e64 s[18:19], 0, v[10:11]
	v_lshlrev_b32_e32 v4, 3, v4
	v_and_b32_e32 v4, 0xf8, v4
	v_and_or_b32 v4, v10, 7, v4
	s_and_b64 s[18:19], vcc, s[18:19]
	v_cndmask_b32_e64 v4, v4, 0, s[18:19]
	v_or_b32_e32 v20, v4, v2
.LBB4_2884:                             ;   in Loop: Header=BB4_2190 Depth=2
	s_or_b64 exec, exec, s[88:89]
                                        ; implicit-def: $vgpr2
.LBB4_2885:                             ;   in Loop: Header=BB4_2190 Depth=2
	s_andn2_saveexec_b64 s[18:19], s[78:79]
; %bb.2886:                             ;   in Loop: Header=BB4_2190 Depth=2
	v_or_b32_e32 v20, 0x7e, v2
; %bb.2887:                             ;   in Loop: Header=BB4_2190 Depth=2
	s_or_b64 exec, exec, s[18:19]
                                        ; implicit-def: $vgpr4
.LBB4_2888:                             ;   in Loop: Header=BB4_2190 Depth=2
	s_andn2_saveexec_b64 s[18:19], s[76:77]
; %bb.2889:                             ;   in Loop: Header=BB4_2190 Depth=2
	v_or_b32_sdwa v20, v4, s50 dst_sel:DWORD dst_unused:UNUSED_PAD src0_sel:BYTE_3 src1_sel:DWORD
; %bb.2890:                             ;   in Loop: Header=BB4_2190 Depth=2
	s_or_b64 exec, exec, s[18:19]
	v_lshrrev_b16_e32 v10, 8, v16
	v_cmp_ne_u16_e32 vcc, 0, v10
	v_mov_b32_e32 v2, 0
	v_mov_b32_e32 v4, 0
	s_and_saveexec_b64 s[18:19], vcc
	s_cbranch_execz .LBB4_2896
; %bb.2891:                             ;   in Loop: Header=BB4_2190 Depth=2
	v_cmp_ne_u16_e32 vcc, s49, v10
	v_bfrev_b32_e32 v4, 1
	s_and_saveexec_b64 s[76:77], vcc
	s_cbranch_execz .LBB4_2895
; %bb.2892:                             ;   in Loop: Header=BB4_2190 Depth=2
	v_and_b32_e32 v5, 0x7f, v10
	v_cmp_ne_u32_e32 vcc, s50, v5
	v_mov_b32_e32 v4, 0x7f800001
	s_and_saveexec_b64 s[78:79], vcc
	s_cbranch_execz .LBB4_2894
; %bb.2893:                             ;   in Loop: Header=BB4_2190 Depth=2
	v_and_b32_e32 v11, 7, v10
	v_ffbh_u32_e32 v4, v11
	v_min_u32_e32 v15, 32, v4
	v_subrev_u32_e32 v4, 28, v15
	v_lshrrev_b32_e32 v14, 3, v5
	v_cmp_gt_u32_e32 vcc, 8, v5
	v_lshlrev_b64 v[4:5], v4, v[10:11]
	v_sub_u32_e32 v5, 29, v15
	v_and_b32_e32 v4, 7, v4
	v_cndmask_b32_e32 v5, v14, v5, vcc
	v_cndmask_b32_e32 v4, v11, v4, vcc
	v_lshlrev_b32_e32 v10, 16, v16
	v_lshlrev_b32_e32 v4, 20, v4
	v_and_b32_e32 v10, 0x80000000, v10
	v_lshl_add_u32 v5, v5, 23, v62
	v_or3_b32 v4, v10, v5, v4
.LBB4_2894:                             ;   in Loop: Header=BB4_2190 Depth=2
	s_or_b64 exec, exec, s[78:79]
.LBB4_2895:                             ;   in Loop: Header=BB4_2190 Depth=2
	s_or_b64 exec, exec, s[76:77]
.LBB4_2896:                             ;   in Loop: Header=BB4_2190 Depth=2
	s_or_b64 exec, exec, s[18:19]
	v_lshrrev_b16_e32 v10, 8, v12
	v_cmp_ne_u16_e32 vcc, 0, v10
	s_and_saveexec_b64 s[18:19], vcc
	s_cbranch_execz .LBB4_2902
; %bb.2897:                             ;   in Loop: Header=BB4_2190 Depth=2
	v_cmp_ne_u16_e32 vcc, s49, v10
	v_bfrev_b32_e32 v2, 1
	s_and_saveexec_b64 s[76:77], vcc
	s_cbranch_execz .LBB4_2901
; %bb.2898:                             ;   in Loop: Header=BB4_2190 Depth=2
	v_and_b32_e32 v5, 0x7f, v10
	v_cmp_ne_u32_e32 vcc, s50, v5
	v_mov_b32_e32 v2, 0x7f800001
	s_and_saveexec_b64 s[78:79], vcc
	s_cbranch_execz .LBB4_2900
; %bb.2899:                             ;   in Loop: Header=BB4_2190 Depth=2
	v_and_b32_e32 v2, 7, v10
	v_lshrrev_b32_e32 v14, 3, v5
	v_cmp_gt_u32_e32 vcc, 8, v5
	v_ffbh_u32_e32 v5, v2
	v_min_u32_e32 v5, 32, v5
	v_subrev_u32_e32 v11, 28, v5
	v_lshlrev_b64 v[10:11], v11, v[10:11]
	v_sub_u32_e32 v5, 29, v5
	v_and_b32_e32 v10, 7, v10
	v_cndmask_b32_e32 v5, v14, v5, vcc
	v_cndmask_b32_e32 v2, v2, v10, vcc
	v_lshlrev_b32_e32 v10, 16, v12
	v_lshlrev_b32_e32 v2, 20, v2
	v_and_b32_e32 v10, 0x80000000, v10
	v_lshl_add_u32 v5, v5, 23, v62
	v_or3_b32 v2, v10, v5, v2
.LBB4_2900:                             ;   in Loop: Header=BB4_2190 Depth=2
	s_or_b64 exec, exec, s[78:79]
.LBB4_2901:                             ;   in Loop: Header=BB4_2190 Depth=2
	s_or_b64 exec, exec, s[76:77]
.LBB4_2902:                             ;   in Loop: Header=BB4_2190 Depth=2
	s_or_b64 exec, exec, s[18:19]
	v_add_f32_e32 v4, v4, v2
	v_and_b32_e32 v50, 0x7f800000, v4
	v_cmp_ne_u64_e32 vcc, s[46:47], v[50:51]
                                        ; implicit-def: $vgpr29
	s_and_saveexec_b64 s[18:19], vcc
	s_xor_b64 s[76:77], exec, s[18:19]
	s_cbranch_execz .LBB4_2916
; %bb.2903:                             ;   in Loop: Header=BB4_2190 Depth=2
	v_and_b32_e32 v50, 0x7fffffff, v4
	v_cmp_gt_u64_e32 vcc, s[56:57], v[50:51]
	v_and_b32_sdwa v2, v4, s49 dst_sel:DWORD dst_unused:UNUSED_PAD src0_sel:BYTE_3 src1_sel:DWORD
                                        ; implicit-def: $vgpr29
	s_and_saveexec_b64 s[18:19], vcc
	s_xor_b64 s[78:79], exec, s[18:19]
	s_cbranch_execz .LBB4_2913
; %bb.2904:                             ;   in Loop: Header=BB4_2190 Depth=2
	v_mov_b32_e32 v29, 0
	v_cmp_ne_u32_e32 vcc, 0, v4
	s_and_saveexec_b64 s[88:89], vcc
	s_cbranch_execz .LBB4_2912
; %bb.2905:                             ;   in Loop: Header=BB4_2190 Depth=2
	v_and_b32_e32 v10, 0x7fffff, v4
	v_bfe_u32 v4, v4, 23, 8
	v_cmp_gt_u32_e64 s[18:19], s51, v4
	v_sub_u32_e32 v5, 0x79, v4
	v_cmp_eq_u32_e32 vcc, 0, v4
	v_cndmask_b32_e64 v5, 0, v5, s[18:19]
	v_or_b32_e32 v11, 0x800000, v10
	v_cndmask_b32_e32 v5, v5, v49, vcc
	v_cndmask_b32_e32 v50, v11, v10, vcc
	v_add_u32_e32 v10, 20, v5
	v_lshlrev_b64 v[10:11], v10, -1
	v_add_u32_e32 v14, 19, v5
	v_lshlrev_b64 v[14:15], v14, 1
	v_bfi_b32 v11, v11, 0, 0
	v_bfi_b32 v10, v10, 0, v50
	v_cmp_eq_u64_e64 s[18:19], v[10:11], v[14:15]
	v_lshrrev_b64 v[10:11], v5, v[50:51]
	v_mov_b32_e32 v15, v11
	v_mov_b32_e32 v14, v10
	s_and_saveexec_b64 s[90:91], s[18:19]
; %bb.2906:                             ;   in Loop: Header=BB4_2190 Depth=2
	v_bfe_u32 v11, v10, 20, 1
	v_add_co_u32_e64 v11, s[18:19], v10, v11
	v_add_co_u32_e64 v14, s[18:19], -1, v11
; %bb.2907:                             ;   in Loop: Header=BB4_2190 Depth=2
	s_or_b64 exec, exec, s[90:91]
	v_add_u32_e32 v4, 0xffffff81, v4
	v_mov_b32_e32 v11, 0xffffff82
	v_cndmask_b32_e32 v4, v4, v11, vcc
	v_lshrrev_b32_e32 v11, 23, v10
	v_add3_u32 v15, v5, v4, v11
	v_add_u32_e32 v5, 6, v15
	v_and_b32_e32 v4, 0xfffff, v14
	v_add_u32_e32 v50, v4, v10
	v_cmp_ne_u32_e32 vcc, 0, v5
                                        ; implicit-def: $vgpr10_vgpr11
                                        ; implicit-def: $vgpr4
	s_and_saveexec_b64 s[18:19], vcc
	s_xor_b64 s[18:19], exec, s[18:19]
; %bb.2908:                             ;   in Loop: Header=BB4_2190 Depth=2
	v_cmp_lt_u64_e32 vcc, s[58:59], v[50:51]
	v_add_u32_e32 v4, 7, v15
	v_cndmask_b32_e32 v4, v5, v4, vcc
	v_cndmask_b32_e64 v5, 0, 1, vcc
	v_lshrrev_b64 v[10:11], v5, v[50:51]
; %bb.2909:                             ;   in Loop: Header=BB4_2190 Depth=2
	s_andn2_saveexec_b64 s[18:19], s[18:19]
; %bb.2910:                             ;   in Loop: Header=BB4_2190 Depth=2
	v_mov_b32_e32 v10, v50
	v_bfe_u32 v4, v50, 23, 1
	v_mov_b32_e32 v11, v51
; %bb.2911:                             ;   in Loop: Header=BB4_2190 Depth=2
	s_or_b64 exec, exec, s[18:19]
	v_lshrrev_b64 v[10:11], 20, v[10:11]
	v_cmp_gt_i32_e32 vcc, 16, v4
	v_cndmask_b32_e32 v11, 0, v11, vcc
	v_cndmask_b32_e32 v10, 7, v10, vcc
	v_cmp_eq_u32_e32 vcc, 0, v4
	v_min_i32_e32 v4, 15, v4
	v_cmp_eq_u64_e64 s[18:19], 0, v[10:11]
	v_lshlrev_b32_e32 v4, 3, v4
	v_and_b32_e32 v4, 0xf8, v4
	v_and_or_b32 v4, v10, 7, v4
	s_and_b64 s[18:19], vcc, s[18:19]
	v_cndmask_b32_e64 v4, v4, 0, s[18:19]
	v_or_b32_e32 v29, v4, v2
.LBB4_2912:                             ;   in Loop: Header=BB4_2190 Depth=2
	s_or_b64 exec, exec, s[88:89]
                                        ; implicit-def: $vgpr2
.LBB4_2913:                             ;   in Loop: Header=BB4_2190 Depth=2
	s_andn2_saveexec_b64 s[18:19], s[78:79]
; %bb.2914:                             ;   in Loop: Header=BB4_2190 Depth=2
	v_or_b32_e32 v29, 0x7e, v2
; %bb.2915:                             ;   in Loop: Header=BB4_2190 Depth=2
	s_or_b64 exec, exec, s[18:19]
                                        ; implicit-def: $vgpr4
.LBB4_2916:                             ;   in Loop: Header=BB4_2190 Depth=2
	s_andn2_saveexec_b64 s[18:19], s[76:77]
; %bb.2917:                             ;   in Loop: Header=BB4_2190 Depth=2
	v_or_b32_sdwa v29, v4, s50 dst_sel:DWORD dst_unused:UNUSED_PAD src0_sel:BYTE_3 src1_sel:DWORD
; %bb.2918:                             ;   in Loop: Header=BB4_2190 Depth=2
	s_or_b64 exec, exec, s[18:19]
	v_lshrrev_b32_e32 v10, 16, v16
	v_cmp_ne_u16_sdwa s[76:77], v10, v51 src0_sel:BYTE_0 src1_sel:DWORD
	v_mov_b32_e32 v2, 0
	v_mov_b32_e32 v4, 0
	s_and_saveexec_b64 s[18:19], s[76:77]
	s_cbranch_execz .LBB4_2924
; %bb.2919:                             ;   in Loop: Header=BB4_2190 Depth=2
	v_cmp_ne_u16_sdwa s[78:79], v10, s49 src0_sel:BYTE_0 src1_sel:DWORD
	v_bfrev_b32_e32 v4, 1
	s_and_saveexec_b64 s[76:77], s[78:79]
	s_cbranch_execz .LBB4_2923
; %bb.2920:                             ;   in Loop: Header=BB4_2190 Depth=2
	v_bfe_u32 v5, v16, 16, 7
	v_cmp_ne_u32_e32 vcc, s50, v5
	v_mov_b32_e32 v4, 0x7f800001
	s_and_saveexec_b64 s[78:79], vcc
	s_cbranch_execz .LBB4_2922
; %bb.2921:                             ;   in Loop: Header=BB4_2190 Depth=2
	v_and_b32_e32 v11, 7, v10
	v_ffbh_u32_e32 v4, v11
	v_min_u32_e32 v15, 32, v4
	v_subrev_u32_e32 v4, 28, v15
	v_lshrrev_b32_e32 v14, 3, v5
	v_cmp_gt_u32_e32 vcc, 8, v5
	v_lshlrev_b64 v[4:5], v4, v[10:11]
	v_sub_u32_e32 v5, 29, v15
	v_and_b32_e32 v4, 7, v4
	v_cndmask_b32_e32 v5, v14, v5, vcc
	v_cndmask_b32_e32 v4, v11, v4, vcc
	v_lshlrev_b32_e32 v10, 24, v10
	v_lshlrev_b32_e32 v4, 20, v4
	v_and_b32_e32 v10, 0x80000000, v10
	v_lshl_add_u32 v5, v5, 23, v62
	v_or3_b32 v4, v10, v5, v4
.LBB4_2922:                             ;   in Loop: Header=BB4_2190 Depth=2
	s_or_b64 exec, exec, s[78:79]
.LBB4_2923:                             ;   in Loop: Header=BB4_2190 Depth=2
	s_or_b64 exec, exec, s[76:77]
.LBB4_2924:                             ;   in Loop: Header=BB4_2190 Depth=2
	s_or_b64 exec, exec, s[18:19]
	v_lshrrev_b32_e32 v10, 16, v12
	v_cmp_ne_u16_sdwa s[76:77], v10, v51 src0_sel:BYTE_0 src1_sel:DWORD
	s_and_saveexec_b64 s[18:19], s[76:77]
	s_cbranch_execz .LBB4_2930
; %bb.2925:                             ;   in Loop: Header=BB4_2190 Depth=2
	v_cmp_ne_u16_sdwa s[78:79], v10, s49 src0_sel:BYTE_0 src1_sel:DWORD
	v_bfrev_b32_e32 v2, 1
	s_and_saveexec_b64 s[76:77], s[78:79]
	s_cbranch_execz .LBB4_2929
; %bb.2926:                             ;   in Loop: Header=BB4_2190 Depth=2
	v_bfe_u32 v5, v12, 16, 7
	v_cmp_ne_u32_e32 vcc, s50, v5
	v_mov_b32_e32 v2, 0x7f800001
	s_and_saveexec_b64 s[78:79], vcc
	s_cbranch_execz .LBB4_2928
; %bb.2927:                             ;   in Loop: Header=BB4_2190 Depth=2
	v_and_b32_e32 v2, 7, v10
	v_lshrrev_b32_e32 v14, 3, v5
	v_cmp_gt_u32_e32 vcc, 8, v5
	v_ffbh_u32_e32 v5, v2
	v_min_u32_e32 v5, 32, v5
	v_subrev_u32_e32 v11, 28, v5
	v_lshlrev_b64 v[10:11], v11, v[10:11]
	v_sub_u32_e32 v5, 29, v5
	v_and_b32_e32 v10, 7, v10
	v_cndmask_b32_e32 v5, v14, v5, vcc
	v_cndmask_b32_e32 v2, v2, v10, vcc
	v_lshlrev_b32_e32 v10, 8, v12
	v_lshlrev_b32_e32 v2, 20, v2
	v_and_b32_e32 v10, 0x80000000, v10
	v_lshl_add_u32 v5, v5, 23, v62
	v_or3_b32 v2, v10, v5, v2
.LBB4_2928:                             ;   in Loop: Header=BB4_2190 Depth=2
	s_or_b64 exec, exec, s[78:79]
.LBB4_2929:                             ;   in Loop: Header=BB4_2190 Depth=2
	s_or_b64 exec, exec, s[76:77]
.LBB4_2930:                             ;   in Loop: Header=BB4_2190 Depth=2
	s_or_b64 exec, exec, s[18:19]
	v_add_f32_e32 v5, v4, v2
	v_and_b32_e32 v50, 0x7f800000, v5
	v_cmp_ne_u64_e32 vcc, s[46:47], v[50:51]
                                        ; implicit-def: $vgpr2
	s_and_saveexec_b64 s[18:19], vcc
	s_xor_b64 s[76:77], exec, s[18:19]
	s_cbranch_execz .LBB4_2944
; %bb.2931:                             ;   in Loop: Header=BB4_2190 Depth=2
	v_and_b32_e32 v50, 0x7fffffff, v5
	v_cmp_gt_u64_e32 vcc, s[56:57], v[50:51]
	v_and_b32_sdwa v4, v5, s49 dst_sel:DWORD dst_unused:UNUSED_PAD src0_sel:BYTE_3 src1_sel:DWORD
                                        ; implicit-def: $vgpr2
	s_and_saveexec_b64 s[18:19], vcc
	s_xor_b64 s[78:79], exec, s[18:19]
	s_cbranch_execz .LBB4_2941
; %bb.2932:                             ;   in Loop: Header=BB4_2190 Depth=2
	v_mov_b32_e32 v2, 0
	v_cmp_ne_u32_e32 vcc, 0, v5
	s_and_saveexec_b64 s[88:89], vcc
	s_cbranch_execz .LBB4_2940
; %bb.2933:                             ;   in Loop: Header=BB4_2190 Depth=2
	v_bfe_u32 v2, v5, 23, 8
	v_and_b32_e32 v10, 0x7fffff, v5
	v_cmp_gt_u32_e64 s[18:19], s51, v2
	v_sub_u32_e32 v5, 0x79, v2
	v_cmp_eq_u32_e32 vcc, 0, v2
	v_cndmask_b32_e64 v5, 0, v5, s[18:19]
	v_or_b32_e32 v11, 0x800000, v10
	v_cndmask_b32_e32 v5, v5, v49, vcc
	v_cndmask_b32_e32 v50, v11, v10, vcc
	v_add_u32_e32 v10, 20, v5
	v_lshlrev_b64 v[10:11], v10, -1
	v_add_u32_e32 v14, 19, v5
	v_lshlrev_b64 v[14:15], v14, 1
	v_bfi_b32 v11, v11, 0, 0
	v_bfi_b32 v10, v10, 0, v50
	v_cmp_eq_u64_e64 s[18:19], v[10:11], v[14:15]
	v_lshrrev_b64 v[10:11], v5, v[50:51]
	v_mov_b32_e32 v15, v11
	v_mov_b32_e32 v14, v10
	s_and_saveexec_b64 s[90:91], s[18:19]
; %bb.2934:                             ;   in Loop: Header=BB4_2190 Depth=2
	v_bfe_u32 v11, v10, 20, 1
	v_add_co_u32_e64 v11, s[18:19], v10, v11
	v_add_co_u32_e64 v14, s[18:19], -1, v11
; %bb.2935:                             ;   in Loop: Header=BB4_2190 Depth=2
	s_or_b64 exec, exec, s[90:91]
	v_add_u32_e32 v2, 0xffffff81, v2
	v_mov_b32_e32 v11, 0xffffff82
	v_cndmask_b32_e32 v2, v2, v11, vcc
	v_lshrrev_b32_e32 v11, 23, v10
	v_add3_u32 v15, v5, v2, v11
	v_add_u32_e32 v5, 6, v15
	v_and_b32_e32 v2, 0xfffff, v14
	v_add_u32_e32 v50, v2, v10
	v_cmp_ne_u32_e32 vcc, 0, v5
                                        ; implicit-def: $vgpr10_vgpr11
                                        ; implicit-def: $vgpr2
	s_and_saveexec_b64 s[18:19], vcc
	s_xor_b64 s[18:19], exec, s[18:19]
; %bb.2936:                             ;   in Loop: Header=BB4_2190 Depth=2
	v_cmp_lt_u64_e32 vcc, s[58:59], v[50:51]
	v_add_u32_e32 v2, 7, v15
	v_cndmask_b32_e32 v2, v5, v2, vcc
	v_cndmask_b32_e64 v5, 0, 1, vcc
	v_lshrrev_b64 v[10:11], v5, v[50:51]
; %bb.2937:                             ;   in Loop: Header=BB4_2190 Depth=2
	s_andn2_saveexec_b64 s[18:19], s[18:19]
; %bb.2938:                             ;   in Loop: Header=BB4_2190 Depth=2
	v_mov_b32_e32 v10, v50
	v_bfe_u32 v2, v50, 23, 1
	v_mov_b32_e32 v11, v51
; %bb.2939:                             ;   in Loop: Header=BB4_2190 Depth=2
	s_or_b64 exec, exec, s[18:19]
	v_lshrrev_b64 v[10:11], 20, v[10:11]
	v_cmp_gt_i32_e32 vcc, 16, v2
	v_cndmask_b32_e32 v11, 0, v11, vcc
	v_cndmask_b32_e32 v10, 7, v10, vcc
	v_cmp_eq_u32_e32 vcc, 0, v2
	v_min_i32_e32 v2, 15, v2
	v_cmp_eq_u64_e64 s[18:19], 0, v[10:11]
	v_lshlrev_b32_e32 v2, 3, v2
	v_and_b32_e32 v2, 0xf8, v2
	v_and_or_b32 v2, v10, 7, v2
	s_and_b64 s[18:19], vcc, s[18:19]
	v_cndmask_b32_e64 v2, v2, 0, s[18:19]
	v_or_b32_e32 v2, v2, v4
.LBB4_2940:                             ;   in Loop: Header=BB4_2190 Depth=2
	s_or_b64 exec, exec, s[88:89]
                                        ; implicit-def: $vgpr4
.LBB4_2941:                             ;   in Loop: Header=BB4_2190 Depth=2
	s_andn2_saveexec_b64 s[18:19], s[78:79]
; %bb.2942:                             ;   in Loop: Header=BB4_2190 Depth=2
	v_or_b32_e32 v2, 0x7e, v4
; %bb.2943:                             ;   in Loop: Header=BB4_2190 Depth=2
	s_or_b64 exec, exec, s[18:19]
                                        ; implicit-def: $vgpr5
.LBB4_2944:                             ;   in Loop: Header=BB4_2190 Depth=2
	s_andn2_saveexec_b64 s[18:19], s[76:77]
; %bb.2945:                             ;   in Loop: Header=BB4_2190 Depth=2
	v_or_b32_sdwa v2, v5, s50 dst_sel:DWORD dst_unused:UNUSED_PAD src0_sel:BYTE_3 src1_sel:DWORD
; %bb.2946:                             ;   in Loop: Header=BB4_2190 Depth=2
	s_or_b64 exec, exec, s[18:19]
	v_cmp_lt_u32_e32 vcc, s61, v16
	v_mov_b32_e32 v4, 0
	v_mov_b32_e32 v5, 0
	s_and_saveexec_b64 s[18:19], vcc
	s_cbranch_execz .LBB4_2952
; %bb.2947:                             ;   in Loop: Header=BB4_2190 Depth=2
	v_lshrrev_b32_e32 v10, 24, v16
	v_cmp_ne_u32_e32 vcc, s49, v10
	v_bfrev_b32_e32 v5, 1
	s_and_saveexec_b64 s[76:77], vcc
	s_cbranch_execz .LBB4_2951
; %bb.2948:                             ;   in Loop: Header=BB4_2190 Depth=2
	v_bfe_u32 v11, v16, 24, 7
	v_cmp_ne_u32_e32 vcc, s50, v11
	v_mov_b32_e32 v5, 0x7f800001
	s_and_saveexec_b64 s[78:79], vcc
	s_cbranch_execz .LBB4_2950
; %bb.2949:                             ;   in Loop: Header=BB4_2190 Depth=2
	v_and_b32_e32 v5, 7, v10
	v_lshrrev_b32_e32 v26, 3, v11
	v_cmp_gt_u32_e32 vcc, 8, v11
	v_ffbh_u32_e32 v11, v5
	v_min_u32_e32 v11, 32, v11
	v_subrev_u32_e32 v14, 28, v11
	v_lshlrev_b64 v[14:15], v14, v[10:11]
	v_sub_u32_e32 v11, 29, v11
	v_and_b32_e32 v14, 7, v14
	v_cndmask_b32_e32 v11, v26, v11, vcc
	v_cndmask_b32_e32 v5, v5, v14, vcc
	v_lshlrev_b32_e32 v10, 24, v10
	v_lshlrev_b32_e32 v5, 20, v5
	v_and_b32_e32 v10, 0x80000000, v10
	v_lshl_add_u32 v11, v11, 23, v62
	v_or3_b32 v5, v10, v11, v5
.LBB4_2950:                             ;   in Loop: Header=BB4_2190 Depth=2
	s_or_b64 exec, exec, s[78:79]
.LBB4_2951:                             ;   in Loop: Header=BB4_2190 Depth=2
	s_or_b64 exec, exec, s[76:77]
.LBB4_2952:                             ;   in Loop: Header=BB4_2190 Depth=2
	s_or_b64 exec, exec, s[18:19]
	v_cmp_lt_u32_e32 vcc, s61, v12
	s_and_saveexec_b64 s[18:19], vcc
	s_cbranch_execz .LBB4_2958
; %bb.2953:                             ;   in Loop: Header=BB4_2190 Depth=2
	v_lshrrev_b32_e32 v10, 24, v12
	v_cmp_ne_u32_e32 vcc, s49, v10
	v_bfrev_b32_e32 v4, 1
	s_and_saveexec_b64 s[76:77], vcc
	s_cbranch_execz .LBB4_2957
; %bb.2954:                             ;   in Loop: Header=BB4_2190 Depth=2
	v_bfe_u32 v11, v12, 24, 7
	v_cmp_ne_u32_e32 vcc, s50, v11
	v_mov_b32_e32 v4, 0x7f800001
	s_and_saveexec_b64 s[78:79], vcc
	s_cbranch_execz .LBB4_2956
; %bb.2955:                             ;   in Loop: Header=BB4_2190 Depth=2
	v_and_b32_e32 v4, 7, v10
	v_lshrrev_b32_e32 v26, 3, v11
	v_cmp_gt_u32_e32 vcc, 8, v11
	v_ffbh_u32_e32 v11, v4
	v_min_u32_e32 v11, 32, v11
	v_subrev_u32_e32 v14, 28, v11
	v_lshlrev_b64 v[14:15], v14, v[10:11]
	v_sub_u32_e32 v11, 29, v11
	v_and_b32_e32 v14, 7, v14
	v_cndmask_b32_e32 v11, v26, v11, vcc
	v_cndmask_b32_e32 v4, v4, v14, vcc
	v_lshlrev_b32_e32 v10, 24, v10
	v_lshlrev_b32_e32 v4, 20, v4
	v_and_b32_e32 v10, 0x80000000, v10
	v_lshl_add_u32 v11, v11, 23, v62
	v_or3_b32 v4, v10, v11, v4
.LBB4_2956:                             ;   in Loop: Header=BB4_2190 Depth=2
	s_or_b64 exec, exec, s[78:79]
.LBB4_2957:                             ;   in Loop: Header=BB4_2190 Depth=2
	s_or_b64 exec, exec, s[76:77]
.LBB4_2958:                             ;   in Loop: Header=BB4_2190 Depth=2
	s_or_b64 exec, exec, s[18:19]
	v_add_f32_e32 v5, v5, v4
	v_and_b32_e32 v50, 0x7f800000, v5
	v_cmp_ne_u64_e32 vcc, s[46:47], v[50:51]
                                        ; implicit-def: $vgpr41
	s_and_saveexec_b64 s[18:19], vcc
	s_xor_b64 s[76:77], exec, s[18:19]
	s_cbranch_execz .LBB4_2972
; %bb.2959:                             ;   in Loop: Header=BB4_2190 Depth=2
	v_and_b32_e32 v50, 0x7fffffff, v5
	v_cmp_gt_u64_e32 vcc, s[56:57], v[50:51]
	v_and_b32_sdwa v4, v5, s49 dst_sel:DWORD dst_unused:UNUSED_PAD src0_sel:BYTE_3 src1_sel:DWORD
                                        ; implicit-def: $vgpr41
	s_and_saveexec_b64 s[18:19], vcc
	s_xor_b64 s[78:79], exec, s[18:19]
	s_cbranch_execz .LBB4_2969
; %bb.2960:                             ;   in Loop: Header=BB4_2190 Depth=2
	v_mov_b32_e32 v41, 0
	v_cmp_ne_u32_e32 vcc, 0, v5
	s_and_saveexec_b64 s[88:89], vcc
	s_cbranch_execz .LBB4_2968
; %bb.2961:                             ;   in Loop: Header=BB4_2190 Depth=2
	v_and_b32_e32 v10, 0x7fffff, v5
	v_bfe_u32 v5, v5, 23, 8
	v_cmp_gt_u32_e64 s[18:19], s51, v5
	v_sub_u32_e32 v11, 0x79, v5
	v_cmp_eq_u32_e32 vcc, 0, v5
	v_cndmask_b32_e64 v11, 0, v11, s[18:19]
	v_or_b32_e32 v14, 0x800000, v10
	v_cndmask_b32_e32 v26, v11, v49, vcc
	v_cndmask_b32_e32 v50, v14, v10, vcc
	v_add_u32_e32 v10, 20, v26
	v_lshlrev_b64 v[10:11], v10, -1
	v_add_u32_e32 v14, 19, v26
	v_lshlrev_b64 v[14:15], v14, 1
	v_bfi_b32 v11, v11, 0, 0
	v_bfi_b32 v10, v10, 0, v50
	v_cmp_eq_u64_e64 s[18:19], v[10:11], v[14:15]
	v_lshrrev_b64 v[10:11], v26, v[50:51]
	v_mov_b32_e32 v15, v11
	v_mov_b32_e32 v14, v10
	s_and_saveexec_b64 s[90:91], s[18:19]
; %bb.2962:                             ;   in Loop: Header=BB4_2190 Depth=2
	v_bfe_u32 v11, v10, 20, 1
	v_add_co_u32_e64 v11, s[18:19], v10, v11
	v_add_co_u32_e64 v14, s[18:19], -1, v11
; %bb.2963:                             ;   in Loop: Header=BB4_2190 Depth=2
	s_or_b64 exec, exec, s[90:91]
	v_add_u32_e32 v5, 0xffffff81, v5
	v_mov_b32_e32 v11, 0xffffff82
	v_cndmask_b32_e32 v5, v5, v11, vcc
	v_lshrrev_b32_e32 v11, 23, v10
	v_add3_u32 v26, v26, v5, v11
	v_add_u32_e32 v15, 6, v26
	v_and_b32_e32 v5, 0xfffff, v14
	v_add_u32_e32 v50, v5, v10
	v_cmp_ne_u32_e32 vcc, 0, v15
                                        ; implicit-def: $vgpr10_vgpr11
                                        ; implicit-def: $vgpr5
	s_and_saveexec_b64 s[18:19], vcc
	s_xor_b64 s[18:19], exec, s[18:19]
; %bb.2964:                             ;   in Loop: Header=BB4_2190 Depth=2
	v_cmp_lt_u64_e32 vcc, s[58:59], v[50:51]
	v_add_u32_e32 v5, 7, v26
	v_cndmask_b32_e64 v10, 0, 1, vcc
	v_lshrrev_b64 v[10:11], v10, v[50:51]
	v_cndmask_b32_e32 v5, v15, v5, vcc
; %bb.2965:                             ;   in Loop: Header=BB4_2190 Depth=2
	s_andn2_saveexec_b64 s[18:19], s[18:19]
; %bb.2966:                             ;   in Loop: Header=BB4_2190 Depth=2
	v_mov_b32_e32 v10, v50
	v_bfe_u32 v5, v50, 23, 1
	v_mov_b32_e32 v11, v51
; %bb.2967:                             ;   in Loop: Header=BB4_2190 Depth=2
	s_or_b64 exec, exec, s[18:19]
	v_lshrrev_b64 v[10:11], 20, v[10:11]
	v_cmp_gt_i32_e32 vcc, 16, v5
	v_cndmask_b32_e32 v11, 0, v11, vcc
	v_cndmask_b32_e32 v10, 7, v10, vcc
	v_cmp_eq_u32_e32 vcc, 0, v5
	v_min_i32_e32 v5, 15, v5
	v_cmp_eq_u64_e64 s[18:19], 0, v[10:11]
	v_lshlrev_b32_e32 v5, 3, v5
	v_and_b32_e32 v5, 0xf8, v5
	v_and_or_b32 v5, v10, 7, v5
	s_and_b64 s[18:19], vcc, s[18:19]
	v_cndmask_b32_e64 v5, v5, 0, s[18:19]
	v_or_b32_e32 v41, v5, v4
.LBB4_2968:                             ;   in Loop: Header=BB4_2190 Depth=2
	s_or_b64 exec, exec, s[88:89]
                                        ; implicit-def: $vgpr4
.LBB4_2969:                             ;   in Loop: Header=BB4_2190 Depth=2
	s_andn2_saveexec_b64 s[18:19], s[78:79]
; %bb.2970:                             ;   in Loop: Header=BB4_2190 Depth=2
	v_or_b32_e32 v41, 0x7e, v4
; %bb.2971:                             ;   in Loop: Header=BB4_2190 Depth=2
	s_or_b64 exec, exec, s[18:19]
                                        ; implicit-def: $vgpr5
.LBB4_2972:                             ;   in Loop: Header=BB4_2190 Depth=2
	s_andn2_saveexec_b64 s[18:19], s[76:77]
; %bb.2973:                             ;   in Loop: Header=BB4_2190 Depth=2
	v_or_b32_sdwa v41, v5, s50 dst_sel:DWORD dst_unused:UNUSED_PAD src0_sel:BYTE_3 src1_sel:DWORD
; %bb.2974:                             ;   in Loop: Header=BB4_2190 Depth=2
	s_or_b64 exec, exec, s[18:19]
	v_mov_b32_e32 v50, v17
	v_cmp_ne_u16_sdwa s[76:77], v17, v51 src0_sel:BYTE_0 src1_sel:DWORD
	v_mov_b32_e32 v5, 0
	v_mov_b32_e32 v4, 0
	s_and_saveexec_b64 s[18:19], s[76:77]
	s_cbranch_execz .LBB4_2980
; %bb.2975:                             ;   in Loop: Header=BB4_2190 Depth=2
	v_cmp_ne_u16_sdwa s[78:79], v17, s49 src0_sel:BYTE_0 src1_sel:DWORD
	v_bfrev_b32_e32 v4, 1
	s_and_saveexec_b64 s[76:77], s[78:79]
	s_cbranch_execz .LBB4_2979
; %bb.2976:                             ;   in Loop: Header=BB4_2190 Depth=2
	v_and_b32_e32 v10, 0x7f, v17
	v_cmp_ne_u32_e32 vcc, s50, v10
	v_mov_b32_e32 v4, 0x7f800001
	s_and_saveexec_b64 s[78:79], vcc
	s_cbranch_execz .LBB4_2978
; %bb.2977:                             ;   in Loop: Header=BB4_2190 Depth=2
	v_and_b32_e32 v4, 7, v17
	v_ffbh_u32_e32 v4, v4
	v_min_u32_e32 v4, 32, v4
	v_lshrrev_b32_e32 v11, 3, v10
	v_cmp_gt_u32_e32 vcc, 8, v10
	v_subrev_u32_e32 v10, 28, v4
	v_sub_u32_e32 v4, 29, v4
	v_cndmask_b32_e32 v10, 0, v10, vcc
	v_cndmask_b32_e32 v4, v11, v4, vcc
	v_lshlrev_b64 v[10:11], v10, v[50:51]
	v_lshlrev_b32_e32 v11, 24, v50
	v_lshlrev_b32_e32 v10, 20, v10
	v_and_b32_e32 v10, 0x700000, v10
	v_and_b32_e32 v11, 0x80000000, v11
	v_lshl_add_u32 v4, v4, 23, v62
	v_or3_b32 v4, v11, v4, v10
.LBB4_2978:                             ;   in Loop: Header=BB4_2190 Depth=2
	s_or_b64 exec, exec, s[78:79]
.LBB4_2979:                             ;   in Loop: Header=BB4_2190 Depth=2
	s_or_b64 exec, exec, s[76:77]
.LBB4_2980:                             ;   in Loop: Header=BB4_2190 Depth=2
	s_or_b64 exec, exec, s[18:19]
	v_cmp_ne_u16_sdwa s[76:77], v13, v51 src0_sel:BYTE_0 src1_sel:DWORD
	s_and_saveexec_b64 s[18:19], s[76:77]
	s_cbranch_execz .LBB4_2986
; %bb.2981:                             ;   in Loop: Header=BB4_2190 Depth=2
	v_cmp_ne_u16_sdwa s[78:79], v13, s49 src0_sel:BYTE_0 src1_sel:DWORD
	v_bfrev_b32_e32 v5, 1
	s_and_saveexec_b64 s[76:77], s[78:79]
	s_cbranch_execz .LBB4_2985
; %bb.2982:                             ;   in Loop: Header=BB4_2190 Depth=2
	v_and_b32_e32 v10, 0x7f, v13
	v_cmp_ne_u32_e32 vcc, s50, v10
	v_mov_b32_e32 v5, 0x7f800001
	s_and_saveexec_b64 s[78:79], vcc
	s_cbranch_execz .LBB4_2984
; %bb.2983:                             ;   in Loop: Header=BB4_2190 Depth=2
	v_and_b32_e32 v5, 7, v13
	v_ffbh_u32_e32 v5, v5
	v_min_u32_e32 v5, 32, v5
	v_lshrrev_b32_e32 v11, 3, v10
	v_cmp_gt_u32_e32 vcc, 8, v10
	v_subrev_u32_e32 v10, 28, v5
	v_mov_b32_e32 v14, v13
	v_mov_b32_e32 v15, v51
	v_sub_u32_e32 v5, 29, v5
	v_cndmask_b32_e32 v10, 0, v10, vcc
	v_cndmask_b32_e32 v5, v11, v5, vcc
	v_lshlrev_b64 v[10:11], v10, v[14:15]
	v_lshlrev_b32_e32 v11, 24, v14
	v_lshlrev_b32_e32 v10, 20, v10
	v_and_b32_e32 v10, 0x700000, v10
	v_and_b32_e32 v11, 0x80000000, v11
	v_lshl_add_u32 v5, v5, 23, v62
	v_or3_b32 v5, v11, v5, v10
.LBB4_2984:                             ;   in Loop: Header=BB4_2190 Depth=2
	s_or_b64 exec, exec, s[78:79]
.LBB4_2985:                             ;   in Loop: Header=BB4_2190 Depth=2
	s_or_b64 exec, exec, s[76:77]
.LBB4_2986:                             ;   in Loop: Header=BB4_2190 Depth=2
	s_or_b64 exec, exec, s[18:19]
	v_add_f32_e32 v5, v4, v5
	v_and_b32_e32 v10, 0x7f800000, v5
	v_mov_b32_e32 v11, v51
	v_cmp_ne_u64_e32 vcc, s[46:47], v[10:11]
                                        ; implicit-def: $vgpr54
	s_and_saveexec_b64 s[18:19], vcc
	s_xor_b64 s[76:77], exec, s[18:19]
	s_cbranch_execz .LBB4_3000
; %bb.2987:                             ;   in Loop: Header=BB4_2190 Depth=2
	v_and_b32_e32 v10, 0x7fffffff, v5
	v_mov_b32_e32 v11, v51
	v_cmp_gt_u64_e32 vcc, s[56:57], v[10:11]
	v_and_b32_sdwa v4, v5, s49 dst_sel:DWORD dst_unused:UNUSED_PAD src0_sel:BYTE_3 src1_sel:DWORD
                                        ; implicit-def: $vgpr54
	s_and_saveexec_b64 s[18:19], vcc
	s_xor_b64 s[78:79], exec, s[18:19]
	s_cbranch_execz .LBB4_2997
; %bb.2988:                             ;   in Loop: Header=BB4_2190 Depth=2
	v_mov_b32_e32 v54, 0
	v_cmp_ne_u32_e32 vcc, 0, v5
	s_and_saveexec_b64 s[88:89], vcc
	s_cbranch_execz .LBB4_2996
; %bb.2989:                             ;   in Loop: Header=BB4_2190 Depth=2
	v_and_b32_e32 v10, 0x7fffff, v5
	v_bfe_u32 v5, v5, 23, 8
	v_cmp_gt_u32_e64 s[18:19], s51, v5
	v_sub_u32_e32 v11, 0x79, v5
	v_cmp_eq_u32_e32 vcc, 0, v5
	v_cndmask_b32_e64 v11, 0, v11, s[18:19]
	v_or_b32_e32 v14, 0x800000, v10
	v_cndmask_b32_e32 v26, v11, v49, vcc
	v_cndmask_b32_e32 v10, v14, v10, vcc
	v_add_u32_e32 v14, 20, v26
	v_lshlrev_b64 v[14:15], v14, -1
	v_mov_b32_e32 v54, v27
	v_mov_b32_e32 v11, v51
	v_add_u32_e32 v27, 19, v26
	v_bfi_b32 v14, v14, 0, v10
	v_lshlrev_b64 v[48:49], v27, 1
	v_lshrrev_b64 v[10:11], v26, v[10:11]
	v_bfi_b32 v15, v15, 0, 0
	v_cmp_eq_u64_e64 s[18:19], v[14:15], v[48:49]
	v_mov_b32_e32 v15, v11
	v_mov_b32_e32 v14, v10
	s_and_saveexec_b64 s[90:91], s[18:19]
; %bb.2990:                             ;   in Loop: Header=BB4_2190 Depth=2
	v_bfe_u32 v11, v10, 20, 1
	v_add_co_u32_e64 v11, s[18:19], v10, v11
	v_add_co_u32_e64 v14, s[18:19], -1, v11
; %bb.2991:                             ;   in Loop: Header=BB4_2190 Depth=2
	s_or_b64 exec, exec, s[90:91]
	v_add_u32_e32 v5, 0xffffff81, v5
	v_mov_b32_e32 v11, 0xffffff82
	v_cndmask_b32_e32 v5, v5, v11, vcc
	v_lshrrev_b32_e32 v11, 23, v10
	v_add3_u32 v26, v26, v5, v11
	v_add_u32_e32 v15, 6, v26
	v_and_b32_e32 v5, 0xfffff, v14
	v_add_u32_e32 v10, v5, v10
	v_mov_b32_e32 v11, v51
	v_cmp_ne_u32_e32 vcc, 0, v15
                                        ; implicit-def: $vgpr5
	s_and_saveexec_b64 s[18:19], vcc
	s_xor_b64 s[18:19], exec, s[18:19]
; %bb.2992:                             ;   in Loop: Header=BB4_2190 Depth=2
	v_cmp_lt_u64_e32 vcc, s[58:59], v[10:11]
	v_add_u32_e32 v5, 7, v26
	v_cndmask_b32_e64 v14, 0, 1, vcc
	v_lshrrev_b64 v[10:11], v14, v[10:11]
	v_cndmask_b32_e32 v5, v15, v5, vcc
; %bb.2993:                             ;   in Loop: Header=BB4_2190 Depth=2
	s_or_saveexec_b64 s[18:19], s[18:19]
	v_mov_b32_e32 v49, 0x78
	v_mov_b32_e32 v27, v54
	s_xor_b64 exec, exec, s[18:19]
; %bb.2994:                             ;   in Loop: Header=BB4_2190 Depth=2
	v_bfe_u32 v5, v10, 23, 1
; %bb.2995:                             ;   in Loop: Header=BB4_2190 Depth=2
	s_or_b64 exec, exec, s[18:19]
	v_lshrrev_b64 v[10:11], 20, v[10:11]
	v_cmp_gt_i32_e32 vcc, 16, v5
	v_cndmask_b32_e32 v11, 0, v11, vcc
	v_cndmask_b32_e32 v10, 7, v10, vcc
	v_cmp_eq_u32_e32 vcc, 0, v5
	v_min_i32_e32 v5, 15, v5
	v_cmp_eq_u64_e64 s[18:19], 0, v[10:11]
	v_lshlrev_b32_e32 v5, 3, v5
	v_and_b32_e32 v5, 0xf8, v5
	v_and_or_b32 v5, v10, 7, v5
	s_and_b64 s[18:19], vcc, s[18:19]
	v_cndmask_b32_e64 v5, v5, 0, s[18:19]
	v_or_b32_e32 v54, v5, v4
.LBB4_2996:                             ;   in Loop: Header=BB4_2190 Depth=2
	s_or_b64 exec, exec, s[88:89]
                                        ; implicit-def: $vgpr4
.LBB4_2997:                             ;   in Loop: Header=BB4_2190 Depth=2
	s_andn2_saveexec_b64 s[18:19], s[78:79]
; %bb.2998:                             ;   in Loop: Header=BB4_2190 Depth=2
	v_or_b32_e32 v54, 0x7e, v4
; %bb.2999:                             ;   in Loop: Header=BB4_2190 Depth=2
	s_or_b64 exec, exec, s[18:19]
                                        ; implicit-def: $vgpr5
.LBB4_3000:                             ;   in Loop: Header=BB4_2190 Depth=2
	s_andn2_saveexec_b64 s[18:19], s[76:77]
; %bb.3001:                             ;   in Loop: Header=BB4_2190 Depth=2
	v_or_b32_sdwa v54, v5, s50 dst_sel:DWORD dst_unused:UNUSED_PAD src0_sel:BYTE_3 src1_sel:DWORD
; %bb.3002:                             ;   in Loop: Header=BB4_2190 Depth=2
	s_or_b64 exec, exec, s[18:19]
	v_lshrrev_b16_e32 v10, 8, v50
	v_cmp_ne_u16_e32 vcc, 0, v10
	v_mov_b32_e32 v4, 0
	v_mov_b32_e32 v5, 0
	s_and_saveexec_b64 s[18:19], vcc
	s_cbranch_execz .LBB4_3008
; %bb.3003:                             ;   in Loop: Header=BB4_2190 Depth=2
	v_cmp_ne_u16_e32 vcc, s49, v10
	v_bfrev_b32_e32 v5, 1
	s_and_saveexec_b64 s[76:77], vcc
	s_cbranch_execz .LBB4_3007
; %bb.3004:                             ;   in Loop: Header=BB4_2190 Depth=2
	v_and_b32_e32 v11, 0x7f, v10
	v_cmp_ne_u32_e32 vcc, s50, v11
	v_mov_b32_e32 v5, 0x7f800001
	s_and_saveexec_b64 s[78:79], vcc
	s_cbranch_execz .LBB4_3006
; %bb.3005:                             ;   in Loop: Header=BB4_2190 Depth=2
	v_and_b32_e32 v5, 7, v10
	v_lshrrev_b32_e32 v14, 3, v11
	v_cmp_gt_u32_e32 vcc, 8, v11
	v_ffbh_u32_e32 v11, v5
	v_min_u32_e32 v15, 32, v11
	v_subrev_u32_e32 v11, 28, v15
	v_lshlrev_b64 v[10:11], v11, v[10:11]
	v_sub_u32_e32 v11, 29, v15
	v_and_b32_e32 v10, 7, v10
	v_cndmask_b32_e32 v11, v14, v11, vcc
	v_cndmask_b32_e32 v5, v5, v10, vcc
	v_lshlrev_b32_e32 v10, 16, v50
	v_lshlrev_b32_e32 v5, 20, v5
	v_and_b32_e32 v10, 0x80000000, v10
	v_lshl_add_u32 v11, v11, 23, v62
	v_or3_b32 v5, v10, v11, v5
.LBB4_3006:                             ;   in Loop: Header=BB4_2190 Depth=2
	s_or_b64 exec, exec, s[78:79]
.LBB4_3007:                             ;   in Loop: Header=BB4_2190 Depth=2
	s_or_b64 exec, exec, s[76:77]
.LBB4_3008:                             ;   in Loop: Header=BB4_2190 Depth=2
	s_or_b64 exec, exec, s[18:19]
	v_lshrrev_b16_e32 v10, 8, v13
	v_cmp_ne_u16_e32 vcc, 0, v10
	s_and_saveexec_b64 s[18:19], vcc
	s_cbranch_execz .LBB4_3014
; %bb.3009:                             ;   in Loop: Header=BB4_2190 Depth=2
	v_cmp_ne_u16_e32 vcc, s49, v10
	v_bfrev_b32_e32 v4, 1
	s_and_saveexec_b64 s[76:77], vcc
	s_cbranch_execz .LBB4_3013
; %bb.3010:                             ;   in Loop: Header=BB4_2190 Depth=2
	v_and_b32_e32 v11, 0x7f, v10
	v_cmp_ne_u32_e32 vcc, s50, v11
	v_mov_b32_e32 v4, 0x7f800001
	s_and_saveexec_b64 s[78:79], vcc
	s_cbranch_execz .LBB4_3012
; %bb.3011:                             ;   in Loop: Header=BB4_2190 Depth=2
	v_and_b32_e32 v4, 7, v10
	v_lshrrev_b32_e32 v14, 3, v11
	v_cmp_gt_u32_e32 vcc, 8, v11
	v_ffbh_u32_e32 v11, v4
	v_min_u32_e32 v15, 32, v11
	v_subrev_u32_e32 v11, 28, v15
	v_lshlrev_b64 v[10:11], v11, v[10:11]
	v_sub_u32_e32 v11, 29, v15
	v_and_b32_e32 v10, 7, v10
	v_cndmask_b32_e32 v11, v14, v11, vcc
	v_cndmask_b32_e32 v4, v4, v10, vcc
	v_lshlrev_b32_e32 v10, 16, v13
	v_lshlrev_b32_e32 v4, 20, v4
	v_and_b32_e32 v10, 0x80000000, v10
	v_lshl_add_u32 v11, v11, 23, v62
	v_or3_b32 v4, v10, v11, v4
.LBB4_3012:                             ;   in Loop: Header=BB4_2190 Depth=2
	s_or_b64 exec, exec, s[78:79]
.LBB4_3013:                             ;   in Loop: Header=BB4_2190 Depth=2
	s_or_b64 exec, exec, s[76:77]
.LBB4_3014:                             ;   in Loop: Header=BB4_2190 Depth=2
	s_or_b64 exec, exec, s[18:19]
	v_add_f32_e32 v5, v5, v4
	v_and_b32_e32 v50, 0x7f800000, v5
	v_cmp_ne_u64_e32 vcc, s[46:47], v[50:51]
                                        ; implicit-def: $vgpr26
	s_and_saveexec_b64 s[18:19], vcc
	s_xor_b64 s[76:77], exec, s[18:19]
	s_cbranch_execz .LBB4_3028
; %bb.3015:                             ;   in Loop: Header=BB4_2190 Depth=2
	v_and_b32_e32 v50, 0x7fffffff, v5
	v_cmp_gt_u64_e32 vcc, s[56:57], v[50:51]
	v_and_b32_sdwa v4, v5, s49 dst_sel:DWORD dst_unused:UNUSED_PAD src0_sel:BYTE_3 src1_sel:DWORD
                                        ; implicit-def: $vgpr26
	s_and_saveexec_b64 s[18:19], vcc
	s_xor_b64 s[78:79], exec, s[18:19]
	s_cbranch_execz .LBB4_3025
; %bb.3016:                             ;   in Loop: Header=BB4_2190 Depth=2
	v_mov_b32_e32 v26, 0
	v_cmp_ne_u32_e32 vcc, 0, v5
	s_and_saveexec_b64 s[88:89], vcc
	s_cbranch_execz .LBB4_3024
; %bb.3017:                             ;   in Loop: Header=BB4_2190 Depth=2
	v_and_b32_e32 v10, 0x7fffff, v5
	v_bfe_u32 v5, v5, 23, 8
	v_cmp_gt_u32_e64 s[18:19], s51, v5
	v_sub_u32_e32 v11, 0x79, v5
	v_cmp_eq_u32_e32 vcc, 0, v5
	v_cndmask_b32_e64 v11, 0, v11, s[18:19]
	v_or_b32_e32 v14, 0x800000, v10
	v_cndmask_b32_e32 v26, v11, v49, vcc
	v_cndmask_b32_e32 v50, v14, v10, vcc
	v_add_u32_e32 v10, 20, v26
	v_lshlrev_b64 v[10:11], v10, -1
	v_add_u32_e32 v14, 19, v26
	v_lshlrev_b64 v[14:15], v14, 1
	v_bfi_b32 v11, v11, 0, 0
	v_bfi_b32 v10, v10, 0, v50
	v_cmp_eq_u64_e64 s[18:19], v[10:11], v[14:15]
	v_lshrrev_b64 v[10:11], v26, v[50:51]
	v_mov_b32_e32 v15, v11
	v_mov_b32_e32 v14, v10
	s_and_saveexec_b64 s[90:91], s[18:19]
; %bb.3018:                             ;   in Loop: Header=BB4_2190 Depth=2
	v_bfe_u32 v11, v10, 20, 1
	v_add_co_u32_e64 v11, s[18:19], v10, v11
	v_add_co_u32_e64 v14, s[18:19], -1, v11
; %bb.3019:                             ;   in Loop: Header=BB4_2190 Depth=2
	s_or_b64 exec, exec, s[90:91]
	v_add_u32_e32 v5, 0xffffff81, v5
	v_mov_b32_e32 v11, 0xffffff82
	v_cndmask_b32_e32 v5, v5, v11, vcc
	v_lshrrev_b32_e32 v11, 23, v10
	v_add3_u32 v26, v26, v5, v11
	v_add_u32_e32 v15, 6, v26
	v_and_b32_e32 v5, 0xfffff, v14
	v_add_u32_e32 v50, v5, v10
	v_cmp_ne_u32_e32 vcc, 0, v15
                                        ; implicit-def: $vgpr10_vgpr11
                                        ; implicit-def: $vgpr5
	s_and_saveexec_b64 s[18:19], vcc
	s_xor_b64 s[18:19], exec, s[18:19]
; %bb.3020:                             ;   in Loop: Header=BB4_2190 Depth=2
	v_cmp_lt_u64_e32 vcc, s[58:59], v[50:51]
	v_add_u32_e32 v5, 7, v26
	v_cndmask_b32_e64 v10, 0, 1, vcc
	v_lshrrev_b64 v[10:11], v10, v[50:51]
	v_cndmask_b32_e32 v5, v15, v5, vcc
; %bb.3021:                             ;   in Loop: Header=BB4_2190 Depth=2
	s_andn2_saveexec_b64 s[18:19], s[18:19]
; %bb.3022:                             ;   in Loop: Header=BB4_2190 Depth=2
	v_mov_b32_e32 v10, v50
	v_bfe_u32 v5, v50, 23, 1
	v_mov_b32_e32 v11, v51
; %bb.3023:                             ;   in Loop: Header=BB4_2190 Depth=2
	s_or_b64 exec, exec, s[18:19]
	v_lshrrev_b64 v[10:11], 20, v[10:11]
	v_cmp_gt_i32_e32 vcc, 16, v5
	v_cndmask_b32_e32 v11, 0, v11, vcc
	v_cndmask_b32_e32 v10, 7, v10, vcc
	v_cmp_eq_u32_e32 vcc, 0, v5
	v_min_i32_e32 v5, 15, v5
	v_cmp_eq_u64_e64 s[18:19], 0, v[10:11]
	v_lshlrev_b32_e32 v5, 3, v5
	v_and_b32_e32 v5, 0xf8, v5
	v_and_or_b32 v5, v10, 7, v5
	s_and_b64 s[18:19], vcc, s[18:19]
	v_cndmask_b32_e64 v5, v5, 0, s[18:19]
	v_or_b32_e32 v26, v5, v4
.LBB4_3024:                             ;   in Loop: Header=BB4_2190 Depth=2
	s_or_b64 exec, exec, s[88:89]
                                        ; implicit-def: $vgpr4
.LBB4_3025:                             ;   in Loop: Header=BB4_2190 Depth=2
	s_andn2_saveexec_b64 s[18:19], s[78:79]
; %bb.3026:                             ;   in Loop: Header=BB4_2190 Depth=2
	v_or_b32_e32 v26, 0x7e, v4
; %bb.3027:                             ;   in Loop: Header=BB4_2190 Depth=2
	s_or_b64 exec, exec, s[18:19]
                                        ; implicit-def: $vgpr5
.LBB4_3028:                             ;   in Loop: Header=BB4_2190 Depth=2
	s_andn2_saveexec_b64 s[18:19], s[76:77]
; %bb.3029:                             ;   in Loop: Header=BB4_2190 Depth=2
	v_or_b32_sdwa v26, v5, s50 dst_sel:DWORD dst_unused:UNUSED_PAD src0_sel:BYTE_3 src1_sel:DWORD
; %bb.3030:                             ;   in Loop: Header=BB4_2190 Depth=2
	s_or_b64 exec, exec, s[18:19]
	v_lshrrev_b32_e32 v10, 16, v17
	v_cmp_ne_u16_sdwa s[76:77], v10, v51 src0_sel:BYTE_0 src1_sel:DWORD
	v_mov_b32_e32 v4, 0
	v_mov_b32_e32 v5, 0
	s_and_saveexec_b64 s[18:19], s[76:77]
	s_cbranch_execz .LBB4_3036
; %bb.3031:                             ;   in Loop: Header=BB4_2190 Depth=2
	v_cmp_ne_u16_sdwa s[78:79], v10, s49 src0_sel:BYTE_0 src1_sel:DWORD
	v_bfrev_b32_e32 v5, 1
	s_and_saveexec_b64 s[76:77], s[78:79]
	s_cbranch_execz .LBB4_3035
; %bb.3032:                             ;   in Loop: Header=BB4_2190 Depth=2
	v_bfe_u32 v11, v17, 16, 7
	v_cmp_ne_u32_e32 vcc, s50, v11
	v_mov_b32_e32 v5, 0x7f800001
	s_and_saveexec_b64 s[78:79], vcc
	s_cbranch_execz .LBB4_3034
; %bb.3033:                             ;   in Loop: Header=BB4_2190 Depth=2
	v_and_b32_e32 v5, 7, v10
	v_mov_b32_e32 v48, v27
	v_lshrrev_b32_e32 v27, 3, v11
	v_cmp_gt_u32_e32 vcc, 8, v11
	v_ffbh_u32_e32 v11, v5
	v_min_u32_e32 v11, 32, v11
	v_subrev_u32_e32 v14, 28, v11
	v_lshlrev_b64 v[14:15], v14, v[10:11]
	v_sub_u32_e32 v11, 29, v11
	v_and_b32_e32 v14, 7, v14
	v_cndmask_b32_e32 v11, v27, v11, vcc
	v_cndmask_b32_e32 v5, v5, v14, vcc
	v_lshlrev_b32_e32 v10, 24, v10
	v_lshlrev_b32_e32 v5, 20, v5
	v_and_b32_e32 v10, 0x80000000, v10
	v_lshl_add_u32 v11, v11, 23, v62
	v_mov_b32_e32 v27, v48
	v_or3_b32 v5, v10, v11, v5
.LBB4_3034:                             ;   in Loop: Header=BB4_2190 Depth=2
	s_or_b64 exec, exec, s[78:79]
.LBB4_3035:                             ;   in Loop: Header=BB4_2190 Depth=2
	s_or_b64 exec, exec, s[76:77]
.LBB4_3036:                             ;   in Loop: Header=BB4_2190 Depth=2
	s_or_b64 exec, exec, s[18:19]
	v_lshrrev_b32_e32 v10, 16, v13
	v_cmp_ne_u16_sdwa s[76:77], v10, v51 src0_sel:BYTE_0 src1_sel:DWORD
	s_and_saveexec_b64 s[18:19], s[76:77]
	s_cbranch_execz .LBB4_3042
; %bb.3037:                             ;   in Loop: Header=BB4_2190 Depth=2
	v_cmp_ne_u16_sdwa s[78:79], v10, s49 src0_sel:BYTE_0 src1_sel:DWORD
	v_bfrev_b32_e32 v4, 1
	s_and_saveexec_b64 s[76:77], s[78:79]
	s_cbranch_execz .LBB4_3041
; %bb.3038:                             ;   in Loop: Header=BB4_2190 Depth=2
	v_bfe_u32 v11, v13, 16, 7
	v_cmp_ne_u32_e32 vcc, s50, v11
	v_mov_b32_e32 v4, 0x7f800001
	s_and_saveexec_b64 s[78:79], vcc
	s_cbranch_execz .LBB4_3040
; %bb.3039:                             ;   in Loop: Header=BB4_2190 Depth=2
	v_and_b32_e32 v4, 7, v10
	v_lshrrev_b32_e32 v14, 3, v11
	v_cmp_gt_u32_e32 vcc, 8, v11
	v_ffbh_u32_e32 v11, v4
	v_min_u32_e32 v15, 32, v11
	v_subrev_u32_e32 v11, 28, v15
	v_lshlrev_b64 v[10:11], v11, v[10:11]
	v_sub_u32_e32 v11, 29, v15
	v_and_b32_e32 v10, 7, v10
	v_cndmask_b32_e32 v11, v14, v11, vcc
	v_cndmask_b32_e32 v4, v4, v10, vcc
	v_lshlrev_b32_e32 v10, 8, v13
	v_lshlrev_b32_e32 v4, 20, v4
	v_and_b32_e32 v10, 0x80000000, v10
	v_lshl_add_u32 v11, v11, 23, v62
	v_or3_b32 v4, v10, v11, v4
.LBB4_3040:                             ;   in Loop: Header=BB4_2190 Depth=2
	s_or_b64 exec, exec, s[78:79]
.LBB4_3041:                             ;   in Loop: Header=BB4_2190 Depth=2
	s_or_b64 exec, exec, s[76:77]
.LBB4_3042:                             ;   in Loop: Header=BB4_2190 Depth=2
	s_or_b64 exec, exec, s[18:19]
	v_add_f32_e32 v10, v5, v4
	v_and_b32_e32 v50, 0x7f800000, v10
	v_cmp_ne_u64_e32 vcc, s[46:47], v[50:51]
                                        ; implicit-def: $vgpr4
	s_and_saveexec_b64 s[18:19], vcc
	s_xor_b64 s[76:77], exec, s[18:19]
	s_cbranch_execz .LBB4_3056
; %bb.3043:                             ;   in Loop: Header=BB4_2190 Depth=2
	v_and_b32_e32 v50, 0x7fffffff, v10
	v_cmp_gt_u64_e32 vcc, s[56:57], v[50:51]
	v_and_b32_sdwa v5, v10, s49 dst_sel:DWORD dst_unused:UNUSED_PAD src0_sel:BYTE_3 src1_sel:DWORD
                                        ; implicit-def: $vgpr4
	s_and_saveexec_b64 s[18:19], vcc
	s_xor_b64 s[78:79], exec, s[18:19]
	s_cbranch_execz .LBB4_3053
; %bb.3044:                             ;   in Loop: Header=BB4_2190 Depth=2
	v_mov_b32_e32 v4, 0
	v_cmp_ne_u32_e32 vcc, 0, v10
	s_and_saveexec_b64 s[88:89], vcc
	s_cbranch_execz .LBB4_3052
; %bb.3045:                             ;   in Loop: Header=BB4_2190 Depth=2
	v_bfe_u32 v4, v10, 23, 8
	v_and_b32_e32 v11, 0x7fffff, v10
	v_cmp_gt_u32_e64 s[18:19], s51, v4
	v_sub_u32_e32 v10, 0x79, v4
	v_cmp_eq_u32_e32 vcc, 0, v4
	v_cndmask_b32_e64 v10, 0, v10, s[18:19]
	v_cndmask_b32_e32 v48, v10, v49, vcc
	v_or_b32_e32 v14, 0x800000, v11
	v_add_u32_e32 v10, 20, v48
	v_cndmask_b32_e32 v50, v14, v11, vcc
	v_lshlrev_b64 v[10:11], v10, -1
	v_add_u32_e32 v14, 19, v48
	v_lshlrev_b64 v[14:15], v14, 1
	v_bfi_b32 v11, v11, 0, 0
	v_bfi_b32 v10, v10, 0, v50
	v_cmp_eq_u64_e64 s[18:19], v[10:11], v[14:15]
	v_lshrrev_b64 v[10:11], v48, v[50:51]
	v_mov_b32_e32 v15, v11
	v_mov_b32_e32 v14, v10
	s_and_saveexec_b64 s[90:91], s[18:19]
; %bb.3046:                             ;   in Loop: Header=BB4_2190 Depth=2
	v_bfe_u32 v11, v10, 20, 1
	v_add_co_u32_e64 v11, s[18:19], v10, v11
	v_add_co_u32_e64 v14, s[18:19], -1, v11
; %bb.3047:                             ;   in Loop: Header=BB4_2190 Depth=2
	s_or_b64 exec, exec, s[90:91]
	v_add_u32_e32 v4, 0xffffff81, v4
	v_mov_b32_e32 v11, 0xffffff82
	v_cndmask_b32_e32 v4, v4, v11, vcc
	v_lshrrev_b32_e32 v11, 23, v10
	v_add3_u32 v48, v48, v4, v11
	v_add_u32_e32 v15, 6, v48
	v_and_b32_e32 v4, 0xfffff, v14
	v_add_u32_e32 v50, v4, v10
	v_cmp_ne_u32_e32 vcc, 0, v15
                                        ; implicit-def: $vgpr10_vgpr11
                                        ; implicit-def: $vgpr4
	s_and_saveexec_b64 s[18:19], vcc
	s_xor_b64 s[18:19], exec, s[18:19]
; %bb.3048:                             ;   in Loop: Header=BB4_2190 Depth=2
	v_cmp_lt_u64_e32 vcc, s[58:59], v[50:51]
	v_add_u32_e32 v4, 7, v48
	v_cndmask_b32_e64 v10, 0, 1, vcc
	v_lshrrev_b64 v[10:11], v10, v[50:51]
	v_cndmask_b32_e32 v4, v15, v4, vcc
; %bb.3049:                             ;   in Loop: Header=BB4_2190 Depth=2
	s_andn2_saveexec_b64 s[18:19], s[18:19]
; %bb.3050:                             ;   in Loop: Header=BB4_2190 Depth=2
	v_mov_b32_e32 v10, v50
	v_bfe_u32 v4, v50, 23, 1
	v_mov_b32_e32 v11, v51
; %bb.3051:                             ;   in Loop: Header=BB4_2190 Depth=2
	s_or_b64 exec, exec, s[18:19]
	v_lshrrev_b64 v[10:11], 20, v[10:11]
	v_cmp_gt_i32_e32 vcc, 16, v4
	v_cndmask_b32_e32 v11, 0, v11, vcc
	v_cndmask_b32_e32 v10, 7, v10, vcc
	v_cmp_eq_u32_e32 vcc, 0, v4
	v_min_i32_e32 v4, 15, v4
	v_cmp_eq_u64_e64 s[18:19], 0, v[10:11]
	v_lshlrev_b32_e32 v4, 3, v4
	v_and_b32_e32 v4, 0xf8, v4
	v_and_or_b32 v4, v10, 7, v4
	s_and_b64 s[18:19], vcc, s[18:19]
	v_cndmask_b32_e64 v4, v4, 0, s[18:19]
	v_or_b32_e32 v4, v4, v5
.LBB4_3052:                             ;   in Loop: Header=BB4_2190 Depth=2
	s_or_b64 exec, exec, s[88:89]
                                        ; implicit-def: $vgpr5
.LBB4_3053:                             ;   in Loop: Header=BB4_2190 Depth=2
	s_andn2_saveexec_b64 s[18:19], s[78:79]
; %bb.3054:                             ;   in Loop: Header=BB4_2190 Depth=2
	v_or_b32_e32 v4, 0x7e, v5
; %bb.3055:                             ;   in Loop: Header=BB4_2190 Depth=2
	s_or_b64 exec, exec, s[18:19]
                                        ; implicit-def: $vgpr10
.LBB4_3056:                             ;   in Loop: Header=BB4_2190 Depth=2
	s_andn2_saveexec_b64 s[18:19], s[76:77]
; %bb.3057:                             ;   in Loop: Header=BB4_2190 Depth=2
	v_or_b32_sdwa v4, v10, s50 dst_sel:DWORD dst_unused:UNUSED_PAD src0_sel:BYTE_3 src1_sel:DWORD
; %bb.3058:                             ;   in Loop: Header=BB4_2190 Depth=2
	s_or_b64 exec, exec, s[18:19]
	v_cmp_lt_u64_e32 vcc, s[60:61], v[16:17]
	v_mov_b32_e32 v5, 0
	v_mov_b32_e32 v11, 0
	s_and_saveexec_b64 s[18:19], vcc
	s_cbranch_execz .LBB4_3064
; %bb.3059:                             ;   in Loop: Header=BB4_2190 Depth=2
	v_lshrrev_b32_e32 v10, 24, v17
	v_cmp_ne_u32_e32 vcc, s49, v10
	v_bfrev_b32_e32 v11, 1
	s_and_saveexec_b64 s[76:77], vcc
	s_cbranch_execz .LBB4_3063
; %bb.3060:                             ;   in Loop: Header=BB4_2190 Depth=2
	v_bfe_u32 v14, v17, 24, 7
	v_cmp_ne_u32_e32 vcc, s50, v14
	v_mov_b32_e32 v11, 0x7f800001
	s_and_saveexec_b64 s[78:79], vcc
	s_cbranch_execz .LBB4_3062
; %bb.3061:                             ;   in Loop: Header=BB4_2190 Depth=2
	v_and_b32_e32 v11, 7, v10
	v_lshrrev_b32_e32 v16, 3, v14
	v_cmp_gt_u32_e32 vcc, 8, v14
	v_ffbh_u32_e32 v14, v11
	v_min_u32_e32 v17, 32, v14
	v_subrev_u32_e32 v14, 28, v17
	v_lshlrev_b64 v[14:15], v14, v[10:11]
	v_sub_u32_e32 v15, 29, v17
	v_and_b32_e32 v14, 7, v14
	v_cndmask_b32_e32 v15, v16, v15, vcc
	v_cndmask_b32_e32 v11, v11, v14, vcc
	v_lshlrev_b32_e32 v10, 24, v10
	v_lshlrev_b32_e32 v11, 20, v11
	v_and_b32_e32 v10, 0x80000000, v10
	v_lshl_add_u32 v14, v15, 23, v62
	v_or3_b32 v11, v10, v14, v11
.LBB4_3062:                             ;   in Loop: Header=BB4_2190 Depth=2
	s_or_b64 exec, exec, s[78:79]
.LBB4_3063:                             ;   in Loop: Header=BB4_2190 Depth=2
	s_or_b64 exec, exec, s[76:77]
.LBB4_3064:                             ;   in Loop: Header=BB4_2190 Depth=2
	s_or_b64 exec, exec, s[18:19]
	v_cmp_lt_u64_e32 vcc, s[60:61], v[12:13]
	s_and_saveexec_b64 s[18:19], vcc
	s_cbranch_execz .LBB4_3070
; %bb.3065:                             ;   in Loop: Header=BB4_2190 Depth=2
	v_lshrrev_b32_e32 v10, 24, v13
	v_cmp_ne_u32_e32 vcc, s49, v10
	v_bfrev_b32_e32 v5, 1
	s_and_saveexec_b64 s[76:77], vcc
	s_cbranch_execz .LBB4_3069
; %bb.3066:                             ;   in Loop: Header=BB4_2190 Depth=2
	v_bfe_u32 v12, v13, 24, 7
	v_cmp_ne_u32_e32 vcc, s50, v12
	v_mov_b32_e32 v5, 0x7f800001
	s_and_saveexec_b64 s[78:79], vcc
	s_cbranch_execz .LBB4_3068
; %bb.3067:                             ;   in Loop: Header=BB4_2190 Depth=2
	v_and_b32_e32 v5, 7, v10
	v_lshrrev_b32_e32 v14, 3, v12
	v_cmp_gt_u32_e32 vcc, 8, v12
	v_ffbh_u32_e32 v12, v5
	v_min_u32_e32 v15, 32, v12
	v_subrev_u32_e32 v12, 28, v15
	v_lshlrev_b64 v[12:13], v12, v[10:11]
	v_sub_u32_e32 v13, 29, v15
	v_and_b32_e32 v12, 7, v12
	v_cndmask_b32_e32 v13, v14, v13, vcc
	v_cndmask_b32_e32 v5, v5, v12, vcc
	v_lshlrev_b32_e32 v10, 24, v10
	v_lshlrev_b32_e32 v5, 20, v5
	v_and_b32_e32 v10, 0x80000000, v10
	v_lshl_add_u32 v12, v13, 23, v62
	v_or3_b32 v5, v10, v12, v5
.LBB4_3068:                             ;   in Loop: Header=BB4_2190 Depth=2
	s_or_b64 exec, exec, s[78:79]
.LBB4_3069:                             ;   in Loop: Header=BB4_2190 Depth=2
	s_or_b64 exec, exec, s[76:77]
.LBB4_3070:                             ;   in Loop: Header=BB4_2190 Depth=2
	s_or_b64 exec, exec, s[18:19]
	v_add_f32_e32 v11, v11, v5
	v_and_b32_e32 v50, 0x7f800000, v11
	v_cmp_ne_u64_e32 vcc, s[46:47], v[50:51]
                                        ; implicit-def: $vgpr10
	s_and_saveexec_b64 s[18:19], vcc
	s_xor_b64 s[76:77], exec, s[18:19]
	s_cbranch_execz .LBB4_3084
; %bb.3071:                             ;   in Loop: Header=BB4_2190 Depth=2
	v_and_b32_e32 v50, 0x7fffffff, v11
	v_cmp_gt_u64_e32 vcc, s[56:57], v[50:51]
	v_and_b32_sdwa v5, v11, s49 dst_sel:DWORD dst_unused:UNUSED_PAD src0_sel:BYTE_3 src1_sel:DWORD
                                        ; implicit-def: $vgpr10
	s_and_saveexec_b64 s[18:19], vcc
	s_xor_b64 s[78:79], exec, s[18:19]
	s_cbranch_execz .LBB4_3081
; %bb.3072:                             ;   in Loop: Header=BB4_2190 Depth=2
	v_mov_b32_e32 v10, 0
	v_cmp_ne_u32_e32 vcc, 0, v11
	s_and_saveexec_b64 s[88:89], vcc
	s_cbranch_execz .LBB4_3080
; %bb.3073:                             ;   in Loop: Header=BB4_2190 Depth=2
	v_bfe_u32 v13, v11, 23, 8
	v_and_b32_e32 v10, 0x7fffff, v11
	v_cmp_gt_u32_e64 s[18:19], s51, v13
	v_sub_u32_e32 v11, 0x79, v13
	v_cmp_eq_u32_e32 vcc, 0, v13
	v_cndmask_b32_e64 v11, 0, v11, s[18:19]
	v_or_b32_e32 v12, 0x800000, v10
	v_cndmask_b32_e32 v14, v11, v49, vcc
	v_cndmask_b32_e32 v50, v12, v10, vcc
	v_add_u32_e32 v10, 20, v14
	v_lshlrev_b64 v[10:11], v10, -1
	v_add_u32_e32 v12, 19, v14
	v_lshlrev_b64 v[15:16], v12, 1
	v_bfi_b32 v11, v11, 0, 0
	v_bfi_b32 v10, v10, 0, v50
	v_cmp_eq_u64_e64 s[18:19], v[10:11], v[15:16]
	v_lshrrev_b64 v[10:11], v14, v[50:51]
	v_mov_b32_e32 v12, v11
	v_mov_b32_e32 v11, v10
	s_and_saveexec_b64 s[90:91], s[18:19]
; %bb.3074:                             ;   in Loop: Header=BB4_2190 Depth=2
	v_bfe_u32 v11, v10, 20, 1
	v_add_co_u32_e64 v11, s[18:19], v10, v11
	v_add_co_u32_e64 v11, s[18:19], -1, v11
; %bb.3075:                             ;   in Loop: Header=BB4_2190 Depth=2
	s_or_b64 exec, exec, s[90:91]
	v_add_u32_e32 v12, 0xffffff81, v13
	v_mov_b32_e32 v13, 0xffffff82
	v_cndmask_b32_e32 v12, v12, v13, vcc
	v_lshrrev_b32_e32 v13, 23, v10
	v_add3_u32 v14, v14, v12, v13
	v_add_u32_e32 v13, 6, v14
	v_and_b32_e32 v11, 0xfffff, v11
	v_add_u32_e32 v50, v11, v10
	v_cmp_ne_u32_e32 vcc, 0, v13
                                        ; implicit-def: $vgpr10_vgpr11
                                        ; implicit-def: $vgpr12
	s_and_saveexec_b64 s[18:19], vcc
	s_xor_b64 s[18:19], exec, s[18:19]
; %bb.3076:                             ;   in Loop: Header=BB4_2190 Depth=2
	v_cmp_lt_u64_e32 vcc, s[58:59], v[50:51]
	v_add_u32_e32 v10, 7, v14
	v_cndmask_b32_e32 v12, v13, v10, vcc
	v_cndmask_b32_e64 v10, 0, 1, vcc
	v_lshrrev_b64 v[10:11], v10, v[50:51]
; %bb.3077:                             ;   in Loop: Header=BB4_2190 Depth=2
	s_andn2_saveexec_b64 s[18:19], s[18:19]
; %bb.3078:                             ;   in Loop: Header=BB4_2190 Depth=2
	v_mov_b32_e32 v10, v50
	v_bfe_u32 v12, v50, 23, 1
	v_mov_b32_e32 v11, v51
; %bb.3079:                             ;   in Loop: Header=BB4_2190 Depth=2
	s_or_b64 exec, exec, s[18:19]
	v_lshrrev_b64 v[10:11], 20, v[10:11]
	v_cmp_gt_i32_e32 vcc, 16, v12
	v_cndmask_b32_e32 v11, 0, v11, vcc
	v_cndmask_b32_e32 v10, 7, v10, vcc
	v_cmp_eq_u64_e64 s[18:19], 0, v[10:11]
	v_min_i32_e32 v11, 15, v12
	v_lshlrev_b32_e32 v11, 3, v11
	v_cmp_eq_u32_e32 vcc, 0, v12
	v_and_b32_e32 v11, 0xf8, v11
	v_and_or_b32 v10, v10, 7, v11
	s_and_b64 s[18:19], vcc, s[18:19]
	v_cndmask_b32_e64 v10, v10, 0, s[18:19]
	v_or_b32_e32 v10, v10, v5
.LBB4_3080:                             ;   in Loop: Header=BB4_2190 Depth=2
	s_or_b64 exec, exec, s[88:89]
                                        ; implicit-def: $vgpr5
.LBB4_3081:                             ;   in Loop: Header=BB4_2190 Depth=2
	s_andn2_saveexec_b64 s[18:19], s[78:79]
; %bb.3082:                             ;   in Loop: Header=BB4_2190 Depth=2
	v_or_b32_e32 v10, 0x7e, v5
; %bb.3083:                             ;   in Loop: Header=BB4_2190 Depth=2
	s_or_b64 exec, exec, s[18:19]
                                        ; implicit-def: $vgpr11
.LBB4_3084:                             ;   in Loop: Header=BB4_2190 Depth=2
	s_andn2_saveexec_b64 s[18:19], s[76:77]
	s_cbranch_execz .LBB4_2189
; %bb.3085:                             ;   in Loop: Header=BB4_2190 Depth=2
	v_or_b32_sdwa v10, v11, s50 dst_sel:DWORD dst_unused:UNUSED_PAD src0_sel:BYTE_3 src1_sel:DWORD
	s_branch .LBB4_2189
.LBB4_3086:                             ;   in Loop: Header=BB4_2115 Depth=1
	s_or_b64 exec, exec, s[74:75]
	buffer_load_dword v54, off, s[0:3], s33 offset:180 ; 4-byte Folded Reload
	buffer_load_dword v47, off, s[0:3], s33 offset:184 ; 4-byte Folded Reload
	;; [unrolled: 1-line block ×4, first 2 shown]
	v_mov_b32_e32 v56, 0x7f800001
.LBB4_3087:                             ;   in Loop: Header=BB4_2115 Depth=1
	s_or_b64 exec, exec, s[20:21]
	buffer_load_dword v0, off, s[0:3], s33 offset:140 ; 4-byte Folded Reload
	s_mov_b64 s[18:19], 0
	v_mov_b32_e32 v5, 0
                                        ; implicit-def: $vgpr20
                                        ; implicit-def: $vgpr1
	s_waitcnt vmcnt(0)
	v_and_b32_e32 v2, 0x3ffff800, v0
	v_cmp_ne_u32_e32 vcc, v0, v2
                                        ; implicit-def: $vgpr0
	s_and_saveexec_b64 s[74:75], vcc
	s_cbranch_execz .LBB4_3543
; %bb.3088:                             ;   in Loop: Header=BB4_2115 Depth=1
	buffer_load_dword v10, off, s[0:3], s33 offset:140 ; 4-byte Folded Reload
	buffer_load_dword v4, off, s[0:3], s33 offset:212 ; 4-byte Folded Reload
	v_lshlrev_b32_e32 v1, 6, v40
	s_waitcnt vmcnt(1)
	v_and_b32_e32 v0, 0x7ff, v10
	s_waitcnt vmcnt(0)
	v_sub_u32_e32 v1, v4, v1
	v_ashrrev_i32_e32 v4, 31, v1
	v_lshrrev_b32_e32 v4, 26, v4
	v_add_u32_e32 v4, v1, v4
	v_ashrrev_i32_e32 v5, 6, v4
	v_and_b32_e32 v4, 0xffffffc0, v4
	v_sub_u32_e32 v26, v1, v4
	v_lshlrev_b32_e32 v1, 4, v26
	v_lshl_add_u32 v1, v5, 10, v1
	v_sub_u32_e32 v30, v0, v1
	v_and_b32_e32 v0, 0x3ff, v10
	v_bfe_u32 v4, v10, 10, 1
	v_cmp_lt_u32_e32 vcc, 15, v0
	v_addc_co_u32_e64 v4, s[18:19], 0, v4, vcc
	v_sub_u32_e32 v27, v4, v5
	v_cmp_lt_i32_e64 s[18:19], 15, v30
	s_and_saveexec_b64 s[76:77], s[18:19]
	s_cbranch_execz .LBB4_3540
; %bb.3089:                             ;   in Loop: Header=BB4_2115 Depth=1
	v_add_u32_e32 v4, v1, v2
	s_trap 2
	ds_read_b64 v[1:2], v0
	v_mov_b32_e32 v10, v57
	v_ashrrev_i32_e32 v5, 31, v4
	v_mov_b32_e32 v11, v58
	v_add_co_u32_e64 v18, s[18:19], v4, v10
	v_addc_co_u32_e64 v19, s[18:19], v5, v11, s[18:19]
	s_waitcnt lgkmcnt(0)
	v_add_co_u32_e64 v20, s[18:19], v1, v4
	v_addc_co_u32_e64 v21, s[18:19], v2, v5, s[18:19]
	buffer_load_dword v1, off, s[0:3], s33 offset:164 ; 4-byte Folded Reload
	buffer_load_dword v2, off, s[0:3], s33 offset:168 ; 4-byte Folded Reload
	s_mov_b64 s[78:79], 0
	s_waitcnt vmcnt(1)
	v_add_co_u32_e64 v22, s[18:19], v4, v1
	s_waitcnt vmcnt(0)
	v_addc_co_u32_e64 v23, s[18:19], v5, v2, s[18:19]
	s_branch .LBB4_3091
.LBB4_3090:                             ;   in Loop: Header=BB4_3091 Depth=2
	s_or_b64 exec, exec, s[18:19]
	v_lshl_or_b32 v1, v1, 8, v28
	v_lshlrev_b32_e32 v11, 16, v40
	v_lshlrev_b32_e32 v12, 24, v41
	v_or3_b32 v12, v1, v11, v12
	v_lshl_or_b32 v1, v34, 8, v31
	v_lshlrev_b32_e32 v11, 16, v35
	v_lshlrev_b32_e32 v13, 24, v55
	v_or3_b32 v11, v1, v11, v13
	;; [unrolled: 4-line block ×3, first 2 shown]
	v_lshlrev_b32_e32 v1, 24, v10
	v_lshlrev_b32_e32 v2, 16, v5
	v_lshl_or_b32 v4, v4, 8, v24
	v_or3_b32 v14, v4, v2, v1
	buffer_load_dword v1, off, s[0:3], s33 offset:88 ; 4-byte Folded Reload
	s_waitcnt vmcnt(0)
	v_add_co_u32_e64 v18, s[18:19], v18, v1
	v_addc_co_u32_e64 v19, s[18:19], 0, v19, s[18:19]
	v_add_co_u32_e64 v20, s[18:19], v20, v1
	v_addc_co_u32_e64 v21, s[18:19], 0, v21, s[18:19]
	global_store_dwordx4 v[22:23], v[11:14], off glc slc
	v_add_co_u32_e64 v22, s[18:19], v22, v1
	v_sub_u32_e32 v30, v30, v1
	buffer_load_dword v1, off, s[0:3], s33 offset:68 ; 4-byte Folded Reload
	v_addc_co_u32_e64 v23, s[18:19], 0, v23, s[18:19]
	v_cmp_gt_i32_e64 s[18:19], 16, v30
	s_or_b64 s[78:79], s[18:19], s[78:79]
	s_waitcnt vmcnt(0)
	v_sub_u32_e32 v27, v27, v1
	s_andn2_b64 exec, exec, s[78:79]
	s_cbranch_execz .LBB4_3539
.LBB4_3091:                             ;   Parent Loop BB4_2115 Depth=1
                                        ; =>  This Inner Loop Header: Depth=2
	global_load_dwordx4 v[14:17], v[18:19], off glc slc
	global_load_dwordx4 v[10:13], v[20:21], off glc slc
	v_mov_b32_e32 v1, 0
	s_waitcnt vmcnt(1)
	v_cmp_ne_u16_sdwa s[18:19], v14, v51 src0_sel:BYTE_0 src1_sel:DWORD
	s_and_saveexec_b64 s[20:21], s[18:19]
	s_cbranch_execz .LBB4_3097
; %bb.3092:                             ;   in Loop: Header=BB4_3091 Depth=2
	v_cmp_ne_u16_sdwa s[18:19], v14, s49 src0_sel:BYTE_0 src1_sel:DWORD
	v_bfrev_b32_e32 v1, 1
	s_and_saveexec_b64 s[88:89], s[18:19]
	s_cbranch_execz .LBB4_3096
; %bb.3093:                             ;   in Loop: Header=BB4_3091 Depth=2
	v_and_b32_e32 v2, 0x7f, v14
	v_cmp_ne_u32_e64 s[18:19], s50, v2
	v_mov_b32_e32 v1, 0x7f800001
	s_and_saveexec_b64 s[90:91], s[18:19]
	s_cbranch_execz .LBB4_3095
; %bb.3094:                             ;   in Loop: Header=BB4_3091 Depth=2
	v_and_b32_e32 v1, 7, v14
	v_ffbh_u32_e32 v1, v1
	v_min_u32_e32 v1, 32, v1
	v_lshrrev_b32_e32 v4, 3, v2
	v_cmp_gt_u32_e64 s[18:19], 8, v2
	v_subrev_u32_e32 v2, 28, v1
	v_sub_u32_e32 v1, 29, v1
	v_cndmask_b32_e64 v4, v4, v1, s[18:19]
	v_cndmask_b32_e64 v1, 0, v2, s[18:19]
	v_lshlrev_b64 v[1:2], v1, v[14:15]
	v_lshlrev_b32_e32 v2, 24, v14
	v_lshlrev_b32_e32 v1, 20, v1
	v_and_b32_e32 v1, 0x700000, v1
	v_and_b32_e32 v2, 0x80000000, v2
	v_lshl_add_u32 v4, v4, 23, v62
	v_or3_b32 v1, v2, v4, v1
.LBB4_3095:                             ;   in Loop: Header=BB4_3091 Depth=2
	s_or_b64 exec, exec, s[90:91]
.LBB4_3096:                             ;   in Loop: Header=BB4_3091 Depth=2
	s_or_b64 exec, exec, s[88:89]
.LBB4_3097:                             ;   in Loop: Header=BB4_3091 Depth=2
	s_or_b64 exec, exec, s[20:21]
	s_waitcnt vmcnt(0)
	v_cmp_gt_i16_sdwa s[20:21], v10, s50 src0_sel:BYTE_0 src1_sel:DWORD
	s_mov_b64 s[18:19], 0
	s_and_saveexec_b64 s[88:89], s[20:21]
	s_xor_b64 s[20:21], exec, s[88:89]
	s_cbranch_execz .LBB4_3519
; %bb.3098:                             ;   in Loop: Header=BB4_3091 Depth=2
	v_cmp_eq_u16_sdwa s[90:91], v10, s49 src0_sel:BYTE_0 src1_sel:DWORD
	s_mov_b64 s[18:19], -1
	s_and_saveexec_b64 s[88:89], s[90:91]
; %bb.3099:                             ;   in Loop: Header=BB4_3091 Depth=2
	s_xor_b64 s[18:19], exec, -1
; %bb.3100:                             ;   in Loop: Header=BB4_3091 Depth=2
	s_or_b64 exec, exec, s[88:89]
	s_and_b64 s[18:19], s[18:19], exec
	s_or_saveexec_b64 s[20:21], s[20:21]
	v_bfrev_b32_e32 v2, 1
	s_xor_b64 exec, exec, s[20:21]
	s_cbranch_execnz .LBB4_3520
.LBB4_3101:                             ;   in Loop: Header=BB4_3091 Depth=2
	s_or_b64 exec, exec, s[20:21]
	s_and_saveexec_b64 s[20:21], s[18:19]
	s_cbranch_execz .LBB4_3103
.LBB4_3102:                             ;   in Loop: Header=BB4_3091 Depth=2
	v_and_b32_e32 v2, 7, v10
	v_ffbh_u32_e32 v2, v2
	v_and_b32_e32 v24, 0x7f, v10
	v_min_u32_e32 v2, 32, v2
	v_bfe_u32 v4, v10, 3, 4
	v_subrev_u32_e32 v5, 28, v2
	v_sub_u32_e32 v2, 29, v2
	v_cmp_gt_u32_e64 s[18:19], 8, v24
	v_cndmask_b32_e64 v2, v4, v2, s[18:19]
	v_cndmask_b32_e64 v4, 0, v5, s[18:19]
	v_lshlrev_b64 v[4:5], v4, v[10:11]
	v_lshlrev_b32_e32 v5, 24, v10
	v_lshlrev_b32_e32 v4, 20, v4
	v_and_b32_e32 v4, 0x700000, v4
	v_and_b32_e32 v5, 0x80000000, v5
	v_lshl_add_u32 v2, v2, 23, v62
	v_or3_b32 v2, v5, v2, v4
	v_cmp_ne_u32_e64 s[18:19], s50, v24
	v_cndmask_b32_e64 v2, v56, v2, s[18:19]
.LBB4_3103:                             ;   in Loop: Header=BB4_3091 Depth=2
	s_or_b64 exec, exec, s[20:21]
	v_add_f32_e32 v2, v1, v2
	v_and_b32_e32 v50, 0x7f800000, v2
	v_cmp_ne_u64_e64 s[18:19], s[46:47], v[50:51]
                                        ; implicit-def: $vgpr31
	s_and_saveexec_b64 s[20:21], s[18:19]
	s_xor_b64 s[88:89], exec, s[20:21]
	s_cbranch_execz .LBB4_3117
; %bb.3104:                             ;   in Loop: Header=BB4_3091 Depth=2
	v_and_b32_e32 v50, 0x7fffffff, v2
	v_cmp_gt_u64_e64 s[18:19], s[56:57], v[50:51]
	v_and_b32_sdwa v1, v2, s49 dst_sel:DWORD dst_unused:UNUSED_PAD src0_sel:BYTE_3 src1_sel:DWORD
                                        ; implicit-def: $vgpr31
	s_and_saveexec_b64 s[20:21], s[18:19]
	s_xor_b64 s[90:91], exec, s[20:21]
	s_cbranch_execz .LBB4_3114
; %bb.3105:                             ;   in Loop: Header=BB4_3091 Depth=2
	v_mov_b32_e32 v31, 0
	v_cmp_ne_u32_e64 s[18:19], 0, v2
	s_and_saveexec_b64 s[92:93], s[18:19]
	s_cbranch_execz .LBB4_3113
; %bb.3106:                             ;   in Loop: Header=BB4_3091 Depth=2
	v_and_b32_e32 v5, 0x7fffff, v2
	v_bfe_u32 v2, v2, 23, 8
	v_cmp_gt_u32_e64 s[20:21], s51, v2
	v_sub_u32_e32 v4, 0x79, v2
	v_cmp_eq_u32_e64 s[18:19], 0, v2
	v_cndmask_b32_e64 v4, 0, v4, s[20:21]
	v_or_b32_e32 v24, 0x800000, v5
	v_cndmask_b32_e64 v4, v4, v49, s[18:19]
	v_cndmask_b32_e64 v50, v24, v5, s[18:19]
	v_add_u32_e32 v5, 20, v4
	v_lshlrev_b64 v[24:25], v5, -1
	v_add_u32_e32 v5, 19, v4
	v_lshlrev_b64 v[28:29], v5, 1
	v_bfi_b32 v25, v25, 0, 0
	v_bfi_b32 v24, v24, 0, v50
	v_cmp_eq_u64_e64 s[20:21], v[24:25], v[28:29]
	v_lshrrev_b64 v[24:25], v4, v[50:51]
	v_mov_b32_e32 v45, v25
	v_mov_b32_e32 v44, v24
	s_and_saveexec_b64 s[94:95], s[20:21]
; %bb.3107:                             ;   in Loop: Header=BB4_3091 Depth=2
	v_bfe_u32 v5, v24, 20, 1
	v_add_co_u32_e64 v5, s[20:21], v24, v5
	v_add_co_u32_e64 v44, s[20:21], -1, v5
; %bb.3108:                             ;   in Loop: Header=BB4_3091 Depth=2
	s_or_b64 exec, exec, s[94:95]
	v_add_u32_e32 v2, 0xffffff81, v2
	v_mov_b32_e32 v5, 0xffffff82
	v_cndmask_b32_e64 v2, v2, v5, s[18:19]
	v_lshrrev_b32_e32 v5, 23, v24
	v_add3_u32 v5, v4, v2, v5
	v_add_u32_e32 v4, 6, v5
	v_and_b32_e32 v2, 0xfffff, v44
	v_add_u32_e32 v50, v2, v24
	v_cmp_ne_u32_e64 s[18:19], 0, v4
                                        ; implicit-def: $vgpr24_vgpr25
                                        ; implicit-def: $vgpr2
	s_and_saveexec_b64 s[20:21], s[18:19]
	s_xor_b64 s[20:21], exec, s[20:21]
; %bb.3109:                             ;   in Loop: Header=BB4_3091 Depth=2
	v_cmp_lt_u64_e64 s[18:19], s[58:59], v[50:51]
	v_add_u32_e32 v2, 7, v5
	v_cndmask_b32_e64 v2, v4, v2, s[18:19]
	v_cndmask_b32_e64 v4, 0, 1, s[18:19]
	v_lshrrev_b64 v[24:25], v4, v[50:51]
; %bb.3110:                             ;   in Loop: Header=BB4_3091 Depth=2
	s_andn2_saveexec_b64 s[18:19], s[20:21]
; %bb.3111:                             ;   in Loop: Header=BB4_3091 Depth=2
	v_mov_b32_e32 v24, v50
	v_bfe_u32 v2, v50, 23, 1
	v_mov_b32_e32 v25, v51
; %bb.3112:                             ;   in Loop: Header=BB4_3091 Depth=2
	s_or_b64 exec, exec, s[18:19]
	v_lshrrev_b64 v[4:5], 20, v[24:25]
	v_cmp_gt_i32_e64 s[18:19], 16, v2
	v_cndmask_b32_e64 v5, 0, v5, s[18:19]
	v_cndmask_b32_e64 v4, 7, v4, s[18:19]
	v_cmp_eq_u32_e64 s[18:19], 0, v2
	v_min_i32_e32 v2, 15, v2
	v_cmp_eq_u64_e64 s[20:21], 0, v[4:5]
	v_lshlrev_b32_e32 v2, 3, v2
	v_and_b32_e32 v2, 0xf8, v2
	v_and_or_b32 v2, v4, 7, v2
	s_and_b64 s[18:19], s[18:19], s[20:21]
	v_cndmask_b32_e64 v2, v2, 0, s[18:19]
	v_or_b32_e32 v31, v2, v1
.LBB4_3113:                             ;   in Loop: Header=BB4_3091 Depth=2
	s_or_b64 exec, exec, s[92:93]
                                        ; implicit-def: $vgpr1
.LBB4_3114:                             ;   in Loop: Header=BB4_3091 Depth=2
	s_andn2_saveexec_b64 s[18:19], s[90:91]
; %bb.3115:                             ;   in Loop: Header=BB4_3091 Depth=2
	v_or_b32_e32 v31, 0x7e, v1
; %bb.3116:                             ;   in Loop: Header=BB4_3091 Depth=2
	s_or_b64 exec, exec, s[18:19]
                                        ; implicit-def: $vgpr2
.LBB4_3117:                             ;   in Loop: Header=BB4_3091 Depth=2
	s_andn2_saveexec_b64 s[18:19], s[88:89]
; %bb.3118:                             ;   in Loop: Header=BB4_3091 Depth=2
	v_or_b32_sdwa v31, v2, s50 dst_sel:DWORD dst_unused:UNUSED_PAD src0_sel:BYTE_3 src1_sel:DWORD
; %bb.3119:                             ;   in Loop: Header=BB4_3091 Depth=2
	s_or_b64 exec, exec, s[18:19]
	v_lshrrev_b16_e32 v24, 8, v14
	v_cmp_ne_u16_e64 s[18:19], 0, v24
	v_mov_b32_e32 v1, 0
	s_and_saveexec_b64 s[20:21], s[18:19]
	s_cbranch_execz .LBB4_3125
; %bb.3120:                             ;   in Loop: Header=BB4_3091 Depth=2
	v_cmp_ne_u16_e64 s[18:19], s49, v24
	v_bfrev_b32_e32 v1, 1
	s_and_saveexec_b64 s[88:89], s[18:19]
	s_cbranch_execz .LBB4_3124
; %bb.3121:                             ;   in Loop: Header=BB4_3091 Depth=2
	v_and_b32_e32 v2, 0x7f, v24
	v_cmp_ne_u32_e64 s[18:19], s50, v2
	v_mov_b32_e32 v1, 0x7f800001
	s_and_saveexec_b64 s[90:91], s[18:19]
	s_cbranch_execz .LBB4_3123
; %bb.3122:                             ;   in Loop: Header=BB4_3091 Depth=2
	v_and_b32_e32 v4, 7, v24
	v_ffbh_u32_e32 v1, v4
	v_min_u32_e32 v25, 32, v1
	v_subrev_u32_e32 v1, 28, v25
	v_lshrrev_b32_e32 v5, 3, v2
	v_cmp_gt_u32_e64 s[18:19], 8, v2
	v_lshlrev_b64 v[1:2], v1, v[24:25]
	v_sub_u32_e32 v2, 29, v25
	v_and_b32_e32 v1, 7, v1
	v_cndmask_b32_e64 v2, v5, v2, s[18:19]
	v_cndmask_b32_e64 v1, v4, v1, s[18:19]
	v_lshlrev_b32_e32 v4, 16, v14
	v_lshlrev_b32_e32 v1, 20, v1
	v_and_b32_e32 v4, 0x80000000, v4
	v_lshl_add_u32 v2, v2, 23, v62
	v_or3_b32 v1, v4, v2, v1
.LBB4_3123:                             ;   in Loop: Header=BB4_3091 Depth=2
	s_or_b64 exec, exec, s[90:91]
.LBB4_3124:                             ;   in Loop: Header=BB4_3091 Depth=2
	s_or_b64 exec, exec, s[88:89]
.LBB4_3125:                             ;   in Loop: Header=BB4_3091 Depth=2
	s_or_b64 exec, exec, s[20:21]
	v_lshrrev_b16_e32 v50, 8, v10
	v_cmp_lt_i16_e64 s[18:19], s50, v50
	s_mov_b64 s[20:21], 0
	s_and_saveexec_b64 s[88:89], s[18:19]
	s_xor_b64 s[88:89], exec, s[88:89]
	s_cbranch_execz .LBB4_3521
; %bb.3126:                             ;   in Loop: Header=BB4_3091 Depth=2
	v_cmp_eq_u16_e64 s[18:19], s49, v50
	s_mov_b64 s[20:21], -1
	s_and_saveexec_b64 s[90:91], s[18:19]
; %bb.3127:                             ;   in Loop: Header=BB4_3091 Depth=2
	s_xor_b64 s[20:21], exec, -1
; %bb.3128:                             ;   in Loop: Header=BB4_3091 Depth=2
	s_or_b64 exec, exec, s[90:91]
	s_and_b64 s[20:21], s[20:21], exec
	s_or_saveexec_b64 s[88:89], s[88:89]
	v_bfrev_b32_e32 v2, 1
	s_xor_b64 exec, exec, s[88:89]
	s_cbranch_execnz .LBB4_3522
.LBB4_3129:                             ;   in Loop: Header=BB4_3091 Depth=2
	s_or_b64 exec, exec, s[88:89]
	s_and_saveexec_b64 s[88:89], s[20:21]
	s_cbranch_execz .LBB4_3131
.LBB4_3130:                             ;   in Loop: Header=BB4_3091 Depth=2
	v_and_b32_e32 v2, 7, v50
	v_ffbh_u32_e32 v4, v2
	v_min_u32_e32 v28, 32, v4
	v_subrev_u32_e32 v4, 28, v28
	v_lshlrev_b64 v[4:5], v4, v[50:51]
	v_and_b32_e32 v24, 0x7f, v50
	v_bfe_u32 v25, v50, 3, 4
	v_sub_u32_e32 v5, 29, v28
	v_and_b32_e32 v4, 7, v4
	v_cmp_gt_u32_e64 s[18:19], 8, v24
	v_cndmask_b32_e64 v5, v25, v5, s[18:19]
	v_cndmask_b32_e64 v2, v2, v4, s[18:19]
	v_lshlrev_b32_e32 v4, 24, v50
	v_lshlrev_b32_e32 v2, 20, v2
	v_and_b32_e32 v4, 0x80000000, v4
	v_lshl_add_u32 v5, v5, 23, v62
	v_or3_b32 v2, v4, v5, v2
	v_cmp_ne_u32_e64 s[18:19], s50, v24
	v_cndmask_b32_e64 v2, v56, v2, s[18:19]
.LBB4_3131:                             ;   in Loop: Header=BB4_3091 Depth=2
	s_or_b64 exec, exec, s[88:89]
	v_add_f32_e32 v2, v1, v2
	v_and_b32_e32 v50, 0x7f800000, v2
	v_cmp_ne_u64_e64 s[18:19], s[46:47], v[50:51]
                                        ; implicit-def: $vgpr34
	s_and_saveexec_b64 s[20:21], s[18:19]
	s_xor_b64 s[88:89], exec, s[20:21]
	s_cbranch_execz .LBB4_3145
; %bb.3132:                             ;   in Loop: Header=BB4_3091 Depth=2
	v_and_b32_e32 v50, 0x7fffffff, v2
	v_cmp_gt_u64_e64 s[18:19], s[56:57], v[50:51]
	v_and_b32_sdwa v1, v2, s49 dst_sel:DWORD dst_unused:UNUSED_PAD src0_sel:BYTE_3 src1_sel:DWORD
                                        ; implicit-def: $vgpr34
	s_and_saveexec_b64 s[20:21], s[18:19]
	s_xor_b64 s[90:91], exec, s[20:21]
	s_cbranch_execz .LBB4_3142
; %bb.3133:                             ;   in Loop: Header=BB4_3091 Depth=2
	v_mov_b32_e32 v34, 0
	v_cmp_ne_u32_e64 s[18:19], 0, v2
	s_and_saveexec_b64 s[92:93], s[18:19]
	s_cbranch_execz .LBB4_3141
; %bb.3134:                             ;   in Loop: Header=BB4_3091 Depth=2
	v_and_b32_e32 v5, 0x7fffff, v2
	v_bfe_u32 v2, v2, 23, 8
	v_cmp_gt_u32_e64 s[20:21], s51, v2
	v_sub_u32_e32 v4, 0x79, v2
	v_cmp_eq_u32_e64 s[18:19], 0, v2
	v_cndmask_b32_e64 v4, 0, v4, s[20:21]
	v_or_b32_e32 v24, 0x800000, v5
	v_cndmask_b32_e64 v4, v4, v49, s[18:19]
	v_cndmask_b32_e64 v50, v24, v5, s[18:19]
	v_add_u32_e32 v5, 20, v4
	v_lshlrev_b64 v[24:25], v5, -1
	v_add_u32_e32 v5, 19, v4
	v_lshlrev_b64 v[28:29], v5, 1
	v_bfi_b32 v25, v25, 0, 0
	v_bfi_b32 v24, v24, 0, v50
	v_cmp_eq_u64_e64 s[20:21], v[24:25], v[28:29]
	v_lshrrev_b64 v[24:25], v4, v[50:51]
	v_mov_b32_e32 v45, v25
	v_mov_b32_e32 v44, v24
	s_and_saveexec_b64 s[94:95], s[20:21]
; %bb.3135:                             ;   in Loop: Header=BB4_3091 Depth=2
	v_bfe_u32 v5, v24, 20, 1
	v_add_co_u32_e64 v5, s[20:21], v24, v5
	v_add_co_u32_e64 v44, s[20:21], -1, v5
; %bb.3136:                             ;   in Loop: Header=BB4_3091 Depth=2
	s_or_b64 exec, exec, s[94:95]
	v_add_u32_e32 v2, 0xffffff81, v2
	v_mov_b32_e32 v5, 0xffffff82
	v_cndmask_b32_e64 v2, v2, v5, s[18:19]
	v_lshrrev_b32_e32 v5, 23, v24
	v_add3_u32 v5, v4, v2, v5
	v_add_u32_e32 v4, 6, v5
	v_and_b32_e32 v2, 0xfffff, v44
	v_add_u32_e32 v50, v2, v24
	v_cmp_ne_u32_e64 s[18:19], 0, v4
                                        ; implicit-def: $vgpr24_vgpr25
                                        ; implicit-def: $vgpr2
	s_and_saveexec_b64 s[20:21], s[18:19]
	s_xor_b64 s[20:21], exec, s[20:21]
; %bb.3137:                             ;   in Loop: Header=BB4_3091 Depth=2
	v_cmp_lt_u64_e64 s[18:19], s[58:59], v[50:51]
	v_add_u32_e32 v2, 7, v5
	v_cndmask_b32_e64 v2, v4, v2, s[18:19]
	v_cndmask_b32_e64 v4, 0, 1, s[18:19]
	v_lshrrev_b64 v[24:25], v4, v[50:51]
; %bb.3138:                             ;   in Loop: Header=BB4_3091 Depth=2
	s_andn2_saveexec_b64 s[18:19], s[20:21]
; %bb.3139:                             ;   in Loop: Header=BB4_3091 Depth=2
	v_mov_b32_e32 v24, v50
	v_bfe_u32 v2, v50, 23, 1
	v_mov_b32_e32 v25, v51
; %bb.3140:                             ;   in Loop: Header=BB4_3091 Depth=2
	s_or_b64 exec, exec, s[18:19]
	v_lshrrev_b64 v[4:5], 20, v[24:25]
	v_cmp_gt_i32_e64 s[18:19], 16, v2
	v_cndmask_b32_e64 v5, 0, v5, s[18:19]
	v_cndmask_b32_e64 v4, 7, v4, s[18:19]
	v_cmp_eq_u32_e64 s[18:19], 0, v2
	v_min_i32_e32 v2, 15, v2
	v_cmp_eq_u64_e64 s[20:21], 0, v[4:5]
	v_lshlrev_b32_e32 v2, 3, v2
	v_and_b32_e32 v2, 0xf8, v2
	v_and_or_b32 v2, v4, 7, v2
	s_and_b64 s[18:19], s[18:19], s[20:21]
	v_cndmask_b32_e64 v2, v2, 0, s[18:19]
	v_or_b32_e32 v34, v2, v1
.LBB4_3141:                             ;   in Loop: Header=BB4_3091 Depth=2
	s_or_b64 exec, exec, s[92:93]
                                        ; implicit-def: $vgpr1
.LBB4_3142:                             ;   in Loop: Header=BB4_3091 Depth=2
	s_andn2_saveexec_b64 s[18:19], s[90:91]
; %bb.3143:                             ;   in Loop: Header=BB4_3091 Depth=2
	v_or_b32_e32 v34, 0x7e, v1
; %bb.3144:                             ;   in Loop: Header=BB4_3091 Depth=2
	s_or_b64 exec, exec, s[18:19]
                                        ; implicit-def: $vgpr2
.LBB4_3145:                             ;   in Loop: Header=BB4_3091 Depth=2
	s_andn2_saveexec_b64 s[18:19], s[88:89]
; %bb.3146:                             ;   in Loop: Header=BB4_3091 Depth=2
	v_or_b32_sdwa v34, v2, s50 dst_sel:DWORD dst_unused:UNUSED_PAD src0_sel:BYTE_3 src1_sel:DWORD
; %bb.3147:                             ;   in Loop: Header=BB4_3091 Depth=2
	s_or_b64 exec, exec, s[18:19]
	v_lshrrev_b32_e32 v24, 16, v14
	v_cmp_ne_u16_sdwa s[18:19], v24, v51 src0_sel:BYTE_0 src1_sel:DWORD
	v_mov_b32_e32 v1, 0
	s_and_saveexec_b64 s[20:21], s[18:19]
	s_cbranch_execz .LBB4_3153
; %bb.3148:                             ;   in Loop: Header=BB4_3091 Depth=2
	v_cmp_ne_u16_sdwa s[18:19], v24, s49 src0_sel:BYTE_0 src1_sel:DWORD
	v_bfrev_b32_e32 v1, 1
	s_and_saveexec_b64 s[88:89], s[18:19]
	s_cbranch_execz .LBB4_3152
; %bb.3149:                             ;   in Loop: Header=BB4_3091 Depth=2
	v_bfe_u32 v2, v14, 16, 7
	v_cmp_ne_u32_e64 s[18:19], s50, v2
	v_mov_b32_e32 v1, 0x7f800001
	s_and_saveexec_b64 s[90:91], s[18:19]
	s_cbranch_execz .LBB4_3151
; %bb.3150:                             ;   in Loop: Header=BB4_3091 Depth=2
	v_and_b32_e32 v4, 7, v24
	v_ffbh_u32_e32 v1, v4
	v_min_u32_e32 v25, 32, v1
	v_subrev_u32_e32 v1, 28, v25
	v_lshrrev_b32_e32 v5, 3, v2
	v_cmp_gt_u32_e64 s[18:19], 8, v2
	v_lshlrev_b64 v[1:2], v1, v[24:25]
	v_sub_u32_e32 v2, 29, v25
	v_and_b32_e32 v1, 7, v1
	v_cndmask_b32_e64 v2, v5, v2, s[18:19]
	v_cndmask_b32_e64 v1, v4, v1, s[18:19]
	v_lshlrev_b32_e32 v4, 24, v24
	v_lshlrev_b32_e32 v1, 20, v1
	v_and_b32_e32 v4, 0x80000000, v4
	v_lshl_add_u32 v2, v2, 23, v62
	v_or3_b32 v1, v4, v2, v1
.LBB4_3151:                             ;   in Loop: Header=BB4_3091 Depth=2
	s_or_b64 exec, exec, s[90:91]
.LBB4_3152:                             ;   in Loop: Header=BB4_3091 Depth=2
	s_or_b64 exec, exec, s[88:89]
.LBB4_3153:                             ;   in Loop: Header=BB4_3091 Depth=2
	s_or_b64 exec, exec, s[20:21]
	v_lshrrev_b32_e32 v24, 16, v10
	v_cmp_gt_i16_sdwa s[20:21], v24, s50 src0_sel:BYTE_0 src1_sel:DWORD
	s_mov_b64 s[18:19], 0
	s_and_saveexec_b64 s[88:89], s[20:21]
	s_xor_b64 s[20:21], exec, s[88:89]
	s_cbranch_execz .LBB4_3523
; %bb.3154:                             ;   in Loop: Header=BB4_3091 Depth=2
	v_cmp_eq_u16_sdwa s[90:91], v24, s49 src0_sel:BYTE_0 src1_sel:DWORD
	s_mov_b64 s[18:19], -1
	s_and_saveexec_b64 s[88:89], s[90:91]
; %bb.3155:                             ;   in Loop: Header=BB4_3091 Depth=2
	s_xor_b64 s[18:19], exec, -1
; %bb.3156:                             ;   in Loop: Header=BB4_3091 Depth=2
	s_or_b64 exec, exec, s[88:89]
	s_and_b64 s[18:19], s[18:19], exec
	s_or_saveexec_b64 s[20:21], s[20:21]
	v_bfrev_b32_e32 v2, 1
	s_xor_b64 exec, exec, s[20:21]
	s_cbranch_execnz .LBB4_3524
.LBB4_3157:                             ;   in Loop: Header=BB4_3091 Depth=2
	s_or_b64 exec, exec, s[20:21]
	s_and_saveexec_b64 s[20:21], s[18:19]
	s_cbranch_execz .LBB4_3159
.LBB4_3158:                             ;   in Loop: Header=BB4_3091 Depth=2
	v_and_b32_e32 v2, 7, v24
	v_ffbh_u32_e32 v4, v2
	v_min_u32_e32 v29, 32, v4
	v_and_b32_e32 v25, 0x7f, v24
	v_subrev_u32_e32 v4, 28, v29
	v_lshlrev_b64 v[4:5], v4, v[24:25]
	v_bfe_u32 v28, v24, 3, 4
	v_sub_u32_e32 v5, 29, v29
	v_and_b32_e32 v4, 7, v4
	v_cmp_gt_u32_e64 s[18:19], 8, v25
	v_cndmask_b32_e64 v5, v28, v5, s[18:19]
	v_cndmask_b32_e64 v2, v2, v4, s[18:19]
	v_lshlrev_b32_e32 v4, 24, v24
	v_lshlrev_b32_e32 v2, 20, v2
	v_and_b32_e32 v4, 0x80000000, v4
	v_lshl_add_u32 v5, v5, 23, v62
	v_or3_b32 v2, v4, v5, v2
	v_cmp_ne_u32_e64 s[18:19], s50, v25
	v_cndmask_b32_e64 v2, v56, v2, s[18:19]
.LBB4_3159:                             ;   in Loop: Header=BB4_3091 Depth=2
	s_or_b64 exec, exec, s[20:21]
	v_add_f32_e32 v2, v1, v2
	v_and_b32_e32 v50, 0x7f800000, v2
	v_cmp_ne_u64_e64 s[18:19], s[46:47], v[50:51]
                                        ; implicit-def: $vgpr35
	s_and_saveexec_b64 s[20:21], s[18:19]
	s_xor_b64 s[88:89], exec, s[20:21]
	s_cbranch_execz .LBB4_3173
; %bb.3160:                             ;   in Loop: Header=BB4_3091 Depth=2
	v_and_b32_e32 v50, 0x7fffffff, v2
	v_cmp_gt_u64_e64 s[18:19], s[56:57], v[50:51]
	v_and_b32_sdwa v1, v2, s49 dst_sel:DWORD dst_unused:UNUSED_PAD src0_sel:BYTE_3 src1_sel:DWORD
                                        ; implicit-def: $vgpr35
	s_and_saveexec_b64 s[20:21], s[18:19]
	s_xor_b64 s[90:91], exec, s[20:21]
	s_cbranch_execz .LBB4_3170
; %bb.3161:                             ;   in Loop: Header=BB4_3091 Depth=2
	v_mov_b32_e32 v35, 0
	v_cmp_ne_u32_e64 s[18:19], 0, v2
	s_and_saveexec_b64 s[92:93], s[18:19]
	s_cbranch_execz .LBB4_3169
; %bb.3162:                             ;   in Loop: Header=BB4_3091 Depth=2
	v_and_b32_e32 v5, 0x7fffff, v2
	v_bfe_u32 v2, v2, 23, 8
	v_cmp_gt_u32_e64 s[20:21], s51, v2
	v_sub_u32_e32 v4, 0x79, v2
	v_cmp_eq_u32_e64 s[18:19], 0, v2
	v_cndmask_b32_e64 v4, 0, v4, s[20:21]
	v_or_b32_e32 v24, 0x800000, v5
	v_cndmask_b32_e64 v4, v4, v49, s[18:19]
	v_cndmask_b32_e64 v50, v24, v5, s[18:19]
	v_add_u32_e32 v5, 20, v4
	v_lshlrev_b64 v[24:25], v5, -1
	v_add_u32_e32 v5, 19, v4
	v_lshlrev_b64 v[28:29], v5, 1
	v_bfi_b32 v25, v25, 0, 0
	v_bfi_b32 v24, v24, 0, v50
	v_cmp_eq_u64_e64 s[20:21], v[24:25], v[28:29]
	v_lshrrev_b64 v[24:25], v4, v[50:51]
	v_mov_b32_e32 v45, v25
	v_mov_b32_e32 v44, v24
	s_and_saveexec_b64 s[94:95], s[20:21]
; %bb.3163:                             ;   in Loop: Header=BB4_3091 Depth=2
	v_bfe_u32 v5, v24, 20, 1
	v_add_co_u32_e64 v5, s[20:21], v24, v5
	v_add_co_u32_e64 v44, s[20:21], -1, v5
; %bb.3164:                             ;   in Loop: Header=BB4_3091 Depth=2
	s_or_b64 exec, exec, s[94:95]
	v_add_u32_e32 v2, 0xffffff81, v2
	v_mov_b32_e32 v5, 0xffffff82
	v_cndmask_b32_e64 v2, v2, v5, s[18:19]
	v_lshrrev_b32_e32 v5, 23, v24
	v_add3_u32 v5, v4, v2, v5
	v_add_u32_e32 v4, 6, v5
	v_and_b32_e32 v2, 0xfffff, v44
	v_add_u32_e32 v50, v2, v24
	v_cmp_ne_u32_e64 s[18:19], 0, v4
                                        ; implicit-def: $vgpr24_vgpr25
                                        ; implicit-def: $vgpr2
	s_and_saveexec_b64 s[20:21], s[18:19]
	s_xor_b64 s[20:21], exec, s[20:21]
; %bb.3165:                             ;   in Loop: Header=BB4_3091 Depth=2
	v_cmp_lt_u64_e64 s[18:19], s[58:59], v[50:51]
	v_add_u32_e32 v2, 7, v5
	v_cndmask_b32_e64 v2, v4, v2, s[18:19]
	v_cndmask_b32_e64 v4, 0, 1, s[18:19]
	v_lshrrev_b64 v[24:25], v4, v[50:51]
; %bb.3166:                             ;   in Loop: Header=BB4_3091 Depth=2
	s_andn2_saveexec_b64 s[18:19], s[20:21]
; %bb.3167:                             ;   in Loop: Header=BB4_3091 Depth=2
	v_mov_b32_e32 v24, v50
	v_bfe_u32 v2, v50, 23, 1
	v_mov_b32_e32 v25, v51
; %bb.3168:                             ;   in Loop: Header=BB4_3091 Depth=2
	s_or_b64 exec, exec, s[18:19]
	v_lshrrev_b64 v[4:5], 20, v[24:25]
	v_cmp_gt_i32_e64 s[18:19], 16, v2
	v_cndmask_b32_e64 v5, 0, v5, s[18:19]
	v_cndmask_b32_e64 v4, 7, v4, s[18:19]
	v_cmp_eq_u32_e64 s[18:19], 0, v2
	v_min_i32_e32 v2, 15, v2
	v_cmp_eq_u64_e64 s[20:21], 0, v[4:5]
	v_lshlrev_b32_e32 v2, 3, v2
	v_and_b32_e32 v2, 0xf8, v2
	v_and_or_b32 v2, v4, 7, v2
	s_and_b64 s[18:19], s[18:19], s[20:21]
	v_cndmask_b32_e64 v2, v2, 0, s[18:19]
	v_or_b32_e32 v35, v2, v1
.LBB4_3169:                             ;   in Loop: Header=BB4_3091 Depth=2
	s_or_b64 exec, exec, s[92:93]
                                        ; implicit-def: $vgpr1
.LBB4_3170:                             ;   in Loop: Header=BB4_3091 Depth=2
	s_andn2_saveexec_b64 s[18:19], s[90:91]
; %bb.3171:                             ;   in Loop: Header=BB4_3091 Depth=2
	v_or_b32_e32 v35, 0x7e, v1
; %bb.3172:                             ;   in Loop: Header=BB4_3091 Depth=2
	s_or_b64 exec, exec, s[18:19]
                                        ; implicit-def: $vgpr2
.LBB4_3173:                             ;   in Loop: Header=BB4_3091 Depth=2
	s_andn2_saveexec_b64 s[18:19], s[88:89]
; %bb.3174:                             ;   in Loop: Header=BB4_3091 Depth=2
	v_or_b32_sdwa v35, v2, s50 dst_sel:DWORD dst_unused:UNUSED_PAD src0_sel:BYTE_3 src1_sel:DWORD
; %bb.3175:                             ;   in Loop: Header=BB4_3091 Depth=2
	s_or_b64 exec, exec, s[18:19]
	v_cmp_lt_u32_e64 s[18:19], s61, v14
	v_mov_b32_e32 v1, 0
	s_and_saveexec_b64 s[20:21], s[18:19]
	s_cbranch_execz .LBB4_3181
; %bb.3176:                             ;   in Loop: Header=BB4_3091 Depth=2
	v_lshrrev_b32_e32 v24, 24, v14
	v_cmp_ne_u32_e64 s[18:19], s49, v24
	v_bfrev_b32_e32 v1, 1
	s_and_saveexec_b64 s[88:89], s[18:19]
	s_cbranch_execz .LBB4_3180
; %bb.3177:                             ;   in Loop: Header=BB4_3091 Depth=2
	v_bfe_u32 v2, v14, 24, 7
	v_cmp_ne_u32_e64 s[18:19], s50, v2
	v_mov_b32_e32 v1, 0x7f800001
	s_and_saveexec_b64 s[90:91], s[18:19]
	s_cbranch_execz .LBB4_3179
; %bb.3178:                             ;   in Loop: Header=BB4_3091 Depth=2
	v_and_b32_e32 v4, 7, v24
	v_ffbh_u32_e32 v1, v4
	v_min_u32_e32 v25, 32, v1
	v_subrev_u32_e32 v1, 28, v25
	v_lshrrev_b32_e32 v5, 3, v2
	v_cmp_gt_u32_e64 s[18:19], 8, v2
	v_lshlrev_b64 v[1:2], v1, v[24:25]
	v_sub_u32_e32 v2, 29, v25
	v_and_b32_e32 v1, 7, v1
	v_cndmask_b32_e64 v2, v5, v2, s[18:19]
	v_cndmask_b32_e64 v1, v4, v1, s[18:19]
	v_lshlrev_b32_e32 v4, 24, v24
	v_lshlrev_b32_e32 v1, 20, v1
	v_and_b32_e32 v4, 0x80000000, v4
	v_lshl_add_u32 v2, v2, 23, v62
	v_or3_b32 v1, v4, v2, v1
.LBB4_3179:                             ;   in Loop: Header=BB4_3091 Depth=2
	s_or_b64 exec, exec, s[90:91]
.LBB4_3180:                             ;   in Loop: Header=BB4_3091 Depth=2
	s_or_b64 exec, exec, s[88:89]
.LBB4_3181:                             ;   in Loop: Header=BB4_3091 Depth=2
	s_or_b64 exec, exec, s[20:21]
	v_bfe_u32 v24, v10, 24, 3
	v_ffbh_u32_e32 v4, v24
	v_min_u32_e32 v29, 32, v4
	v_lshrrev_b32_e32 v2, 24, v10
	v_subrev_u32_e32 v4, 28, v29
	v_lshlrev_b64 v[4:5], v4, v[2:3]
	v_bfe_u32 v25, v10, 24, 7
	v_bfe_u32 v28, v2, 3, 4
	v_sub_u32_e32 v5, 29, v29
	v_and_b32_e32 v4, 7, v4
	v_cmp_gt_u32_e64 s[18:19], 8, v25
	v_cndmask_b32_e64 v5, v28, v5, s[18:19]
	v_cndmask_b32_e64 v4, v24, v4, s[18:19]
	v_lshlrev_b32_e32 v4, 20, v4
	v_and_b32_e32 v24, 0x80000000, v10
	v_lshl_add_u32 v5, v5, 23, v62
	v_or3_b32 v4, v24, v5, v4
	v_cmp_ne_u32_e64 s[18:19], s50, v25
	v_cndmask_b32_e64 v4, v56, v4, s[18:19]
	v_cmp_ne_u32_e64 s[18:19], s49, v2
	v_bfrev_b32_e32 v2, 1
	v_cndmask_b32_e64 v2, v2, v4, s[18:19]
	v_cmp_lt_u32_e64 s[18:19], s61, v10
	v_cndmask_b32_e64 v2, 0, v2, s[18:19]
	v_add_f32_e32 v2, v2, v1
	v_and_b32_e32 v50, 0x7f800000, v2
	v_cmp_ne_u64_e64 s[18:19], s[46:47], v[50:51]
                                        ; implicit-def: $vgpr55
	s_and_saveexec_b64 s[20:21], s[18:19]
	s_xor_b64 s[88:89], exec, s[20:21]
	s_cbranch_execz .LBB4_3195
; %bb.3182:                             ;   in Loop: Header=BB4_3091 Depth=2
	v_and_b32_e32 v50, 0x7fffffff, v2
	v_cmp_gt_u64_e64 s[18:19], s[56:57], v[50:51]
	v_and_b32_sdwa v1, v2, s49 dst_sel:DWORD dst_unused:UNUSED_PAD src0_sel:BYTE_3 src1_sel:DWORD
                                        ; implicit-def: $vgpr55
	s_and_saveexec_b64 s[20:21], s[18:19]
	s_xor_b64 s[90:91], exec, s[20:21]
	s_cbranch_execz .LBB4_3192
; %bb.3183:                             ;   in Loop: Header=BB4_3091 Depth=2
	v_mov_b32_e32 v55, 0
	v_cmp_ne_u32_e64 s[18:19], 0, v2
	s_and_saveexec_b64 s[92:93], s[18:19]
	s_cbranch_execz .LBB4_3191
; %bb.3184:                             ;   in Loop: Header=BB4_3091 Depth=2
	v_and_b32_e32 v5, 0x7fffff, v2
	v_bfe_u32 v2, v2, 23, 8
	v_cmp_gt_u32_e64 s[20:21], s51, v2
	v_sub_u32_e32 v4, 0x79, v2
	v_cmp_eq_u32_e64 s[18:19], 0, v2
	v_cndmask_b32_e64 v4, 0, v4, s[20:21]
	v_or_b32_e32 v24, 0x800000, v5
	v_cndmask_b32_e64 v4, v4, v49, s[18:19]
	v_cndmask_b32_e64 v50, v24, v5, s[18:19]
	v_add_u32_e32 v5, 20, v4
	v_lshlrev_b64 v[24:25], v5, -1
	v_add_u32_e32 v5, 19, v4
	v_lshlrev_b64 v[28:29], v5, 1
	v_bfi_b32 v25, v25, 0, 0
	v_bfi_b32 v24, v24, 0, v50
	v_cmp_eq_u64_e64 s[20:21], v[24:25], v[28:29]
	v_lshrrev_b64 v[24:25], v4, v[50:51]
	v_mov_b32_e32 v45, v25
	v_mov_b32_e32 v44, v24
	s_and_saveexec_b64 s[94:95], s[20:21]
; %bb.3185:                             ;   in Loop: Header=BB4_3091 Depth=2
	v_bfe_u32 v5, v24, 20, 1
	v_add_co_u32_e64 v5, s[20:21], v24, v5
	v_add_co_u32_e64 v44, s[20:21], -1, v5
; %bb.3186:                             ;   in Loop: Header=BB4_3091 Depth=2
	s_or_b64 exec, exec, s[94:95]
	v_add_u32_e32 v2, 0xffffff81, v2
	v_mov_b32_e32 v5, 0xffffff82
	v_cndmask_b32_e64 v2, v2, v5, s[18:19]
	v_lshrrev_b32_e32 v5, 23, v24
	v_add3_u32 v5, v4, v2, v5
	v_add_u32_e32 v4, 6, v5
	v_and_b32_e32 v2, 0xfffff, v44
	v_add_u32_e32 v50, v2, v24
	v_cmp_ne_u32_e64 s[18:19], 0, v4
                                        ; implicit-def: $vgpr24_vgpr25
                                        ; implicit-def: $vgpr2
	s_and_saveexec_b64 s[20:21], s[18:19]
	s_xor_b64 s[20:21], exec, s[20:21]
; %bb.3187:                             ;   in Loop: Header=BB4_3091 Depth=2
	v_cmp_lt_u64_e64 s[18:19], s[58:59], v[50:51]
	v_add_u32_e32 v2, 7, v5
	v_cndmask_b32_e64 v2, v4, v2, s[18:19]
	v_cndmask_b32_e64 v4, 0, 1, s[18:19]
	v_lshrrev_b64 v[24:25], v4, v[50:51]
; %bb.3188:                             ;   in Loop: Header=BB4_3091 Depth=2
	s_andn2_saveexec_b64 s[18:19], s[20:21]
; %bb.3189:                             ;   in Loop: Header=BB4_3091 Depth=2
	v_mov_b32_e32 v24, v50
	v_bfe_u32 v2, v50, 23, 1
	v_mov_b32_e32 v25, v51
; %bb.3190:                             ;   in Loop: Header=BB4_3091 Depth=2
	s_or_b64 exec, exec, s[18:19]
	v_lshrrev_b64 v[4:5], 20, v[24:25]
	v_cmp_gt_i32_e64 s[18:19], 16, v2
	v_cndmask_b32_e64 v5, 0, v5, s[18:19]
	v_cndmask_b32_e64 v4, 7, v4, s[18:19]
	v_cmp_eq_u32_e64 s[18:19], 0, v2
	v_min_i32_e32 v2, 15, v2
	v_cmp_eq_u64_e64 s[20:21], 0, v[4:5]
	v_lshlrev_b32_e32 v2, 3, v2
	v_and_b32_e32 v2, 0xf8, v2
	v_and_or_b32 v2, v4, 7, v2
	s_and_b64 s[18:19], s[18:19], s[20:21]
	v_cndmask_b32_e64 v2, v2, 0, s[18:19]
	v_or_b32_e32 v55, v2, v1
.LBB4_3191:                             ;   in Loop: Header=BB4_3091 Depth=2
	s_or_b64 exec, exec, s[92:93]
                                        ; implicit-def: $vgpr1
.LBB4_3192:                             ;   in Loop: Header=BB4_3091 Depth=2
	s_andn2_saveexec_b64 s[18:19], s[90:91]
; %bb.3193:                             ;   in Loop: Header=BB4_3091 Depth=2
	v_or_b32_e32 v55, 0x7e, v1
; %bb.3194:                             ;   in Loop: Header=BB4_3091 Depth=2
	s_or_b64 exec, exec, s[18:19]
                                        ; implicit-def: $vgpr2
.LBB4_3195:                             ;   in Loop: Header=BB4_3091 Depth=2
	s_andn2_saveexec_b64 s[18:19], s[88:89]
; %bb.3196:                             ;   in Loop: Header=BB4_3091 Depth=2
	v_or_b32_sdwa v55, v2, s50 dst_sel:DWORD dst_unused:UNUSED_PAD src0_sel:BYTE_3 src1_sel:DWORD
; %bb.3197:                             ;   in Loop: Header=BB4_3091 Depth=2
	s_or_b64 exec, exec, s[18:19]
	v_mov_b32_e32 v50, v15
	v_cmp_ne_u16_sdwa s[18:19], v15, v51 src0_sel:BYTE_0 src1_sel:DWORD
	v_mov_b32_e32 v1, 0
	s_and_saveexec_b64 s[20:21], s[18:19]
	s_cbranch_execz .LBB4_3203
; %bb.3198:                             ;   in Loop: Header=BB4_3091 Depth=2
	v_cmp_ne_u16_sdwa s[18:19], v15, s49 src0_sel:BYTE_0 src1_sel:DWORD
	v_bfrev_b32_e32 v1, 1
	s_and_saveexec_b64 s[88:89], s[18:19]
	s_cbranch_execz .LBB4_3202
; %bb.3199:                             ;   in Loop: Header=BB4_3091 Depth=2
	v_and_b32_e32 v2, 0x7f, v15
	v_cmp_ne_u32_e64 s[18:19], s50, v2
	v_mov_b32_e32 v1, 0x7f800001
	s_and_saveexec_b64 s[90:91], s[18:19]
	s_cbranch_execz .LBB4_3201
; %bb.3200:                             ;   in Loop: Header=BB4_3091 Depth=2
	v_and_b32_e32 v1, 7, v15
	v_ffbh_u32_e32 v1, v1
	v_min_u32_e32 v1, 32, v1
	v_lshrrev_b32_e32 v4, 3, v2
	v_cmp_gt_u32_e64 s[18:19], 8, v2
	v_subrev_u32_e32 v2, 28, v1
	v_sub_u32_e32 v1, 29, v1
	v_cndmask_b32_e64 v4, v4, v1, s[18:19]
	v_cndmask_b32_e64 v1, 0, v2, s[18:19]
	v_lshlrev_b64 v[1:2], v1, v[50:51]
	v_lshlrev_b32_e32 v2, 24, v50
	v_lshlrev_b32_e32 v1, 20, v1
	v_and_b32_e32 v1, 0x700000, v1
	v_and_b32_e32 v2, 0x80000000, v2
	v_lshl_add_u32 v4, v4, 23, v62
	v_or3_b32 v1, v2, v4, v1
.LBB4_3201:                             ;   in Loop: Header=BB4_3091 Depth=2
	s_or_b64 exec, exec, s[90:91]
.LBB4_3202:                             ;   in Loop: Header=BB4_3091 Depth=2
	s_or_b64 exec, exec, s[88:89]
.LBB4_3203:                             ;   in Loop: Header=BB4_3091 Depth=2
	s_or_b64 exec, exec, s[20:21]
	v_cmp_gt_i16_sdwa s[20:21], v11, s50 src0_sel:BYTE_0 src1_sel:DWORD
	s_mov_b64 s[18:19], 0
	s_and_saveexec_b64 s[88:89], s[20:21]
	s_xor_b64 s[20:21], exec, s[88:89]
	s_cbranch_execz .LBB4_3207
; %bb.3204:                             ;   in Loop: Header=BB4_3091 Depth=2
	v_cmp_eq_u16_sdwa s[90:91], v11, s49 src0_sel:BYTE_0 src1_sel:DWORD
	s_mov_b64 s[18:19], -1
	s_and_saveexec_b64 s[88:89], s[90:91]
; %bb.3205:                             ;   in Loop: Header=BB4_3091 Depth=2
	s_xor_b64 s[18:19], exec, -1
; %bb.3206:                             ;   in Loop: Header=BB4_3091 Depth=2
	s_or_b64 exec, exec, s[88:89]
	s_and_b64 s[18:19], s[18:19], exec
.LBB4_3207:                             ;   in Loop: Header=BB4_3091 Depth=2
	s_or_saveexec_b64 s[20:21], s[20:21]
	v_bfrev_b32_e32 v2, 1
	s_xor_b64 exec, exec, s[20:21]
; %bb.3208:                             ;   in Loop: Header=BB4_3091 Depth=2
	v_cmp_ne_u16_sdwa s[88:89], v11, v51 src0_sel:BYTE_0 src1_sel:DWORD
	s_andn2_b64 s[18:19], s[18:19], exec
	s_and_b64 s[88:89], s[88:89], exec
	v_mov_b32_e32 v2, 0
	s_or_b64 s[18:19], s[18:19], s[88:89]
; %bb.3209:                             ;   in Loop: Header=BB4_3091 Depth=2
	s_or_b64 exec, exec, s[20:21]
	v_mov_b32_e32 v24, v11
	v_mov_b32_e32 v25, v51
	s_and_saveexec_b64 s[20:21], s[18:19]
	s_cbranch_execz .LBB4_3211
; %bb.3210:                             ;   in Loop: Header=BB4_3091 Depth=2
	v_and_b32_e32 v2, 7, v11
	v_ffbh_u32_e32 v2, v2
	v_and_b32_e32 v28, 0x7f, v11
	v_min_u32_e32 v2, 32, v2
	v_bfe_u32 v4, v11, 3, 4
	v_subrev_u32_e32 v5, 28, v2
	v_sub_u32_e32 v2, 29, v2
	v_cmp_gt_u32_e64 s[18:19], 8, v28
	v_cndmask_b32_e64 v2, v4, v2, s[18:19]
	v_cndmask_b32_e64 v4, 0, v5, s[18:19]
	v_lshlrev_b64 v[4:5], v4, v[24:25]
	v_lshlrev_b32_e32 v5, 24, v24
	v_lshlrev_b32_e32 v4, 20, v4
	v_and_b32_e32 v4, 0x700000, v4
	v_and_b32_e32 v5, 0x80000000, v5
	v_lshl_add_u32 v2, v2, 23, v62
	v_or3_b32 v2, v5, v2, v4
	v_cmp_ne_u32_e64 s[18:19], s50, v28
	v_cndmask_b32_e64 v2, v56, v2, s[18:19]
.LBB4_3211:                             ;   in Loop: Header=BB4_3091 Depth=2
	s_or_b64 exec, exec, s[20:21]
	v_add_f32_e32 v2, v1, v2
	v_and_b32_e32 v4, 0x7f800000, v2
	v_mov_b32_e32 v5, v51
	v_cmp_ne_u64_e64 s[18:19], s[46:47], v[4:5]
                                        ; implicit-def: $vgpr28
	s_and_saveexec_b64 s[20:21], s[18:19]
	s_xor_b64 s[88:89], exec, s[20:21]
	s_cbranch_execz .LBB4_3225
; %bb.3212:                             ;   in Loop: Header=BB4_3091 Depth=2
	v_and_b32_e32 v4, 0x7fffffff, v2
	v_mov_b32_e32 v5, v51
	v_cmp_gt_u64_e64 s[18:19], s[56:57], v[4:5]
	v_and_b32_sdwa v1, v2, s49 dst_sel:DWORD dst_unused:UNUSED_PAD src0_sel:BYTE_3 src1_sel:DWORD
                                        ; implicit-def: $vgpr28
	s_and_saveexec_b64 s[20:21], s[18:19]
	s_xor_b64 s[90:91], exec, s[20:21]
	s_cbranch_execz .LBB4_3222
; %bb.3213:                             ;   in Loop: Header=BB4_3091 Depth=2
	v_mov_b32_e32 v28, 0
	v_cmp_ne_u32_e64 s[18:19], 0, v2
	s_and_saveexec_b64 s[92:93], s[18:19]
	s_cbranch_execz .LBB4_3221
; %bb.3214:                             ;   in Loop: Header=BB4_3091 Depth=2
	v_and_b32_e32 v5, 0x7fffff, v2
	v_bfe_u32 v2, v2, 23, 8
	v_cmp_gt_u32_e64 s[20:21], s51, v2
	v_sub_u32_e32 v4, 0x79, v2
	v_cmp_eq_u32_e64 s[18:19], 0, v2
	v_cndmask_b32_e64 v4, 0, v4, s[20:21]
	v_or_b32_e32 v25, 0x800000, v5
	v_cndmask_b32_e64 v4, v4, v49, s[18:19]
	v_cndmask_b32_e64 v28, v25, v5, s[18:19]
	v_add_u32_e32 v5, 20, v4
	v_mov_b32_e32 v29, v51
	v_lshlrev_b64 v[48:49], v5, -1
	v_add_u32_e32 v5, 19, v4
	v_lshlrev_b64 v[40:41], v5, 1
	v_lshrrev_b64 v[44:45], v4, v[28:29]
	v_bfi_b32 v49, v49, 0, 0
	v_bfi_b32 v48, v48, 0, v28
	v_cmp_eq_u64_e64 s[20:21], v[48:49], v[40:41]
	v_mov_b32_e32 v46, v45
	v_mov_b32_e32 v45, v44
	s_and_saveexec_b64 s[94:95], s[20:21]
; %bb.3215:                             ;   in Loop: Header=BB4_3091 Depth=2
	v_bfe_u32 v5, v44, 20, 1
	v_add_co_u32_e64 v5, s[20:21], v44, v5
	v_add_co_u32_e64 v45, s[20:21], -1, v5
; %bb.3216:                             ;   in Loop: Header=BB4_3091 Depth=2
	s_or_b64 exec, exec, s[94:95]
	v_add_u32_e32 v2, 0xffffff81, v2
	v_mov_b32_e32 v5, 0xffffff82
	v_cndmask_b32_e64 v2, v2, v5, s[18:19]
	v_lshrrev_b32_e32 v5, 23, v44
	v_add3_u32 v5, v4, v2, v5
	v_add_u32_e32 v4, 6, v5
	v_and_b32_e32 v2, 0xfffff, v45
	v_add_u32_e32 v44, v2, v44
	v_mov_b32_e32 v45, v51
	v_cmp_ne_u32_e64 s[18:19], 0, v4
                                        ; implicit-def: $vgpr2
	s_and_saveexec_b64 s[20:21], s[18:19]
	s_xor_b64 s[20:21], exec, s[20:21]
; %bb.3217:                             ;   in Loop: Header=BB4_3091 Depth=2
	v_cmp_lt_u64_e64 s[18:19], s[58:59], v[44:45]
	v_add_u32_e32 v2, 7, v5
	v_cndmask_b32_e64 v2, v4, v2, s[18:19]
	v_cndmask_b32_e64 v4, 0, 1, s[18:19]
	v_lshrrev_b64 v[44:45], v4, v[44:45]
; %bb.3218:                             ;   in Loop: Header=BB4_3091 Depth=2
	s_or_saveexec_b64 s[18:19], s[20:21]
	v_mov_b32_e32 v49, 0x78
	s_xor_b64 exec, exec, s[18:19]
; %bb.3219:                             ;   in Loop: Header=BB4_3091 Depth=2
	v_bfe_u32 v2, v44, 23, 1
; %bb.3220:                             ;   in Loop: Header=BB4_3091 Depth=2
	s_or_b64 exec, exec, s[18:19]
	v_lshrrev_b64 v[4:5], 20, v[44:45]
	v_cmp_gt_i32_e64 s[18:19], 16, v2
	v_cndmask_b32_e64 v5, 0, v5, s[18:19]
	v_cndmask_b32_e64 v4, 7, v4, s[18:19]
	v_cmp_eq_u32_e64 s[18:19], 0, v2
	v_min_i32_e32 v2, 15, v2
	v_cmp_eq_u64_e64 s[20:21], 0, v[4:5]
	v_lshlrev_b32_e32 v2, 3, v2
	v_and_b32_e32 v2, 0xf8, v2
	v_and_or_b32 v2, v4, 7, v2
	s_and_b64 s[18:19], s[18:19], s[20:21]
	v_cndmask_b32_e64 v2, v2, 0, s[18:19]
	v_or_b32_e32 v28, v2, v1
.LBB4_3221:                             ;   in Loop: Header=BB4_3091 Depth=2
	s_or_b64 exec, exec, s[92:93]
                                        ; implicit-def: $vgpr1
.LBB4_3222:                             ;   in Loop: Header=BB4_3091 Depth=2
	s_andn2_saveexec_b64 s[18:19], s[90:91]
; %bb.3223:                             ;   in Loop: Header=BB4_3091 Depth=2
	v_or_b32_e32 v28, 0x7e, v1
; %bb.3224:                             ;   in Loop: Header=BB4_3091 Depth=2
	s_or_b64 exec, exec, s[18:19]
                                        ; implicit-def: $vgpr2
.LBB4_3225:                             ;   in Loop: Header=BB4_3091 Depth=2
	s_andn2_saveexec_b64 s[18:19], s[88:89]
; %bb.3226:                             ;   in Loop: Header=BB4_3091 Depth=2
	v_or_b32_sdwa v28, v2, s50 dst_sel:DWORD dst_unused:UNUSED_PAD src0_sel:BYTE_3 src1_sel:DWORD
; %bb.3227:                             ;   in Loop: Header=BB4_3091 Depth=2
	s_or_b64 exec, exec, s[18:19]
	v_lshrrev_b16_e32 v25, 8, v50
	v_cmp_ne_u16_e64 s[18:19], 0, v25
	v_mov_b32_e32 v1, 0
	s_and_saveexec_b64 s[20:21], s[18:19]
	s_cbranch_execz .LBB4_3233
; %bb.3228:                             ;   in Loop: Header=BB4_3091 Depth=2
	v_cmp_ne_u16_e64 s[18:19], s49, v25
	v_bfrev_b32_e32 v1, 1
	s_and_saveexec_b64 s[88:89], s[18:19]
	s_cbranch_execz .LBB4_3232
; %bb.3229:                             ;   in Loop: Header=BB4_3091 Depth=2
	v_and_b32_e32 v2, 0x7f, v25
	v_cmp_ne_u32_e64 s[18:19], s50, v2
	v_mov_b32_e32 v1, 0x7f800001
	s_and_saveexec_b64 s[90:91], s[18:19]
	s_cbranch_execz .LBB4_3231
; %bb.3230:                             ;   in Loop: Header=BB4_3091 Depth=2
	v_and_b32_e32 v4, 7, v25
	v_ffbh_u32_e32 v1, v4
	v_min_u32_e32 v29, 32, v1
	v_subrev_u32_e32 v1, 28, v29
	v_lshrrev_b32_e32 v5, 3, v2
	v_cmp_gt_u32_e64 s[18:19], 8, v2
	v_lshlrev_b64 v[1:2], v1, v[25:26]
	v_sub_u32_e32 v2, 29, v29
	v_and_b32_e32 v1, 7, v1
	v_cndmask_b32_e64 v2, v5, v2, s[18:19]
	v_cndmask_b32_e64 v1, v4, v1, s[18:19]
	v_lshlrev_b32_e32 v4, 16, v50
	v_lshlrev_b32_e32 v1, 20, v1
	v_and_b32_e32 v4, 0x80000000, v4
	v_lshl_add_u32 v2, v2, 23, v62
	v_or3_b32 v1, v4, v2, v1
.LBB4_3231:                             ;   in Loop: Header=BB4_3091 Depth=2
	s_or_b64 exec, exec, s[90:91]
.LBB4_3232:                             ;   in Loop: Header=BB4_3091 Depth=2
	s_or_b64 exec, exec, s[88:89]
.LBB4_3233:                             ;   in Loop: Header=BB4_3091 Depth=2
	s_or_b64 exec, exec, s[20:21]
	v_lshrrev_b16_e32 v50, 8, v24
	v_cmp_lt_i16_e64 s[18:19], s50, v50
	s_mov_b64 s[20:21], 0
	s_and_saveexec_b64 s[88:89], s[18:19]
	s_xor_b64 s[88:89], exec, s[88:89]
	s_cbranch_execz .LBB4_3525
; %bb.3234:                             ;   in Loop: Header=BB4_3091 Depth=2
	v_cmp_eq_u16_e64 s[18:19], s49, v50
	s_mov_b64 s[20:21], -1
	s_and_saveexec_b64 s[90:91], s[18:19]
; %bb.3235:                             ;   in Loop: Header=BB4_3091 Depth=2
	s_xor_b64 s[20:21], exec, -1
; %bb.3236:                             ;   in Loop: Header=BB4_3091 Depth=2
	s_or_b64 exec, exec, s[90:91]
	s_and_b64 s[20:21], s[20:21], exec
	s_or_saveexec_b64 s[88:89], s[88:89]
	v_bfrev_b32_e32 v2, 1
	s_xor_b64 exec, exec, s[88:89]
	s_cbranch_execnz .LBB4_3526
.LBB4_3237:                             ;   in Loop: Header=BB4_3091 Depth=2
	s_or_b64 exec, exec, s[88:89]
	s_and_saveexec_b64 s[88:89], s[20:21]
	s_cbranch_execz .LBB4_3239
.LBB4_3238:                             ;   in Loop: Header=BB4_3091 Depth=2
	v_and_b32_e32 v2, 7, v50
	v_ffbh_u32_e32 v4, v2
	v_min_u32_e32 v29, 32, v4
	v_subrev_u32_e32 v4, 28, v29
	v_lshlrev_b64 v[4:5], v4, v[50:51]
	v_and_b32_e32 v24, 0x7f, v50
	v_bfe_u32 v25, v50, 3, 4
	v_sub_u32_e32 v5, 29, v29
	v_and_b32_e32 v4, 7, v4
	v_cmp_gt_u32_e64 s[18:19], 8, v24
	v_cndmask_b32_e64 v5, v25, v5, s[18:19]
	v_cndmask_b32_e64 v2, v2, v4, s[18:19]
	v_lshlrev_b32_e32 v4, 24, v50
	v_lshlrev_b32_e32 v2, 20, v2
	v_and_b32_e32 v4, 0x80000000, v4
	v_lshl_add_u32 v5, v5, 23, v62
	v_or3_b32 v2, v4, v5, v2
	v_cmp_ne_u32_e64 s[18:19], s50, v24
	v_cndmask_b32_e64 v2, v56, v2, s[18:19]
.LBB4_3239:                             ;   in Loop: Header=BB4_3091 Depth=2
	s_or_b64 exec, exec, s[88:89]
	v_add_f32_e32 v4, v1, v2
	v_and_b32_e32 v50, 0x7f800000, v4
	v_cmp_ne_u64_e64 s[18:19], s[46:47], v[50:51]
                                        ; implicit-def: $vgpr1
	s_and_saveexec_b64 s[20:21], s[18:19]
	s_xor_b64 s[88:89], exec, s[20:21]
	s_cbranch_execz .LBB4_3253
; %bb.3240:                             ;   in Loop: Header=BB4_3091 Depth=2
	v_and_b32_e32 v50, 0x7fffffff, v4
	v_cmp_gt_u64_e64 s[18:19], s[56:57], v[50:51]
	v_and_b32_sdwa v2, v4, s49 dst_sel:DWORD dst_unused:UNUSED_PAD src0_sel:BYTE_3 src1_sel:DWORD
                                        ; implicit-def: $vgpr1
	s_and_saveexec_b64 s[20:21], s[18:19]
	s_xor_b64 s[90:91], exec, s[20:21]
	s_cbranch_execz .LBB4_3250
; %bb.3241:                             ;   in Loop: Header=BB4_3091 Depth=2
	v_mov_b32_e32 v1, 0
	v_cmp_ne_u32_e64 s[18:19], 0, v4
	s_and_saveexec_b64 s[92:93], s[18:19]
	s_cbranch_execz .LBB4_3249
; %bb.3242:                             ;   in Loop: Header=BB4_3091 Depth=2
	v_bfe_u32 v1, v4, 23, 8
	v_and_b32_e32 v5, 0x7fffff, v4
	v_cmp_gt_u32_e64 s[20:21], s51, v1
	v_sub_u32_e32 v4, 0x79, v1
	v_cmp_eq_u32_e64 s[18:19], 0, v1
	v_cndmask_b32_e64 v4, 0, v4, s[20:21]
	v_or_b32_e32 v24, 0x800000, v5
	v_cndmask_b32_e64 v4, v4, v49, s[18:19]
	v_cndmask_b32_e64 v50, v24, v5, s[18:19]
	v_add_u32_e32 v5, 20, v4
	v_lshlrev_b64 v[24:25], v5, -1
	v_add_u32_e32 v5, 19, v4
	v_lshlrev_b64 v[48:49], v5, 1
	v_bfi_b32 v25, v25, 0, 0
	v_bfi_b32 v24, v24, 0, v50
	v_cmp_eq_u64_e64 s[20:21], v[24:25], v[48:49]
	v_lshrrev_b64 v[24:25], v4, v[50:51]
	v_mov_b32_e32 v45, v25
	v_mov_b32_e32 v44, v24
	s_and_saveexec_b64 s[94:95], s[20:21]
; %bb.3243:                             ;   in Loop: Header=BB4_3091 Depth=2
	v_bfe_u32 v5, v24, 20, 1
	v_add_co_u32_e64 v5, s[20:21], v24, v5
	v_add_co_u32_e64 v44, s[20:21], -1, v5
; %bb.3244:                             ;   in Loop: Header=BB4_3091 Depth=2
	s_or_b64 exec, exec, s[94:95]
	v_add_u32_e32 v1, 0xffffff81, v1
	v_mov_b32_e32 v5, 0xffffff82
	v_cndmask_b32_e64 v1, v1, v5, s[18:19]
	v_lshrrev_b32_e32 v5, 23, v24
	v_add3_u32 v5, v4, v1, v5
	v_add_u32_e32 v4, 6, v5
	v_and_b32_e32 v1, 0xfffff, v44
	v_add_u32_e32 v50, v1, v24
	v_cmp_ne_u32_e64 s[18:19], 0, v4
                                        ; implicit-def: $vgpr24_vgpr25
                                        ; implicit-def: $vgpr1
	s_and_saveexec_b64 s[20:21], s[18:19]
	s_xor_b64 s[20:21], exec, s[20:21]
; %bb.3245:                             ;   in Loop: Header=BB4_3091 Depth=2
	v_cmp_lt_u64_e64 s[18:19], s[58:59], v[50:51]
	v_add_u32_e32 v1, 7, v5
	v_cndmask_b32_e64 v1, v4, v1, s[18:19]
	v_cndmask_b32_e64 v4, 0, 1, s[18:19]
	v_lshrrev_b64 v[24:25], v4, v[50:51]
; %bb.3246:                             ;   in Loop: Header=BB4_3091 Depth=2
	s_or_saveexec_b64 s[18:19], s[20:21]
	v_mov_b32_e32 v49, 0x78
	s_xor_b64 exec, exec, s[18:19]
; %bb.3247:                             ;   in Loop: Header=BB4_3091 Depth=2
	v_mov_b32_e32 v24, v50
	v_bfe_u32 v1, v50, 23, 1
	v_mov_b32_e32 v25, v51
; %bb.3248:                             ;   in Loop: Header=BB4_3091 Depth=2
	s_or_b64 exec, exec, s[18:19]
	v_lshrrev_b64 v[4:5], 20, v[24:25]
	v_cmp_gt_i32_e64 s[18:19], 16, v1
	v_cndmask_b32_e64 v5, 0, v5, s[18:19]
	v_cndmask_b32_e64 v4, 7, v4, s[18:19]
	v_cmp_eq_u32_e64 s[18:19], 0, v1
	v_min_i32_e32 v1, 15, v1
	v_cmp_eq_u64_e64 s[20:21], 0, v[4:5]
	v_lshlrev_b32_e32 v1, 3, v1
	v_and_b32_e32 v1, 0xf8, v1
	v_and_or_b32 v1, v4, 7, v1
	s_and_b64 s[18:19], s[18:19], s[20:21]
	v_cndmask_b32_e64 v1, v1, 0, s[18:19]
	v_or_b32_e32 v1, v1, v2
.LBB4_3249:                             ;   in Loop: Header=BB4_3091 Depth=2
	s_or_b64 exec, exec, s[92:93]
                                        ; implicit-def: $vgpr2
.LBB4_3250:                             ;   in Loop: Header=BB4_3091 Depth=2
	s_andn2_saveexec_b64 s[18:19], s[90:91]
; %bb.3251:                             ;   in Loop: Header=BB4_3091 Depth=2
	v_or_b32_e32 v1, 0x7e, v2
; %bb.3252:                             ;   in Loop: Header=BB4_3091 Depth=2
	s_or_b64 exec, exec, s[18:19]
                                        ; implicit-def: $vgpr4
.LBB4_3253:                             ;   in Loop: Header=BB4_3091 Depth=2
	s_andn2_saveexec_b64 s[18:19], s[88:89]
; %bb.3254:                             ;   in Loop: Header=BB4_3091 Depth=2
	v_or_b32_sdwa v1, v4, s50 dst_sel:DWORD dst_unused:UNUSED_PAD src0_sel:BYTE_3 src1_sel:DWORD
; %bb.3255:                             ;   in Loop: Header=BB4_3091 Depth=2
	s_or_b64 exec, exec, s[18:19]
	v_lshrrev_b32_e32 v24, 16, v15
	v_cmp_ne_u16_sdwa s[18:19], v24, v51 src0_sel:BYTE_0 src1_sel:DWORD
	v_mov_b32_e32 v2, 0
	s_and_saveexec_b64 s[20:21], s[18:19]
	s_cbranch_execz .LBB4_3261
; %bb.3256:                             ;   in Loop: Header=BB4_3091 Depth=2
	v_cmp_ne_u16_sdwa s[18:19], v24, s49 src0_sel:BYTE_0 src1_sel:DWORD
	v_bfrev_b32_e32 v2, 1
	s_and_saveexec_b64 s[88:89], s[18:19]
	s_cbranch_execz .LBB4_3260
; %bb.3257:                             ;   in Loop: Header=BB4_3091 Depth=2
	v_bfe_u32 v4, v15, 16, 7
	v_cmp_ne_u32_e64 s[18:19], s50, v4
	v_mov_b32_e32 v2, 0x7f800001
	s_and_saveexec_b64 s[90:91], s[18:19]
	s_cbranch_execz .LBB4_3259
; %bb.3258:                             ;   in Loop: Header=BB4_3091 Depth=2
	v_and_b32_e32 v2, 7, v24
	v_lshrrev_b32_e32 v25, 3, v4
	v_cmp_gt_u32_e64 s[18:19], 8, v4
	v_ffbh_u32_e32 v4, v2
	v_min_u32_e32 v29, 32, v4
	v_subrev_u32_e32 v4, 28, v29
	v_lshlrev_b64 v[4:5], v4, v[24:25]
	v_sub_u32_e32 v5, 29, v29
	v_and_b32_e32 v4, 7, v4
	v_cndmask_b32_e64 v5, v25, v5, s[18:19]
	v_cndmask_b32_e64 v2, v2, v4, s[18:19]
	v_lshlrev_b32_e32 v4, 24, v24
	v_lshlrev_b32_e32 v2, 20, v2
	v_and_b32_e32 v4, 0x80000000, v4
	v_lshl_add_u32 v5, v5, 23, v62
	v_or3_b32 v2, v4, v5, v2
.LBB4_3259:                             ;   in Loop: Header=BB4_3091 Depth=2
	s_or_b64 exec, exec, s[90:91]
.LBB4_3260:                             ;   in Loop: Header=BB4_3091 Depth=2
	s_or_b64 exec, exec, s[88:89]
.LBB4_3261:                             ;   in Loop: Header=BB4_3091 Depth=2
	s_or_b64 exec, exec, s[20:21]
	v_lshrrev_b32_e32 v24, 16, v11
	v_cmp_gt_i16_sdwa s[20:21], v24, s50 src0_sel:BYTE_0 src1_sel:DWORD
	s_mov_b64 s[18:19], 0
	s_and_saveexec_b64 s[88:89], s[20:21]
	s_xor_b64 s[20:21], exec, s[88:89]
	s_cbranch_execz .LBB4_3527
; %bb.3262:                             ;   in Loop: Header=BB4_3091 Depth=2
	v_cmp_eq_u16_sdwa s[90:91], v24, s49 src0_sel:BYTE_0 src1_sel:DWORD
	s_mov_b64 s[18:19], -1
	s_and_saveexec_b64 s[88:89], s[90:91]
; %bb.3263:                             ;   in Loop: Header=BB4_3091 Depth=2
	s_xor_b64 s[18:19], exec, -1
; %bb.3264:                             ;   in Loop: Header=BB4_3091 Depth=2
	s_or_b64 exec, exec, s[88:89]
	s_and_b64 s[18:19], s[18:19], exec
	s_or_saveexec_b64 s[20:21], s[20:21]
	v_bfrev_b32_e32 v4, 1
	s_xor_b64 exec, exec, s[20:21]
	s_cbranch_execnz .LBB4_3528
.LBB4_3265:                             ;   in Loop: Header=BB4_3091 Depth=2
	s_or_b64 exec, exec, s[20:21]
	s_and_saveexec_b64 s[20:21], s[18:19]
	s_cbranch_execz .LBB4_3267
.LBB4_3266:                             ;   in Loop: Header=BB4_3091 Depth=2
	v_and_b32_e32 v25, 7, v24
	v_ffbh_u32_e32 v4, v25
	v_min_u32_e32 v49, 32, v4
	v_subrev_u32_e32 v4, 28, v49
	v_lshlrev_b64 v[4:5], v4, v[24:25]
	v_and_b32_e32 v29, 0x7f, v24
	v_bfe_u32 v48, v24, 3, 4
	v_sub_u32_e32 v5, 29, v49
	v_and_b32_e32 v4, 7, v4
	v_cmp_gt_u32_e64 s[18:19], 8, v29
	v_cndmask_b32_e64 v5, v48, v5, s[18:19]
	v_cndmask_b32_e64 v4, v25, v4, s[18:19]
	v_lshlrev_b32_e32 v24, 24, v24
	v_lshlrev_b32_e32 v4, 20, v4
	v_and_b32_e32 v24, 0x80000000, v24
	v_lshl_add_u32 v5, v5, 23, v62
	v_or3_b32 v4, v24, v5, v4
	v_cmp_ne_u32_e64 s[18:19], s50, v29
	v_mov_b32_e32 v49, 0x78
	v_cndmask_b32_e64 v4, v56, v4, s[18:19]
.LBB4_3267:                             ;   in Loop: Header=BB4_3091 Depth=2
	s_or_b64 exec, exec, s[20:21]
	v_add_f32_e32 v4, v2, v4
	v_and_b32_e32 v50, 0x7f800000, v4
	v_cmp_ne_u64_e64 s[18:19], s[46:47], v[50:51]
                                        ; implicit-def: $vgpr40
	s_and_saveexec_b64 s[20:21], s[18:19]
	s_xor_b64 s[88:89], exec, s[20:21]
	s_cbranch_execz .LBB4_3281
; %bb.3268:                             ;   in Loop: Header=BB4_3091 Depth=2
	v_and_b32_e32 v50, 0x7fffffff, v4
	v_cmp_gt_u64_e64 s[18:19], s[56:57], v[50:51]
	v_and_b32_sdwa v2, v4, s49 dst_sel:DWORD dst_unused:UNUSED_PAD src0_sel:BYTE_3 src1_sel:DWORD
                                        ; implicit-def: $vgpr40
	s_and_saveexec_b64 s[20:21], s[18:19]
	s_xor_b64 s[90:91], exec, s[20:21]
	s_cbranch_execz .LBB4_3278
; %bb.3269:                             ;   in Loop: Header=BB4_3091 Depth=2
	v_mov_b32_e32 v40, 0
	v_cmp_ne_u32_e64 s[18:19], 0, v4
	s_and_saveexec_b64 s[92:93], s[18:19]
	s_cbranch_execz .LBB4_3277
; %bb.3270:                             ;   in Loop: Header=BB4_3091 Depth=2
	v_and_b32_e32 v24, 0x7fffff, v4
	v_bfe_u32 v4, v4, 23, 8
	v_cmp_gt_u32_e64 s[20:21], s51, v4
	v_sub_u32_e32 v5, 0x79, v4
	v_cmp_eq_u32_e64 s[18:19], 0, v4
	v_cndmask_b32_e64 v5, 0, v5, s[20:21]
	v_or_b32_e32 v25, 0x800000, v24
	v_cndmask_b32_e64 v5, v5, v49, s[18:19]
	v_cndmask_b32_e64 v50, v25, v24, s[18:19]
	v_add_u32_e32 v24, 20, v5
	v_lshlrev_b64 v[24:25], v24, -1
	v_add_u32_e32 v29, 19, v5
	v_lshlrev_b64 v[48:49], v29, 1
	v_bfi_b32 v25, v25, 0, 0
	v_bfi_b32 v24, v24, 0, v50
	v_cmp_eq_u64_e64 s[20:21], v[24:25], v[48:49]
	v_lshrrev_b64 v[24:25], v5, v[50:51]
	v_mov_b32_e32 v45, v25
	v_mov_b32_e32 v44, v24
	s_and_saveexec_b64 s[94:95], s[20:21]
; %bb.3271:                             ;   in Loop: Header=BB4_3091 Depth=2
	v_bfe_u32 v25, v24, 20, 1
	v_add_co_u32_e64 v25, s[20:21], v24, v25
	v_add_co_u32_e64 v44, s[20:21], -1, v25
; %bb.3272:                             ;   in Loop: Header=BB4_3091 Depth=2
	s_or_b64 exec, exec, s[94:95]
	v_add_u32_e32 v4, 0xffffff81, v4
	v_mov_b32_e32 v25, 0xffffff82
	v_cndmask_b32_e64 v4, v4, v25, s[18:19]
	v_lshrrev_b32_e32 v25, 23, v24
	v_add3_u32 v29, v5, v4, v25
	v_add_u32_e32 v5, 6, v29
	v_and_b32_e32 v4, 0xfffff, v44
	v_add_u32_e32 v50, v4, v24
	v_cmp_ne_u32_e64 s[18:19], 0, v5
                                        ; implicit-def: $vgpr24_vgpr25
                                        ; implicit-def: $vgpr4
	s_and_saveexec_b64 s[20:21], s[18:19]
	s_xor_b64 s[20:21], exec, s[20:21]
; %bb.3273:                             ;   in Loop: Header=BB4_3091 Depth=2
	v_cmp_lt_u64_e64 s[18:19], s[58:59], v[50:51]
	v_add_u32_e32 v4, 7, v29
	v_cndmask_b32_e64 v4, v5, v4, s[18:19]
	v_cndmask_b32_e64 v5, 0, 1, s[18:19]
	v_lshrrev_b64 v[24:25], v5, v[50:51]
; %bb.3274:                             ;   in Loop: Header=BB4_3091 Depth=2
	s_or_saveexec_b64 s[18:19], s[20:21]
	v_mov_b32_e32 v49, 0x78
	s_xor_b64 exec, exec, s[18:19]
; %bb.3275:                             ;   in Loop: Header=BB4_3091 Depth=2
	v_mov_b32_e32 v24, v50
	v_bfe_u32 v4, v50, 23, 1
	v_mov_b32_e32 v25, v51
; %bb.3276:                             ;   in Loop: Header=BB4_3091 Depth=2
	s_or_b64 exec, exec, s[18:19]
	v_lshrrev_b64 v[24:25], 20, v[24:25]
	v_cmp_gt_i32_e64 s[18:19], 16, v4
	v_cndmask_b32_e64 v25, 0, v25, s[18:19]
	v_cndmask_b32_e64 v24, 7, v24, s[18:19]
	v_cmp_eq_u32_e64 s[18:19], 0, v4
	v_min_i32_e32 v4, 15, v4
	v_cmp_eq_u64_e64 s[20:21], 0, v[24:25]
	v_lshlrev_b32_e32 v4, 3, v4
	v_and_b32_e32 v4, 0xf8, v4
	v_and_or_b32 v4, v24, 7, v4
	s_and_b64 s[18:19], s[18:19], s[20:21]
	v_cndmask_b32_e64 v4, v4, 0, s[18:19]
	v_or_b32_e32 v40, v4, v2
.LBB4_3277:                             ;   in Loop: Header=BB4_3091 Depth=2
	s_or_b64 exec, exec, s[92:93]
                                        ; implicit-def: $vgpr2
.LBB4_3278:                             ;   in Loop: Header=BB4_3091 Depth=2
	s_andn2_saveexec_b64 s[18:19], s[90:91]
; %bb.3279:                             ;   in Loop: Header=BB4_3091 Depth=2
	v_or_b32_e32 v40, 0x7e, v2
; %bb.3280:                             ;   in Loop: Header=BB4_3091 Depth=2
	s_or_b64 exec, exec, s[18:19]
                                        ; implicit-def: $vgpr4
.LBB4_3281:                             ;   in Loop: Header=BB4_3091 Depth=2
	s_andn2_saveexec_b64 s[18:19], s[88:89]
; %bb.3282:                             ;   in Loop: Header=BB4_3091 Depth=2
	v_or_b32_sdwa v40, v4, s50 dst_sel:DWORD dst_unused:UNUSED_PAD src0_sel:BYTE_3 src1_sel:DWORD
; %bb.3283:                             ;   in Loop: Header=BB4_3091 Depth=2
	s_or_b64 exec, exec, s[18:19]
	v_cmp_lt_u64_e64 s[18:19], s[60:61], v[14:15]
	v_mov_b32_e32 v2, 0
	s_and_saveexec_b64 s[20:21], s[18:19]
	s_cbranch_execz .LBB4_3289
; %bb.3284:                             ;   in Loop: Header=BB4_3091 Depth=2
	v_lshrrev_b32_e32 v14, 24, v15
	v_cmp_ne_u32_e64 s[18:19], s49, v14
	v_bfrev_b32_e32 v2, 1
	s_and_saveexec_b64 s[88:89], s[18:19]
	s_cbranch_execz .LBB4_3288
; %bb.3285:                             ;   in Loop: Header=BB4_3091 Depth=2
	v_bfe_u32 v4, v15, 24, 7
	v_cmp_ne_u32_e64 s[18:19], s50, v4
	v_mov_b32_e32 v2, 0x7f800001
	s_and_saveexec_b64 s[90:91], s[18:19]
	s_cbranch_execz .LBB4_3287
; %bb.3286:                             ;   in Loop: Header=BB4_3091 Depth=2
	v_and_b32_e32 v2, 7, v14
	v_lshrrev_b32_e32 v15, 3, v4
	v_cmp_gt_u32_e64 s[18:19], 8, v4
	v_ffbh_u32_e32 v4, v2
	v_min_u32_e32 v24, 32, v4
	v_subrev_u32_e32 v4, 28, v24
	v_lshlrev_b64 v[4:5], v4, v[14:15]
	v_sub_u32_e32 v5, 29, v24
	v_and_b32_e32 v4, 7, v4
	v_cndmask_b32_e64 v5, v15, v5, s[18:19]
	v_cndmask_b32_e64 v2, v2, v4, s[18:19]
	v_lshlrev_b32_e32 v4, 24, v14
	v_lshlrev_b32_e32 v2, 20, v2
	v_and_b32_e32 v4, 0x80000000, v4
	v_lshl_add_u32 v5, v5, 23, v62
	v_or3_b32 v2, v4, v5, v2
.LBB4_3287:                             ;   in Loop: Header=BB4_3091 Depth=2
	s_or_b64 exec, exec, s[90:91]
.LBB4_3288:                             ;   in Loop: Header=BB4_3091 Depth=2
	s_or_b64 exec, exec, s[88:89]
.LBB4_3289:                             ;   in Loop: Header=BB4_3091 Depth=2
	s_or_b64 exec, exec, s[20:21]
	v_bfe_u32 v5, v11, 24, 3
	v_ffbh_u32_e32 v14, v5
	v_min_u32_e32 v29, 32, v14
	v_lshrrev_b32_e32 v4, 24, v11
	v_subrev_u32_e32 v14, 28, v29
	v_lshlrev_b64 v[14:15], v14, v[4:5]
	v_bfe_u32 v24, v11, 24, 7
	v_bfe_u32 v25, v4, 3, 4
	v_sub_u32_e32 v15, 29, v29
	v_and_b32_e32 v14, 7, v14
	v_cmp_gt_u32_e64 s[18:19], 8, v24
	v_cndmask_b32_e64 v15, v25, v15, s[18:19]
	v_cndmask_b32_e64 v5, v5, v14, s[18:19]
	v_lshlrev_b32_e32 v5, 20, v5
	v_and_b32_e32 v14, 0x80000000, v11
	v_lshl_add_u32 v15, v15, 23, v62
	v_or3_b32 v5, v14, v15, v5
	v_cmp_ne_u32_e64 s[18:19], s50, v24
	v_cndmask_b32_e64 v5, v56, v5, s[18:19]
	v_cmp_ne_u32_e64 s[18:19], s49, v4
	v_bfrev_b32_e32 v4, 1
	v_cndmask_b32_e64 v4, v4, v5, s[18:19]
	v_cmp_lt_u64_e64 s[18:19], s[60:61], v[10:11]
                                        ; implicit-def: $vgpr41
	v_cndmask_b32_e64 v4, 0, v4, s[18:19]
	v_add_f32_e32 v4, v4, v2
	v_and_b32_e32 v50, 0x7f800000, v4
	v_cmp_ne_u64_e64 s[18:19], s[46:47], v[50:51]
	s_and_saveexec_b64 s[20:21], s[18:19]
	s_xor_b64 s[88:89], exec, s[20:21]
	s_cbranch_execz .LBB4_3303
; %bb.3290:                             ;   in Loop: Header=BB4_3091 Depth=2
	v_and_b32_e32 v50, 0x7fffffff, v4
	v_cmp_gt_u64_e64 s[18:19], s[56:57], v[50:51]
	v_and_b32_sdwa v2, v4, s49 dst_sel:DWORD dst_unused:UNUSED_PAD src0_sel:BYTE_3 src1_sel:DWORD
                                        ; implicit-def: $vgpr41
	s_and_saveexec_b64 s[20:21], s[18:19]
	s_xor_b64 s[90:91], exec, s[20:21]
	s_cbranch_execz .LBB4_3300
; %bb.3291:                             ;   in Loop: Header=BB4_3091 Depth=2
	v_mov_b32_e32 v41, 0
	v_cmp_ne_u32_e64 s[18:19], 0, v4
	s_and_saveexec_b64 s[92:93], s[18:19]
	s_cbranch_execz .LBB4_3299
; %bb.3292:                             ;   in Loop: Header=BB4_3091 Depth=2
	v_and_b32_e32 v10, 0x7fffff, v4
	v_bfe_u32 v4, v4, 23, 8
	v_cmp_gt_u32_e64 s[20:21], s51, v4
	v_sub_u32_e32 v5, 0x79, v4
	v_cmp_eq_u32_e64 s[18:19], 0, v4
	v_cndmask_b32_e64 v5, 0, v5, s[20:21]
	v_or_b32_e32 v11, 0x800000, v10
	v_cndmask_b32_e64 v5, v5, v49, s[18:19]
	v_cndmask_b32_e64 v50, v11, v10, s[18:19]
	v_add_u32_e32 v10, 20, v5
	v_lshlrev_b64 v[10:11], v10, -1
	v_add_u32_e32 v14, 19, v5
	v_lshlrev_b64 v[14:15], v14, 1
	v_bfi_b32 v11, v11, 0, 0
	v_bfi_b32 v10, v10, 0, v50
	v_cmp_eq_u64_e64 s[20:21], v[10:11], v[14:15]
	v_lshrrev_b64 v[10:11], v5, v[50:51]
	v_mov_b32_e32 v15, v11
	v_mov_b32_e32 v14, v10
	s_and_saveexec_b64 s[94:95], s[20:21]
; %bb.3293:                             ;   in Loop: Header=BB4_3091 Depth=2
	v_bfe_u32 v11, v10, 20, 1
	v_add_co_u32_e64 v11, s[20:21], v10, v11
	v_add_co_u32_e64 v14, s[20:21], -1, v11
; %bb.3294:                             ;   in Loop: Header=BB4_3091 Depth=2
	s_or_b64 exec, exec, s[94:95]
	v_add_u32_e32 v4, 0xffffff81, v4
	v_mov_b32_e32 v11, 0xffffff82
	v_cndmask_b32_e64 v4, v4, v11, s[18:19]
	v_lshrrev_b32_e32 v11, 23, v10
	v_add3_u32 v15, v5, v4, v11
	v_add_u32_e32 v5, 6, v15
	v_and_b32_e32 v4, 0xfffff, v14
	v_add_u32_e32 v50, v4, v10
	v_cmp_ne_u32_e64 s[18:19], 0, v5
                                        ; implicit-def: $vgpr10_vgpr11
                                        ; implicit-def: $vgpr4
	s_and_saveexec_b64 s[20:21], s[18:19]
	s_xor_b64 s[20:21], exec, s[20:21]
; %bb.3295:                             ;   in Loop: Header=BB4_3091 Depth=2
	v_cmp_lt_u64_e64 s[18:19], s[58:59], v[50:51]
	v_add_u32_e32 v4, 7, v15
	v_cndmask_b32_e64 v4, v5, v4, s[18:19]
	v_cndmask_b32_e64 v5, 0, 1, s[18:19]
	v_lshrrev_b64 v[10:11], v5, v[50:51]
; %bb.3296:                             ;   in Loop: Header=BB4_3091 Depth=2
	s_andn2_saveexec_b64 s[18:19], s[20:21]
; %bb.3297:                             ;   in Loop: Header=BB4_3091 Depth=2
	v_mov_b32_e32 v10, v50
	v_bfe_u32 v4, v50, 23, 1
	v_mov_b32_e32 v11, v51
; %bb.3298:                             ;   in Loop: Header=BB4_3091 Depth=2
	s_or_b64 exec, exec, s[18:19]
	v_lshrrev_b64 v[10:11], 20, v[10:11]
	v_cmp_gt_i32_e64 s[18:19], 16, v4
	v_cndmask_b32_e64 v11, 0, v11, s[18:19]
	v_cndmask_b32_e64 v10, 7, v10, s[18:19]
	v_cmp_eq_u32_e64 s[18:19], 0, v4
	v_min_i32_e32 v4, 15, v4
	v_cmp_eq_u64_e64 s[20:21], 0, v[10:11]
	v_lshlrev_b32_e32 v4, 3, v4
	v_and_b32_e32 v4, 0xf8, v4
	v_and_or_b32 v4, v10, 7, v4
	s_and_b64 s[18:19], s[18:19], s[20:21]
	v_cndmask_b32_e64 v4, v4, 0, s[18:19]
	v_or_b32_e32 v41, v4, v2
.LBB4_3299:                             ;   in Loop: Header=BB4_3091 Depth=2
	s_or_b64 exec, exec, s[92:93]
                                        ; implicit-def: $vgpr2
.LBB4_3300:                             ;   in Loop: Header=BB4_3091 Depth=2
	s_andn2_saveexec_b64 s[18:19], s[90:91]
; %bb.3301:                             ;   in Loop: Header=BB4_3091 Depth=2
	v_or_b32_e32 v41, 0x7e, v2
; %bb.3302:                             ;   in Loop: Header=BB4_3091 Depth=2
	s_or_b64 exec, exec, s[18:19]
                                        ; implicit-def: $vgpr4
.LBB4_3303:                             ;   in Loop: Header=BB4_3091 Depth=2
	s_andn2_saveexec_b64 s[18:19], s[88:89]
; %bb.3304:                             ;   in Loop: Header=BB4_3091 Depth=2
	v_or_b32_sdwa v41, v4, s50 dst_sel:DWORD dst_unused:UNUSED_PAD src0_sel:BYTE_3 src1_sel:DWORD
; %bb.3305:                             ;   in Loop: Header=BB4_3091 Depth=2
	s_or_b64 exec, exec, s[18:19]
	v_cmp_ne_u16_sdwa s[18:19], v16, v51 src0_sel:BYTE_0 src1_sel:DWORD
	v_mov_b32_e32 v2, 0
	s_and_saveexec_b64 s[20:21], s[18:19]
	s_cbranch_execz .LBB4_3311
; %bb.3306:                             ;   in Loop: Header=BB4_3091 Depth=2
	v_cmp_ne_u16_sdwa s[18:19], v16, s49 src0_sel:BYTE_0 src1_sel:DWORD
	v_bfrev_b32_e32 v2, 1
	s_and_saveexec_b64 s[88:89], s[18:19]
	s_cbranch_execz .LBB4_3310
; %bb.3307:                             ;   in Loop: Header=BB4_3091 Depth=2
	v_and_b32_e32 v4, 0x7f, v16
	v_cmp_ne_u32_e64 s[18:19], s50, v4
	v_mov_b32_e32 v2, 0x7f800001
	s_and_saveexec_b64 s[90:91], s[18:19]
	s_cbranch_execz .LBB4_3309
; %bb.3308:                             ;   in Loop: Header=BB4_3091 Depth=2
	v_and_b32_e32 v2, 7, v16
	v_ffbh_u32_e32 v2, v2
	v_min_u32_e32 v2, 32, v2
	v_lshrrev_b32_e32 v5, 3, v4
	v_cmp_gt_u32_e64 s[18:19], 8, v4
	v_subrev_u32_e32 v4, 28, v2
	v_sub_u32_e32 v2, 29, v2
	v_cndmask_b32_e64 v4, 0, v4, s[18:19]
	v_cndmask_b32_e64 v2, v5, v2, s[18:19]
	v_lshlrev_b64 v[4:5], v4, v[16:17]
	v_lshlrev_b32_e32 v5, 24, v16
	v_lshlrev_b32_e32 v4, 20, v4
	v_and_b32_e32 v4, 0x700000, v4
	v_and_b32_e32 v5, 0x80000000, v5
	v_lshl_add_u32 v2, v2, 23, v62
	v_or3_b32 v2, v5, v2, v4
.LBB4_3309:                             ;   in Loop: Header=BB4_3091 Depth=2
	s_or_b64 exec, exec, s[90:91]
.LBB4_3310:                             ;   in Loop: Header=BB4_3091 Depth=2
	s_or_b64 exec, exec, s[88:89]
.LBB4_3311:                             ;   in Loop: Header=BB4_3091 Depth=2
	s_or_b64 exec, exec, s[20:21]
	v_cmp_gt_i16_sdwa s[20:21], v12, s50 src0_sel:BYTE_0 src1_sel:DWORD
	s_mov_b64 s[18:19], 0
	s_and_saveexec_b64 s[88:89], s[20:21]
	s_xor_b64 s[20:21], exec, s[88:89]
	s_cbranch_execz .LBB4_3529
; %bb.3312:                             ;   in Loop: Header=BB4_3091 Depth=2
	v_cmp_eq_u16_sdwa s[90:91], v12, s49 src0_sel:BYTE_0 src1_sel:DWORD
	s_mov_b64 s[18:19], -1
	s_and_saveexec_b64 s[88:89], s[90:91]
; %bb.3313:                             ;   in Loop: Header=BB4_3091 Depth=2
	s_xor_b64 s[18:19], exec, -1
; %bb.3314:                             ;   in Loop: Header=BB4_3091 Depth=2
	s_or_b64 exec, exec, s[88:89]
	s_and_b64 s[18:19], s[18:19], exec
	s_or_saveexec_b64 s[20:21], s[20:21]
	v_bfrev_b32_e32 v4, 1
	s_xor_b64 exec, exec, s[20:21]
	s_cbranch_execnz .LBB4_3530
.LBB4_3315:                             ;   in Loop: Header=BB4_3091 Depth=2
	s_or_b64 exec, exec, s[20:21]
	s_and_saveexec_b64 s[20:21], s[18:19]
	s_cbranch_execz .LBB4_3317
.LBB4_3316:                             ;   in Loop: Header=BB4_3091 Depth=2
	v_and_b32_e32 v4, 7, v12
	v_ffbh_u32_e32 v4, v4
	v_and_b32_e32 v10, 0x7f, v12
	v_min_u32_e32 v4, 32, v4
	v_bfe_u32 v5, v12, 3, 4
	v_subrev_u32_e32 v11, 28, v4
	v_sub_u32_e32 v4, 29, v4
	v_cmp_gt_u32_e64 s[18:19], 8, v10
	v_cndmask_b32_e64 v14, v5, v4, s[18:19]
	v_cndmask_b32_e64 v4, 0, v11, s[18:19]
	v_lshlrev_b64 v[4:5], v4, v[12:13]
	v_lshlrev_b32_e32 v5, 24, v12
	v_lshlrev_b32_e32 v4, 20, v4
	v_and_b32_e32 v4, 0x700000, v4
	v_and_b32_e32 v5, 0x80000000, v5
	v_lshl_add_u32 v11, v14, 23, v62
	v_or3_b32 v4, v5, v11, v4
	v_cmp_ne_u32_e64 s[18:19], s50, v10
	v_cndmask_b32_e64 v4, v56, v4, s[18:19]
.LBB4_3317:                             ;   in Loop: Header=BB4_3091 Depth=2
	s_or_b64 exec, exec, s[20:21]
	v_add_f32_e32 v4, v2, v4
	v_and_b32_e32 v50, 0x7f800000, v4
	v_cmp_ne_u64_e64 s[18:19], s[46:47], v[50:51]
                                        ; implicit-def: $vgpr42
	s_and_saveexec_b64 s[20:21], s[18:19]
	s_xor_b64 s[88:89], exec, s[20:21]
	s_cbranch_execz .LBB4_3331
; %bb.3318:                             ;   in Loop: Header=BB4_3091 Depth=2
	v_and_b32_e32 v50, 0x7fffffff, v4
	v_cmp_gt_u64_e64 s[18:19], s[56:57], v[50:51]
	v_and_b32_sdwa v2, v4, s49 dst_sel:DWORD dst_unused:UNUSED_PAD src0_sel:BYTE_3 src1_sel:DWORD
                                        ; implicit-def: $vgpr42
	s_and_saveexec_b64 s[20:21], s[18:19]
	s_xor_b64 s[90:91], exec, s[20:21]
	s_cbranch_execz .LBB4_3328
; %bb.3319:                             ;   in Loop: Header=BB4_3091 Depth=2
	v_mov_b32_e32 v42, 0
	v_cmp_ne_u32_e64 s[18:19], 0, v4
	s_and_saveexec_b64 s[92:93], s[18:19]
	s_cbranch_execz .LBB4_3327
; %bb.3320:                             ;   in Loop: Header=BB4_3091 Depth=2
	v_and_b32_e32 v10, 0x7fffff, v4
	v_bfe_u32 v4, v4, 23, 8
	v_cmp_gt_u32_e64 s[20:21], s51, v4
	v_sub_u32_e32 v5, 0x79, v4
	v_cmp_eq_u32_e64 s[18:19], 0, v4
	v_cndmask_b32_e64 v5, 0, v5, s[20:21]
	v_or_b32_e32 v11, 0x800000, v10
	v_cndmask_b32_e64 v5, v5, v49, s[18:19]
	v_cndmask_b32_e64 v50, v11, v10, s[18:19]
	v_add_u32_e32 v10, 20, v5
	v_lshlrev_b64 v[10:11], v10, -1
	v_add_u32_e32 v14, 19, v5
	v_lshlrev_b64 v[14:15], v14, 1
	v_bfi_b32 v11, v11, 0, 0
	v_bfi_b32 v10, v10, 0, v50
	v_cmp_eq_u64_e64 s[20:21], v[10:11], v[14:15]
	v_lshrrev_b64 v[10:11], v5, v[50:51]
	v_mov_b32_e32 v15, v11
	v_mov_b32_e32 v14, v10
	s_and_saveexec_b64 s[94:95], s[20:21]
; %bb.3321:                             ;   in Loop: Header=BB4_3091 Depth=2
	v_bfe_u32 v11, v10, 20, 1
	v_add_co_u32_e64 v11, s[20:21], v10, v11
	v_add_co_u32_e64 v14, s[20:21], -1, v11
; %bb.3322:                             ;   in Loop: Header=BB4_3091 Depth=2
	s_or_b64 exec, exec, s[94:95]
	v_add_u32_e32 v4, 0xffffff81, v4
	v_mov_b32_e32 v11, 0xffffff82
	v_cndmask_b32_e64 v4, v4, v11, s[18:19]
	v_lshrrev_b32_e32 v11, 23, v10
	v_add3_u32 v15, v5, v4, v11
	v_add_u32_e32 v5, 6, v15
	v_and_b32_e32 v4, 0xfffff, v14
	v_add_u32_e32 v50, v4, v10
	v_cmp_ne_u32_e64 s[18:19], 0, v5
                                        ; implicit-def: $vgpr10_vgpr11
                                        ; implicit-def: $vgpr4
	s_and_saveexec_b64 s[20:21], s[18:19]
	s_xor_b64 s[20:21], exec, s[20:21]
; %bb.3323:                             ;   in Loop: Header=BB4_3091 Depth=2
	v_cmp_lt_u64_e64 s[18:19], s[58:59], v[50:51]
	v_add_u32_e32 v4, 7, v15
	v_cndmask_b32_e64 v4, v5, v4, s[18:19]
	v_cndmask_b32_e64 v5, 0, 1, s[18:19]
	v_lshrrev_b64 v[10:11], v5, v[50:51]
; %bb.3324:                             ;   in Loop: Header=BB4_3091 Depth=2
	s_andn2_saveexec_b64 s[18:19], s[20:21]
; %bb.3325:                             ;   in Loop: Header=BB4_3091 Depth=2
	v_mov_b32_e32 v10, v50
	v_bfe_u32 v4, v50, 23, 1
	v_mov_b32_e32 v11, v51
; %bb.3326:                             ;   in Loop: Header=BB4_3091 Depth=2
	s_or_b64 exec, exec, s[18:19]
	v_lshrrev_b64 v[10:11], 20, v[10:11]
	v_cmp_gt_i32_e64 s[18:19], 16, v4
	v_cndmask_b32_e64 v11, 0, v11, s[18:19]
	v_cndmask_b32_e64 v10, 7, v10, s[18:19]
	v_cmp_eq_u32_e64 s[18:19], 0, v4
	v_min_i32_e32 v4, 15, v4
	v_cmp_eq_u64_e64 s[20:21], 0, v[10:11]
	v_lshlrev_b32_e32 v4, 3, v4
	v_and_b32_e32 v4, 0xf8, v4
	v_and_or_b32 v4, v10, 7, v4
	s_and_b64 s[18:19], s[18:19], s[20:21]
	v_cndmask_b32_e64 v4, v4, 0, s[18:19]
	v_or_b32_e32 v42, v4, v2
.LBB4_3327:                             ;   in Loop: Header=BB4_3091 Depth=2
	s_or_b64 exec, exec, s[92:93]
                                        ; implicit-def: $vgpr2
.LBB4_3328:                             ;   in Loop: Header=BB4_3091 Depth=2
	s_andn2_saveexec_b64 s[18:19], s[90:91]
; %bb.3329:                             ;   in Loop: Header=BB4_3091 Depth=2
	v_or_b32_e32 v42, 0x7e, v2
; %bb.3330:                             ;   in Loop: Header=BB4_3091 Depth=2
	s_or_b64 exec, exec, s[18:19]
                                        ; implicit-def: $vgpr4
.LBB4_3331:                             ;   in Loop: Header=BB4_3091 Depth=2
	s_andn2_saveexec_b64 s[18:19], s[88:89]
; %bb.3332:                             ;   in Loop: Header=BB4_3091 Depth=2
	v_or_b32_sdwa v42, v4, s50 dst_sel:DWORD dst_unused:UNUSED_PAD src0_sel:BYTE_3 src1_sel:DWORD
; %bb.3333:                             ;   in Loop: Header=BB4_3091 Depth=2
	s_or_b64 exec, exec, s[18:19]
	v_lshrrev_b16_e32 v10, 8, v16
	v_cmp_ne_u16_e64 s[18:19], 0, v10
	v_mov_b32_e32 v2, 0
	s_and_saveexec_b64 s[20:21], s[18:19]
	s_cbranch_execz .LBB4_3339
; %bb.3334:                             ;   in Loop: Header=BB4_3091 Depth=2
	v_cmp_ne_u16_e64 s[18:19], s49, v10
	v_bfrev_b32_e32 v2, 1
	s_and_saveexec_b64 s[88:89], s[18:19]
	s_cbranch_execz .LBB4_3338
; %bb.3335:                             ;   in Loop: Header=BB4_3091 Depth=2
	v_and_b32_e32 v4, 0x7f, v10
	v_cmp_ne_u32_e64 s[18:19], s50, v4
	v_mov_b32_e32 v2, 0x7f800001
	s_and_saveexec_b64 s[90:91], s[18:19]
	s_cbranch_execz .LBB4_3337
; %bb.3336:                             ;   in Loop: Header=BB4_3091 Depth=2
	v_and_b32_e32 v2, 7, v10
	v_lshrrev_b32_e32 v11, 3, v4
	v_cmp_gt_u32_e64 s[18:19], 8, v4
	v_ffbh_u32_e32 v4, v2
	v_min_u32_e32 v14, 32, v4
	v_subrev_u32_e32 v4, 28, v14
	v_lshlrev_b64 v[4:5], v4, v[10:11]
	v_sub_u32_e32 v5, 29, v14
	v_and_b32_e32 v4, 7, v4
	v_cndmask_b32_e64 v5, v11, v5, s[18:19]
	v_cndmask_b32_e64 v2, v2, v4, s[18:19]
	v_lshlrev_b32_e32 v4, 16, v16
	v_lshlrev_b32_e32 v2, 20, v2
	v_and_b32_e32 v4, 0x80000000, v4
	v_lshl_add_u32 v5, v5, 23, v62
	v_or3_b32 v2, v4, v5, v2
.LBB4_3337:                             ;   in Loop: Header=BB4_3091 Depth=2
	s_or_b64 exec, exec, s[90:91]
.LBB4_3338:                             ;   in Loop: Header=BB4_3091 Depth=2
	s_or_b64 exec, exec, s[88:89]
.LBB4_3339:                             ;   in Loop: Header=BB4_3091 Depth=2
	s_or_b64 exec, exec, s[20:21]
	v_lshrrev_b16_e32 v50, 8, v12
	v_cmp_lt_i16_e64 s[18:19], s50, v50
	s_mov_b64 s[20:21], 0
	s_and_saveexec_b64 s[88:89], s[18:19]
	s_xor_b64 s[88:89], exec, s[88:89]
	s_cbranch_execz .LBB4_3531
; %bb.3340:                             ;   in Loop: Header=BB4_3091 Depth=2
	v_cmp_eq_u16_e64 s[18:19], s49, v50
	s_mov_b64 s[20:21], -1
	s_and_saveexec_b64 s[90:91], s[18:19]
; %bb.3341:                             ;   in Loop: Header=BB4_3091 Depth=2
	s_xor_b64 s[20:21], exec, -1
; %bb.3342:                             ;   in Loop: Header=BB4_3091 Depth=2
	s_or_b64 exec, exec, s[90:91]
	s_and_b64 s[20:21], s[20:21], exec
	s_or_saveexec_b64 s[88:89], s[88:89]
	v_bfrev_b32_e32 v4, 1
	s_xor_b64 exec, exec, s[88:89]
	s_cbranch_execnz .LBB4_3532
.LBB4_3343:                             ;   in Loop: Header=BB4_3091 Depth=2
	s_or_b64 exec, exec, s[88:89]
	s_and_saveexec_b64 s[88:89], s[20:21]
	s_cbranch_execz .LBB4_3345
.LBB4_3344:                             ;   in Loop: Header=BB4_3091 Depth=2
	v_and_b32_e32 v10, 7, v50
	v_ffbh_u32_e32 v4, v10
	v_min_u32_e32 v15, 32, v4
	v_subrev_u32_e32 v4, 28, v15
	v_lshlrev_b64 v[4:5], v4, v[50:51]
	v_and_b32_e32 v11, 0x7f, v50
	v_bfe_u32 v14, v50, 3, 4
	v_sub_u32_e32 v5, 29, v15
	v_and_b32_e32 v4, 7, v4
	v_cmp_gt_u32_e64 s[18:19], 8, v11
	v_cndmask_b32_e64 v5, v14, v5, s[18:19]
	v_cndmask_b32_e64 v4, v10, v4, s[18:19]
	v_lshlrev_b32_e32 v10, 24, v50
	v_lshlrev_b32_e32 v4, 20, v4
	v_and_b32_e32 v10, 0x80000000, v10
	v_lshl_add_u32 v5, v5, 23, v62
	v_or3_b32 v4, v10, v5, v4
	v_cmp_ne_u32_e64 s[18:19], s50, v11
	v_cndmask_b32_e64 v4, v56, v4, s[18:19]
.LBB4_3345:                             ;   in Loop: Header=BB4_3091 Depth=2
	s_or_b64 exec, exec, s[88:89]
	v_add_f32_e32 v4, v2, v4
	v_and_b32_e32 v50, 0x7f800000, v4
	v_cmp_ne_u64_e64 s[18:19], s[46:47], v[50:51]
                                        ; implicit-def: $vgpr43
	s_and_saveexec_b64 s[20:21], s[18:19]
	s_xor_b64 s[88:89], exec, s[20:21]
	s_cbranch_execz .LBB4_3359
; %bb.3346:                             ;   in Loop: Header=BB4_3091 Depth=2
	v_and_b32_e32 v50, 0x7fffffff, v4
	v_cmp_gt_u64_e64 s[18:19], s[56:57], v[50:51]
	v_and_b32_sdwa v2, v4, s49 dst_sel:DWORD dst_unused:UNUSED_PAD src0_sel:BYTE_3 src1_sel:DWORD
                                        ; implicit-def: $vgpr43
	s_and_saveexec_b64 s[20:21], s[18:19]
	s_xor_b64 s[90:91], exec, s[20:21]
	s_cbranch_execz .LBB4_3356
; %bb.3347:                             ;   in Loop: Header=BB4_3091 Depth=2
	v_mov_b32_e32 v43, 0
	v_cmp_ne_u32_e64 s[18:19], 0, v4
	s_and_saveexec_b64 s[92:93], s[18:19]
	s_cbranch_execz .LBB4_3355
; %bb.3348:                             ;   in Loop: Header=BB4_3091 Depth=2
	v_and_b32_e32 v10, 0x7fffff, v4
	v_bfe_u32 v4, v4, 23, 8
	v_cmp_gt_u32_e64 s[20:21], s51, v4
	v_sub_u32_e32 v5, 0x79, v4
	v_cmp_eq_u32_e64 s[18:19], 0, v4
	v_cndmask_b32_e64 v5, 0, v5, s[20:21]
	v_or_b32_e32 v11, 0x800000, v10
	v_cndmask_b32_e64 v5, v5, v49, s[18:19]
	v_cndmask_b32_e64 v50, v11, v10, s[18:19]
	v_add_u32_e32 v10, 20, v5
	v_lshlrev_b64 v[10:11], v10, -1
	v_add_u32_e32 v14, 19, v5
	v_lshlrev_b64 v[14:15], v14, 1
	v_bfi_b32 v11, v11, 0, 0
	v_bfi_b32 v10, v10, 0, v50
	v_cmp_eq_u64_e64 s[20:21], v[10:11], v[14:15]
	v_lshrrev_b64 v[10:11], v5, v[50:51]
	v_mov_b32_e32 v15, v11
	v_mov_b32_e32 v14, v10
	s_and_saveexec_b64 s[94:95], s[20:21]
; %bb.3349:                             ;   in Loop: Header=BB4_3091 Depth=2
	v_bfe_u32 v11, v10, 20, 1
	v_add_co_u32_e64 v11, s[20:21], v10, v11
	v_add_co_u32_e64 v14, s[20:21], -1, v11
; %bb.3350:                             ;   in Loop: Header=BB4_3091 Depth=2
	s_or_b64 exec, exec, s[94:95]
	v_add_u32_e32 v4, 0xffffff81, v4
	v_mov_b32_e32 v11, 0xffffff82
	v_cndmask_b32_e64 v4, v4, v11, s[18:19]
	v_lshrrev_b32_e32 v11, 23, v10
	v_add3_u32 v15, v5, v4, v11
	v_add_u32_e32 v5, 6, v15
	v_and_b32_e32 v4, 0xfffff, v14
	v_add_u32_e32 v50, v4, v10
	v_cmp_ne_u32_e64 s[18:19], 0, v5
                                        ; implicit-def: $vgpr10_vgpr11
                                        ; implicit-def: $vgpr4
	s_and_saveexec_b64 s[20:21], s[18:19]
	s_xor_b64 s[20:21], exec, s[20:21]
; %bb.3351:                             ;   in Loop: Header=BB4_3091 Depth=2
	v_cmp_lt_u64_e64 s[18:19], s[58:59], v[50:51]
	v_add_u32_e32 v4, 7, v15
	v_cndmask_b32_e64 v4, v5, v4, s[18:19]
	v_cndmask_b32_e64 v5, 0, 1, s[18:19]
	v_lshrrev_b64 v[10:11], v5, v[50:51]
; %bb.3352:                             ;   in Loop: Header=BB4_3091 Depth=2
	s_andn2_saveexec_b64 s[18:19], s[20:21]
; %bb.3353:                             ;   in Loop: Header=BB4_3091 Depth=2
	v_mov_b32_e32 v10, v50
	v_bfe_u32 v4, v50, 23, 1
	v_mov_b32_e32 v11, v51
; %bb.3354:                             ;   in Loop: Header=BB4_3091 Depth=2
	s_or_b64 exec, exec, s[18:19]
	v_lshrrev_b64 v[10:11], 20, v[10:11]
	v_cmp_gt_i32_e64 s[18:19], 16, v4
	v_cndmask_b32_e64 v11, 0, v11, s[18:19]
	v_cndmask_b32_e64 v10, 7, v10, s[18:19]
	v_cmp_eq_u32_e64 s[18:19], 0, v4
	v_min_i32_e32 v4, 15, v4
	v_cmp_eq_u64_e64 s[20:21], 0, v[10:11]
	v_lshlrev_b32_e32 v4, 3, v4
	v_and_b32_e32 v4, 0xf8, v4
	v_and_or_b32 v4, v10, 7, v4
	s_and_b64 s[18:19], s[18:19], s[20:21]
	v_cndmask_b32_e64 v4, v4, 0, s[18:19]
	v_or_b32_e32 v43, v4, v2
.LBB4_3355:                             ;   in Loop: Header=BB4_3091 Depth=2
	s_or_b64 exec, exec, s[92:93]
                                        ; implicit-def: $vgpr2
.LBB4_3356:                             ;   in Loop: Header=BB4_3091 Depth=2
	s_andn2_saveexec_b64 s[18:19], s[90:91]
; %bb.3357:                             ;   in Loop: Header=BB4_3091 Depth=2
	v_or_b32_e32 v43, 0x7e, v2
; %bb.3358:                             ;   in Loop: Header=BB4_3091 Depth=2
	s_or_b64 exec, exec, s[18:19]
                                        ; implicit-def: $vgpr4
.LBB4_3359:                             ;   in Loop: Header=BB4_3091 Depth=2
	s_andn2_saveexec_b64 s[18:19], s[88:89]
; %bb.3360:                             ;   in Loop: Header=BB4_3091 Depth=2
	v_or_b32_sdwa v43, v4, s50 dst_sel:DWORD dst_unused:UNUSED_PAD src0_sel:BYTE_3 src1_sel:DWORD
; %bb.3361:                             ;   in Loop: Header=BB4_3091 Depth=2
	s_or_b64 exec, exec, s[18:19]
	v_lshrrev_b32_e32 v10, 16, v16
	v_cmp_ne_u16_sdwa s[18:19], v10, v51 src0_sel:BYTE_0 src1_sel:DWORD
	v_mov_b32_e32 v2, 0
	s_and_saveexec_b64 s[20:21], s[18:19]
	s_cbranch_execz .LBB4_3367
; %bb.3362:                             ;   in Loop: Header=BB4_3091 Depth=2
	v_cmp_ne_u16_sdwa s[18:19], v10, s49 src0_sel:BYTE_0 src1_sel:DWORD
	v_bfrev_b32_e32 v2, 1
	s_and_saveexec_b64 s[88:89], s[18:19]
	s_cbranch_execz .LBB4_3366
; %bb.3363:                             ;   in Loop: Header=BB4_3091 Depth=2
	v_bfe_u32 v4, v16, 16, 7
	v_cmp_ne_u32_e64 s[18:19], s50, v4
	v_mov_b32_e32 v2, 0x7f800001
	s_and_saveexec_b64 s[90:91], s[18:19]
	s_cbranch_execz .LBB4_3365
; %bb.3364:                             ;   in Loop: Header=BB4_3091 Depth=2
	v_and_b32_e32 v2, 7, v10
	v_lshrrev_b32_e32 v11, 3, v4
	v_cmp_gt_u32_e64 s[18:19], 8, v4
	v_ffbh_u32_e32 v4, v2
	v_min_u32_e32 v14, 32, v4
	v_subrev_u32_e32 v4, 28, v14
	v_lshlrev_b64 v[4:5], v4, v[10:11]
	v_sub_u32_e32 v5, 29, v14
	v_and_b32_e32 v4, 7, v4
	v_cndmask_b32_e64 v5, v11, v5, s[18:19]
	v_cndmask_b32_e64 v2, v2, v4, s[18:19]
	v_lshlrev_b32_e32 v4, 24, v10
	v_lshlrev_b32_e32 v2, 20, v2
	v_and_b32_e32 v4, 0x80000000, v4
	v_lshl_add_u32 v5, v5, 23, v62
	v_or3_b32 v2, v4, v5, v2
.LBB4_3365:                             ;   in Loop: Header=BB4_3091 Depth=2
	s_or_b64 exec, exec, s[90:91]
.LBB4_3366:                             ;   in Loop: Header=BB4_3091 Depth=2
	s_or_b64 exec, exec, s[88:89]
.LBB4_3367:                             ;   in Loop: Header=BB4_3091 Depth=2
	s_or_b64 exec, exec, s[20:21]
	v_lshrrev_b32_e32 v10, 16, v12
	v_cmp_gt_i16_sdwa s[20:21], v10, s50 src0_sel:BYTE_0 src1_sel:DWORD
	s_mov_b64 s[18:19], 0
	s_and_saveexec_b64 s[88:89], s[20:21]
	s_xor_b64 s[20:21], exec, s[88:89]
	s_cbranch_execz .LBB4_3533
; %bb.3368:                             ;   in Loop: Header=BB4_3091 Depth=2
	v_cmp_eq_u16_sdwa s[90:91], v10, s49 src0_sel:BYTE_0 src1_sel:DWORD
	s_mov_b64 s[18:19], -1
	s_and_saveexec_b64 s[88:89], s[90:91]
; %bb.3369:                             ;   in Loop: Header=BB4_3091 Depth=2
	s_xor_b64 s[18:19], exec, -1
; %bb.3370:                             ;   in Loop: Header=BB4_3091 Depth=2
	s_or_b64 exec, exec, s[88:89]
	s_and_b64 s[18:19], s[18:19], exec
	s_or_saveexec_b64 s[20:21], s[20:21]
	v_bfrev_b32_e32 v4, 1
	s_xor_b64 exec, exec, s[20:21]
	s_cbranch_execnz .LBB4_3534
.LBB4_3371:                             ;   in Loop: Header=BB4_3091 Depth=2
	s_or_b64 exec, exec, s[20:21]
	s_and_saveexec_b64 s[20:21], s[18:19]
	s_cbranch_execz .LBB4_3373
.LBB4_3372:                             ;   in Loop: Header=BB4_3091 Depth=2
	v_and_b32_e32 v11, 7, v10
	v_ffbh_u32_e32 v4, v11
	v_min_u32_e32 v24, 32, v4
	v_subrev_u32_e32 v4, 28, v24
	v_lshlrev_b64 v[4:5], v4, v[10:11]
	v_and_b32_e32 v14, 0x7f, v10
	v_bfe_u32 v15, v10, 3, 4
	v_sub_u32_e32 v5, 29, v24
	v_and_b32_e32 v4, 7, v4
	v_cmp_gt_u32_e64 s[18:19], 8, v14
	v_cndmask_b32_e64 v5, v15, v5, s[18:19]
	v_cndmask_b32_e64 v4, v11, v4, s[18:19]
	v_lshlrev_b32_e32 v10, 24, v10
	v_lshlrev_b32_e32 v4, 20, v4
	v_and_b32_e32 v10, 0x80000000, v10
	v_lshl_add_u32 v5, v5, 23, v62
	v_or3_b32 v4, v10, v5, v4
	v_cmp_ne_u32_e64 s[18:19], s50, v14
	v_cndmask_b32_e64 v4, v56, v4, s[18:19]
.LBB4_3373:                             ;   in Loop: Header=BB4_3091 Depth=2
	s_or_b64 exec, exec, s[20:21]
	v_add_f32_e32 v4, v2, v4
	v_and_b32_e32 v50, 0x7f800000, v4
	v_cmp_ne_u64_e64 s[18:19], s[46:47], v[50:51]
                                        ; implicit-def: $vgpr29
	s_and_saveexec_b64 s[20:21], s[18:19]
	s_xor_b64 s[88:89], exec, s[20:21]
	s_cbranch_execz .LBB4_3387
; %bb.3374:                             ;   in Loop: Header=BB4_3091 Depth=2
	v_and_b32_e32 v50, 0x7fffffff, v4
	v_cmp_gt_u64_e64 s[18:19], s[56:57], v[50:51]
	v_and_b32_sdwa v2, v4, s49 dst_sel:DWORD dst_unused:UNUSED_PAD src0_sel:BYTE_3 src1_sel:DWORD
                                        ; implicit-def: $vgpr29
	s_and_saveexec_b64 s[20:21], s[18:19]
	s_xor_b64 s[90:91], exec, s[20:21]
	s_cbranch_execz .LBB4_3384
; %bb.3375:                             ;   in Loop: Header=BB4_3091 Depth=2
	v_mov_b32_e32 v29, 0
	v_cmp_ne_u32_e64 s[18:19], 0, v4
	s_and_saveexec_b64 s[92:93], s[18:19]
	s_cbranch_execz .LBB4_3383
; %bb.3376:                             ;   in Loop: Header=BB4_3091 Depth=2
	v_and_b32_e32 v10, 0x7fffff, v4
	v_bfe_u32 v4, v4, 23, 8
	v_cmp_gt_u32_e64 s[20:21], s51, v4
	v_sub_u32_e32 v5, 0x79, v4
	v_cmp_eq_u32_e64 s[18:19], 0, v4
	v_cndmask_b32_e64 v5, 0, v5, s[20:21]
	v_or_b32_e32 v11, 0x800000, v10
	v_cndmask_b32_e64 v5, v5, v49, s[18:19]
	v_cndmask_b32_e64 v50, v11, v10, s[18:19]
	v_add_u32_e32 v10, 20, v5
	v_lshlrev_b64 v[10:11], v10, -1
	v_add_u32_e32 v14, 19, v5
	v_lshlrev_b64 v[14:15], v14, 1
	v_bfi_b32 v11, v11, 0, 0
	v_bfi_b32 v10, v10, 0, v50
	v_cmp_eq_u64_e64 s[20:21], v[10:11], v[14:15]
	v_lshrrev_b64 v[10:11], v5, v[50:51]
	v_mov_b32_e32 v15, v11
	v_mov_b32_e32 v14, v10
	s_and_saveexec_b64 s[94:95], s[20:21]
; %bb.3377:                             ;   in Loop: Header=BB4_3091 Depth=2
	v_bfe_u32 v11, v10, 20, 1
	v_add_co_u32_e64 v11, s[20:21], v10, v11
	v_add_co_u32_e64 v14, s[20:21], -1, v11
; %bb.3378:                             ;   in Loop: Header=BB4_3091 Depth=2
	s_or_b64 exec, exec, s[94:95]
	v_add_u32_e32 v4, 0xffffff81, v4
	v_mov_b32_e32 v11, 0xffffff82
	v_cndmask_b32_e64 v4, v4, v11, s[18:19]
	v_lshrrev_b32_e32 v11, 23, v10
	v_add3_u32 v15, v5, v4, v11
	v_add_u32_e32 v5, 6, v15
	v_and_b32_e32 v4, 0xfffff, v14
	v_add_u32_e32 v50, v4, v10
	v_cmp_ne_u32_e64 s[18:19], 0, v5
                                        ; implicit-def: $vgpr10_vgpr11
                                        ; implicit-def: $vgpr4
	s_and_saveexec_b64 s[20:21], s[18:19]
	s_xor_b64 s[20:21], exec, s[20:21]
; %bb.3379:                             ;   in Loop: Header=BB4_3091 Depth=2
	v_cmp_lt_u64_e64 s[18:19], s[58:59], v[50:51]
	v_add_u32_e32 v4, 7, v15
	v_cndmask_b32_e64 v4, v5, v4, s[18:19]
	v_cndmask_b32_e64 v5, 0, 1, s[18:19]
	v_lshrrev_b64 v[10:11], v5, v[50:51]
; %bb.3380:                             ;   in Loop: Header=BB4_3091 Depth=2
	s_andn2_saveexec_b64 s[18:19], s[20:21]
; %bb.3381:                             ;   in Loop: Header=BB4_3091 Depth=2
	v_mov_b32_e32 v10, v50
	v_bfe_u32 v4, v50, 23, 1
	v_mov_b32_e32 v11, v51
; %bb.3382:                             ;   in Loop: Header=BB4_3091 Depth=2
	s_or_b64 exec, exec, s[18:19]
	v_lshrrev_b64 v[10:11], 20, v[10:11]
	v_cmp_gt_i32_e64 s[18:19], 16, v4
	v_cndmask_b32_e64 v11, 0, v11, s[18:19]
	v_cndmask_b32_e64 v10, 7, v10, s[18:19]
	v_cmp_eq_u32_e64 s[18:19], 0, v4
	v_min_i32_e32 v4, 15, v4
	v_cmp_eq_u64_e64 s[20:21], 0, v[10:11]
	v_lshlrev_b32_e32 v4, 3, v4
	v_and_b32_e32 v4, 0xf8, v4
	v_and_or_b32 v4, v10, 7, v4
	s_and_b64 s[18:19], s[18:19], s[20:21]
	v_cndmask_b32_e64 v4, v4, 0, s[18:19]
	v_or_b32_e32 v29, v4, v2
.LBB4_3383:                             ;   in Loop: Header=BB4_3091 Depth=2
	s_or_b64 exec, exec, s[92:93]
                                        ; implicit-def: $vgpr2
.LBB4_3384:                             ;   in Loop: Header=BB4_3091 Depth=2
	s_andn2_saveexec_b64 s[18:19], s[90:91]
; %bb.3385:                             ;   in Loop: Header=BB4_3091 Depth=2
	v_or_b32_e32 v29, 0x7e, v2
; %bb.3386:                             ;   in Loop: Header=BB4_3091 Depth=2
	s_or_b64 exec, exec, s[18:19]
                                        ; implicit-def: $vgpr4
.LBB4_3387:                             ;   in Loop: Header=BB4_3091 Depth=2
	s_andn2_saveexec_b64 s[18:19], s[88:89]
; %bb.3388:                             ;   in Loop: Header=BB4_3091 Depth=2
	v_or_b32_sdwa v29, v4, s50 dst_sel:DWORD dst_unused:UNUSED_PAD src0_sel:BYTE_3 src1_sel:DWORD
; %bb.3389:                             ;   in Loop: Header=BB4_3091 Depth=2
	s_or_b64 exec, exec, s[18:19]
	v_cmp_lt_u32_e64 s[18:19], s61, v16
	v_mov_b32_e32 v2, 0
	s_and_saveexec_b64 s[20:21], s[18:19]
	s_cbranch_execz .LBB4_3395
; %bb.3390:                             ;   in Loop: Header=BB4_3091 Depth=2
	v_lshrrev_b32_e32 v10, 24, v16
	v_cmp_ne_u32_e64 s[18:19], s49, v10
	v_bfrev_b32_e32 v2, 1
	s_and_saveexec_b64 s[88:89], s[18:19]
	s_cbranch_execz .LBB4_3394
; %bb.3391:                             ;   in Loop: Header=BB4_3091 Depth=2
	v_bfe_u32 v4, v16, 24, 7
	v_cmp_ne_u32_e64 s[18:19], s50, v4
	v_mov_b32_e32 v2, 0x7f800001
	s_and_saveexec_b64 s[90:91], s[18:19]
	s_cbranch_execz .LBB4_3393
; %bb.3392:                             ;   in Loop: Header=BB4_3091 Depth=2
	v_and_b32_e32 v2, 7, v10
	v_lshrrev_b32_e32 v11, 3, v4
	v_cmp_gt_u32_e64 s[18:19], 8, v4
	v_ffbh_u32_e32 v4, v2
	v_min_u32_e32 v14, 32, v4
	v_subrev_u32_e32 v4, 28, v14
	v_lshlrev_b64 v[4:5], v4, v[10:11]
	v_sub_u32_e32 v5, 29, v14
	v_and_b32_e32 v4, 7, v4
	v_cndmask_b32_e64 v5, v11, v5, s[18:19]
	v_cndmask_b32_e64 v2, v2, v4, s[18:19]
	v_lshlrev_b32_e32 v4, 24, v10
	v_lshlrev_b32_e32 v2, 20, v2
	v_and_b32_e32 v4, 0x80000000, v4
	v_lshl_add_u32 v5, v5, 23, v62
	v_or3_b32 v2, v4, v5, v2
.LBB4_3393:                             ;   in Loop: Header=BB4_3091 Depth=2
	s_or_b64 exec, exec, s[90:91]
.LBB4_3394:                             ;   in Loop: Header=BB4_3091 Depth=2
	s_or_b64 exec, exec, s[88:89]
.LBB4_3395:                             ;   in Loop: Header=BB4_3091 Depth=2
	s_or_b64 exec, exec, s[20:21]
	v_bfe_u32 v5, v12, 24, 3
	v_ffbh_u32_e32 v10, v5
	v_min_u32_e32 v24, 32, v10
	v_lshrrev_b32_e32 v4, 24, v12
	v_subrev_u32_e32 v10, 28, v24
	v_lshlrev_b64 v[10:11], v10, v[4:5]
	v_bfe_u32 v14, v12, 24, 7
	v_bfe_u32 v15, v4, 3, 4
	v_sub_u32_e32 v11, 29, v24
	v_and_b32_e32 v10, 7, v10
	v_cmp_gt_u32_e64 s[18:19], 8, v14
	v_cndmask_b32_e64 v11, v15, v11, s[18:19]
	v_cndmask_b32_e64 v5, v5, v10, s[18:19]
	v_lshlrev_b32_e32 v5, 20, v5
	v_and_b32_e32 v10, 0x80000000, v12
	v_lshl_add_u32 v11, v11, 23, v62
	v_or3_b32 v5, v10, v11, v5
	v_cmp_ne_u32_e64 s[18:19], s50, v14
	v_cndmask_b32_e64 v5, v56, v5, s[18:19]
	v_cmp_ne_u32_e64 s[18:19], s49, v4
	v_bfrev_b32_e32 v4, 1
	v_cndmask_b32_e64 v4, v4, v5, s[18:19]
	v_cmp_lt_u32_e64 s[18:19], s61, v12
	v_cndmask_b32_e64 v4, 0, v4, s[18:19]
	v_add_f32_e32 v5, v4, v2
	v_and_b32_e32 v50, 0x7f800000, v5
	v_cmp_ne_u64_e64 s[18:19], s[46:47], v[50:51]
                                        ; implicit-def: $vgpr2
	s_and_saveexec_b64 s[20:21], s[18:19]
	s_xor_b64 s[88:89], exec, s[20:21]
	s_cbranch_execz .LBB4_3409
; %bb.3396:                             ;   in Loop: Header=BB4_3091 Depth=2
	v_and_b32_e32 v50, 0x7fffffff, v5
	v_cmp_gt_u64_e64 s[18:19], s[56:57], v[50:51]
	v_and_b32_sdwa v4, v5, s49 dst_sel:DWORD dst_unused:UNUSED_PAD src0_sel:BYTE_3 src1_sel:DWORD
                                        ; implicit-def: $vgpr2
	s_and_saveexec_b64 s[20:21], s[18:19]
	s_xor_b64 s[90:91], exec, s[20:21]
	s_cbranch_execz .LBB4_3406
; %bb.3397:                             ;   in Loop: Header=BB4_3091 Depth=2
	v_mov_b32_e32 v2, 0
	v_cmp_ne_u32_e64 s[18:19], 0, v5
	s_and_saveexec_b64 s[92:93], s[18:19]
	s_cbranch_execz .LBB4_3405
; %bb.3398:                             ;   in Loop: Header=BB4_3091 Depth=2
	v_bfe_u32 v2, v5, 23, 8
	v_and_b32_e32 v10, 0x7fffff, v5
	v_cmp_gt_u32_e64 s[20:21], s51, v2
	v_sub_u32_e32 v5, 0x79, v2
	v_cmp_eq_u32_e64 s[18:19], 0, v2
	v_cndmask_b32_e64 v5, 0, v5, s[20:21]
	v_or_b32_e32 v11, 0x800000, v10
	v_cndmask_b32_e64 v5, v5, v49, s[18:19]
	v_cndmask_b32_e64 v50, v11, v10, s[18:19]
	v_add_u32_e32 v10, 20, v5
	v_lshlrev_b64 v[10:11], v10, -1
	v_add_u32_e32 v14, 19, v5
	v_lshlrev_b64 v[14:15], v14, 1
	v_bfi_b32 v11, v11, 0, 0
	v_bfi_b32 v10, v10, 0, v50
	v_cmp_eq_u64_e64 s[20:21], v[10:11], v[14:15]
	v_lshrrev_b64 v[10:11], v5, v[50:51]
	v_mov_b32_e32 v15, v11
	v_mov_b32_e32 v14, v10
	s_and_saveexec_b64 s[94:95], s[20:21]
; %bb.3399:                             ;   in Loop: Header=BB4_3091 Depth=2
	v_bfe_u32 v11, v10, 20, 1
	v_add_co_u32_e64 v11, s[20:21], v10, v11
	v_add_co_u32_e64 v14, s[20:21], -1, v11
; %bb.3400:                             ;   in Loop: Header=BB4_3091 Depth=2
	s_or_b64 exec, exec, s[94:95]
	v_add_u32_e32 v2, 0xffffff81, v2
	v_mov_b32_e32 v11, 0xffffff82
	v_cndmask_b32_e64 v2, v2, v11, s[18:19]
	v_lshrrev_b32_e32 v11, 23, v10
	v_add3_u32 v15, v5, v2, v11
	v_add_u32_e32 v5, 6, v15
	v_and_b32_e32 v2, 0xfffff, v14
	v_add_u32_e32 v50, v2, v10
	v_cmp_ne_u32_e64 s[18:19], 0, v5
                                        ; implicit-def: $vgpr10_vgpr11
                                        ; implicit-def: $vgpr2
	s_and_saveexec_b64 s[20:21], s[18:19]
	s_xor_b64 s[20:21], exec, s[20:21]
; %bb.3401:                             ;   in Loop: Header=BB4_3091 Depth=2
	v_cmp_lt_u64_e64 s[18:19], s[58:59], v[50:51]
	v_add_u32_e32 v2, 7, v15
	v_cndmask_b32_e64 v2, v5, v2, s[18:19]
	v_cndmask_b32_e64 v5, 0, 1, s[18:19]
	v_lshrrev_b64 v[10:11], v5, v[50:51]
; %bb.3402:                             ;   in Loop: Header=BB4_3091 Depth=2
	s_andn2_saveexec_b64 s[18:19], s[20:21]
; %bb.3403:                             ;   in Loop: Header=BB4_3091 Depth=2
	v_mov_b32_e32 v10, v50
	v_bfe_u32 v2, v50, 23, 1
	v_mov_b32_e32 v11, v51
; %bb.3404:                             ;   in Loop: Header=BB4_3091 Depth=2
	s_or_b64 exec, exec, s[18:19]
	v_lshrrev_b64 v[10:11], 20, v[10:11]
	v_cmp_gt_i32_e64 s[18:19], 16, v2
	v_cndmask_b32_e64 v11, 0, v11, s[18:19]
	v_cndmask_b32_e64 v10, 7, v10, s[18:19]
	v_cmp_eq_u32_e64 s[18:19], 0, v2
	v_min_i32_e32 v2, 15, v2
	v_cmp_eq_u64_e64 s[20:21], 0, v[10:11]
	v_lshlrev_b32_e32 v2, 3, v2
	v_and_b32_e32 v2, 0xf8, v2
	v_and_or_b32 v2, v10, 7, v2
	s_and_b64 s[18:19], s[18:19], s[20:21]
	v_cndmask_b32_e64 v2, v2, 0, s[18:19]
	v_or_b32_e32 v2, v2, v4
.LBB4_3405:                             ;   in Loop: Header=BB4_3091 Depth=2
	s_or_b64 exec, exec, s[92:93]
                                        ; implicit-def: $vgpr4
.LBB4_3406:                             ;   in Loop: Header=BB4_3091 Depth=2
	s_andn2_saveexec_b64 s[18:19], s[90:91]
; %bb.3407:                             ;   in Loop: Header=BB4_3091 Depth=2
	v_or_b32_e32 v2, 0x7e, v4
; %bb.3408:                             ;   in Loop: Header=BB4_3091 Depth=2
	s_or_b64 exec, exec, s[18:19]
                                        ; implicit-def: $vgpr5
.LBB4_3409:                             ;   in Loop: Header=BB4_3091 Depth=2
	s_andn2_saveexec_b64 s[18:19], s[88:89]
; %bb.3410:                             ;   in Loop: Header=BB4_3091 Depth=2
	v_or_b32_sdwa v2, v5, s50 dst_sel:DWORD dst_unused:UNUSED_PAD src0_sel:BYTE_3 src1_sel:DWORD
; %bb.3411:                             ;   in Loop: Header=BB4_3091 Depth=2
	s_or_b64 exec, exec, s[18:19]
	v_mov_b32_e32 v50, v17
	v_cmp_ne_u16_sdwa s[18:19], v17, v51 src0_sel:BYTE_0 src1_sel:DWORD
	v_mov_b32_e32 v4, 0
	s_and_saveexec_b64 s[20:21], s[18:19]
	s_cbranch_execz .LBB4_3417
; %bb.3412:                             ;   in Loop: Header=BB4_3091 Depth=2
	v_cmp_ne_u16_sdwa s[18:19], v17, s49 src0_sel:BYTE_0 src1_sel:DWORD
	v_bfrev_b32_e32 v4, 1
	s_and_saveexec_b64 s[88:89], s[18:19]
	s_cbranch_execz .LBB4_3416
; %bb.3413:                             ;   in Loop: Header=BB4_3091 Depth=2
	v_and_b32_e32 v5, 0x7f, v17
	v_cmp_ne_u32_e64 s[18:19], s50, v5
	v_mov_b32_e32 v4, 0x7f800001
	s_and_saveexec_b64 s[90:91], s[18:19]
	s_cbranch_execz .LBB4_3415
; %bb.3414:                             ;   in Loop: Header=BB4_3091 Depth=2
	v_and_b32_e32 v4, 7, v17
	v_ffbh_u32_e32 v4, v4
	v_min_u32_e32 v4, 32, v4
	v_lshrrev_b32_e32 v10, 3, v5
	v_cmp_gt_u32_e64 s[18:19], 8, v5
	v_subrev_u32_e32 v5, 28, v4
	v_sub_u32_e32 v4, 29, v4
	v_cndmask_b32_e64 v10, v10, v4, s[18:19]
	v_cndmask_b32_e64 v4, 0, v5, s[18:19]
	v_lshlrev_b64 v[4:5], v4, v[50:51]
	v_lshlrev_b32_e32 v5, 24, v50
	v_lshlrev_b32_e32 v4, 20, v4
	v_and_b32_e32 v4, 0x700000, v4
	v_and_b32_e32 v5, 0x80000000, v5
	v_lshl_add_u32 v10, v10, 23, v62
	v_or3_b32 v4, v5, v10, v4
.LBB4_3415:                             ;   in Loop: Header=BB4_3091 Depth=2
	s_or_b64 exec, exec, s[90:91]
.LBB4_3416:                             ;   in Loop: Header=BB4_3091 Depth=2
	s_or_b64 exec, exec, s[88:89]
.LBB4_3417:                             ;   in Loop: Header=BB4_3091 Depth=2
	s_or_b64 exec, exec, s[20:21]
	v_cmp_gt_i16_sdwa s[20:21], v13, s50 src0_sel:BYTE_0 src1_sel:DWORD
	s_mov_b64 s[18:19], 0
	s_and_saveexec_b64 s[88:89], s[20:21]
	s_xor_b64 s[20:21], exec, s[88:89]
	s_cbranch_execz .LBB4_3421
; %bb.3418:                             ;   in Loop: Header=BB4_3091 Depth=2
	v_cmp_eq_u16_sdwa s[90:91], v13, s49 src0_sel:BYTE_0 src1_sel:DWORD
	s_mov_b64 s[18:19], -1
	s_and_saveexec_b64 s[88:89], s[90:91]
; %bb.3419:                             ;   in Loop: Header=BB4_3091 Depth=2
	s_xor_b64 s[18:19], exec, -1
; %bb.3420:                             ;   in Loop: Header=BB4_3091 Depth=2
	s_or_b64 exec, exec, s[88:89]
	s_and_b64 s[18:19], s[18:19], exec
.LBB4_3421:                             ;   in Loop: Header=BB4_3091 Depth=2
	s_or_saveexec_b64 s[20:21], s[20:21]
	v_bfrev_b32_e32 v5, 1
	s_xor_b64 exec, exec, s[20:21]
; %bb.3422:                             ;   in Loop: Header=BB4_3091 Depth=2
	v_cmp_ne_u16_sdwa s[88:89], v13, v51 src0_sel:BYTE_0 src1_sel:DWORD
	s_andn2_b64 s[18:19], s[18:19], exec
	s_and_b64 s[88:89], s[88:89], exec
	v_mov_b32_e32 v5, 0
	s_or_b64 s[18:19], s[18:19], s[88:89]
; %bb.3423:                             ;   in Loop: Header=BB4_3091 Depth=2
	s_or_b64 exec, exec, s[20:21]
	v_mov_b32_e32 v10, v13
	v_mov_b32_e32 v11, v51
	s_and_saveexec_b64 s[20:21], s[18:19]
	s_cbranch_execz .LBB4_3425
; %bb.3424:                             ;   in Loop: Header=BB4_3091 Depth=2
	v_and_b32_e32 v5, 7, v13
	v_ffbh_u32_e32 v5, v5
	v_and_b32_e32 v24, 0x7f, v13
	v_min_u32_e32 v5, 32, v5
	v_bfe_u32 v14, v13, 3, 4
	v_subrev_u32_e32 v15, 28, v5
	v_sub_u32_e32 v5, 29, v5
	v_cmp_gt_u32_e64 s[18:19], 8, v24
	v_cndmask_b32_e64 v5, v14, v5, s[18:19]
	v_cndmask_b32_e64 v14, 0, v15, s[18:19]
	v_lshlrev_b64 v[14:15], v14, v[10:11]
	v_lshl_add_u32 v5, v5, 23, v62
	v_lshlrev_b32_e32 v11, 20, v14
	v_lshlrev_b32_e32 v14, 24, v10
	v_and_b32_e32 v11, 0x700000, v11
	v_and_b32_e32 v14, 0x80000000, v14
	v_or3_b32 v5, v14, v5, v11
	v_cmp_ne_u32_e64 s[18:19], s50, v24
	v_cndmask_b32_e64 v5, v56, v5, s[18:19]
.LBB4_3425:                             ;   in Loop: Header=BB4_3091 Depth=2
	s_or_b64 exec, exec, s[20:21]
	v_add_f32_e32 v5, v4, v5
	v_and_b32_e32 v14, 0x7f800000, v5
	v_mov_b32_e32 v15, v51
	v_cmp_ne_u64_e64 s[18:19], s[46:47], v[14:15]
                                        ; implicit-def: $vgpr24
	s_and_saveexec_b64 s[20:21], s[18:19]
	s_xor_b64 s[88:89], exec, s[20:21]
	s_cbranch_execz .LBB4_3439
; %bb.3426:                             ;   in Loop: Header=BB4_3091 Depth=2
	v_and_b32_e32 v14, 0x7fffffff, v5
	v_mov_b32_e32 v15, v51
	v_cmp_gt_u64_e64 s[18:19], s[56:57], v[14:15]
	v_and_b32_sdwa v4, v5, s49 dst_sel:DWORD dst_unused:UNUSED_PAD src0_sel:BYTE_3 src1_sel:DWORD
                                        ; implicit-def: $vgpr24
	s_and_saveexec_b64 s[20:21], s[18:19]
	s_xor_b64 s[90:91], exec, s[20:21]
	s_cbranch_execz .LBB4_3436
; %bb.3427:                             ;   in Loop: Header=BB4_3091 Depth=2
	v_mov_b32_e32 v24, 0
	v_cmp_ne_u32_e64 s[18:19], 0, v5
	s_and_saveexec_b64 s[92:93], s[18:19]
	s_cbranch_execz .LBB4_3435
; %bb.3428:                             ;   in Loop: Header=BB4_3091 Depth=2
	v_and_b32_e32 v14, 0x7fffff, v5
	v_bfe_u32 v5, v5, 23, 8
	v_cmp_gt_u32_e64 s[20:21], s51, v5
	v_sub_u32_e32 v11, 0x79, v5
	v_cmp_eq_u32_e64 s[18:19], 0, v5
	v_cndmask_b32_e64 v11, 0, v11, s[20:21]
	v_cndmask_b32_e64 v11, v11, v49, s[18:19]
	v_add_u32_e32 v24, 20, v11
	v_or_b32_e32 v15, 0x800000, v14
	v_lshlrev_b64 v[24:25], v24, -1
	v_cndmask_b32_e64 v14, v15, v14, s[18:19]
	v_mov_b32_e32 v15, v51
	v_add_u32_e32 v48, 19, v11
	v_bfi_b32 v24, v24, 0, v14
	v_lshlrev_b64 v[48:49], v48, 1
	v_lshrrev_b64 v[14:15], v11, v[14:15]
	v_bfi_b32 v25, v25, 0, 0
	v_cmp_eq_u64_e64 s[20:21], v[24:25], v[48:49]
	v_mov_b32_e32 v25, v15
	v_mov_b32_e32 v24, v14
	s_and_saveexec_b64 s[94:95], s[20:21]
; %bb.3429:                             ;   in Loop: Header=BB4_3091 Depth=2
	v_bfe_u32 v15, v14, 20, 1
	v_add_co_u32_e64 v15, s[20:21], v14, v15
	v_add_co_u32_e64 v24, s[20:21], -1, v15
; %bb.3430:                             ;   in Loop: Header=BB4_3091 Depth=2
	s_or_b64 exec, exec, s[94:95]
	v_add_u32_e32 v5, 0xffffff81, v5
	v_mov_b32_e32 v15, 0xffffff82
	v_cndmask_b32_e64 v5, v5, v15, s[18:19]
	v_lshrrev_b32_e32 v15, 23, v14
	v_add3_u32 v25, v11, v5, v15
	v_add_u32_e32 v11, 6, v25
	v_and_b32_e32 v5, 0xfffff, v24
	v_add_u32_e32 v14, v5, v14
	v_mov_b32_e32 v15, v51
	v_cmp_ne_u32_e64 s[18:19], 0, v11
                                        ; implicit-def: $vgpr5
	s_and_saveexec_b64 s[20:21], s[18:19]
	s_xor_b64 s[20:21], exec, s[20:21]
; %bb.3431:                             ;   in Loop: Header=BB4_3091 Depth=2
	v_cmp_lt_u64_e64 s[18:19], s[58:59], v[14:15]
	v_add_u32_e32 v5, 7, v25
	v_cndmask_b32_e64 v5, v11, v5, s[18:19]
	v_cndmask_b32_e64 v11, 0, 1, s[18:19]
	v_lshrrev_b64 v[14:15], v11, v[14:15]
; %bb.3432:                             ;   in Loop: Header=BB4_3091 Depth=2
	s_or_saveexec_b64 s[18:19], s[20:21]
	v_mov_b32_e32 v49, 0x78
	s_xor_b64 exec, exec, s[18:19]
; %bb.3433:                             ;   in Loop: Header=BB4_3091 Depth=2
	v_bfe_u32 v5, v14, 23, 1
; %bb.3434:                             ;   in Loop: Header=BB4_3091 Depth=2
	s_or_b64 exec, exec, s[18:19]
	v_lshrrev_b64 v[14:15], 20, v[14:15]
	v_cmp_gt_i32_e64 s[18:19], 16, v5
	v_cndmask_b32_e64 v15, 0, v15, s[18:19]
	v_cndmask_b32_e64 v14, 7, v14, s[18:19]
	v_cmp_eq_u32_e64 s[18:19], 0, v5
	v_min_i32_e32 v5, 15, v5
	v_cmp_eq_u64_e64 s[20:21], 0, v[14:15]
	v_lshlrev_b32_e32 v5, 3, v5
	v_and_b32_e32 v5, 0xf8, v5
	v_and_or_b32 v5, v14, 7, v5
	s_and_b64 s[18:19], s[18:19], s[20:21]
	v_cndmask_b32_e64 v5, v5, 0, s[18:19]
	v_or_b32_e32 v24, v5, v4
.LBB4_3435:                             ;   in Loop: Header=BB4_3091 Depth=2
	s_or_b64 exec, exec, s[92:93]
                                        ; implicit-def: $vgpr4
.LBB4_3436:                             ;   in Loop: Header=BB4_3091 Depth=2
	s_andn2_saveexec_b64 s[18:19], s[90:91]
; %bb.3437:                             ;   in Loop: Header=BB4_3091 Depth=2
	v_or_b32_e32 v24, 0x7e, v4
; %bb.3438:                             ;   in Loop: Header=BB4_3091 Depth=2
	s_or_b64 exec, exec, s[18:19]
                                        ; implicit-def: $vgpr5
.LBB4_3439:                             ;   in Loop: Header=BB4_3091 Depth=2
	s_andn2_saveexec_b64 s[18:19], s[88:89]
; %bb.3440:                             ;   in Loop: Header=BB4_3091 Depth=2
	v_or_b32_sdwa v24, v5, s50 dst_sel:DWORD dst_unused:UNUSED_PAD src0_sel:BYTE_3 src1_sel:DWORD
; %bb.3441:                             ;   in Loop: Header=BB4_3091 Depth=2
	s_or_b64 exec, exec, s[18:19]
	v_lshrrev_b16_e32 v11, 8, v50
	v_cmp_ne_u16_e64 s[18:19], 0, v11
	v_mov_b32_e32 v4, 0
	s_and_saveexec_b64 s[20:21], s[18:19]
	s_cbranch_execz .LBB4_3447
; %bb.3442:                             ;   in Loop: Header=BB4_3091 Depth=2
	v_cmp_ne_u16_e64 s[18:19], s49, v11
	v_bfrev_b32_e32 v4, 1
	s_and_saveexec_b64 s[88:89], s[18:19]
	s_cbranch_execz .LBB4_3446
; %bb.3443:                             ;   in Loop: Header=BB4_3091 Depth=2
	v_and_b32_e32 v5, 0x7f, v11
	v_cmp_ne_u32_e64 s[18:19], s50, v5
	v_mov_b32_e32 v4, 0x7f800001
	s_and_saveexec_b64 s[90:91], s[18:19]
	s_cbranch_execz .LBB4_3445
; %bb.3444:                             ;   in Loop: Header=BB4_3091 Depth=2
	v_and_b32_e32 v14, 7, v11
	v_ffbh_u32_e32 v4, v14
	v_min_u32_e32 v25, 32, v4
	v_subrev_u32_e32 v4, 28, v25
	v_lshrrev_b32_e32 v15, 3, v5
	v_cmp_gt_u32_e64 s[18:19], 8, v5
	v_lshlrev_b64 v[4:5], v4, v[11:12]
	v_sub_u32_e32 v5, 29, v25
	v_and_b32_e32 v4, 7, v4
	v_cndmask_b32_e64 v5, v15, v5, s[18:19]
	v_cndmask_b32_e64 v4, v14, v4, s[18:19]
	v_lshlrev_b32_e32 v11, 16, v50
	v_lshlrev_b32_e32 v4, 20, v4
	v_and_b32_e32 v11, 0x80000000, v11
	v_lshl_add_u32 v5, v5, 23, v62
	v_or3_b32 v4, v11, v5, v4
.LBB4_3445:                             ;   in Loop: Header=BB4_3091 Depth=2
	s_or_b64 exec, exec, s[90:91]
.LBB4_3446:                             ;   in Loop: Header=BB4_3091 Depth=2
	s_or_b64 exec, exec, s[88:89]
.LBB4_3447:                             ;   in Loop: Header=BB4_3091 Depth=2
	s_or_b64 exec, exec, s[20:21]
	v_lshrrev_b16_e32 v50, 8, v10
	v_cmp_lt_i16_e64 s[18:19], s50, v50
	s_mov_b64 s[20:21], 0
	s_and_saveexec_b64 s[88:89], s[18:19]
	s_xor_b64 s[88:89], exec, s[88:89]
	s_cbranch_execz .LBB4_3535
; %bb.3448:                             ;   in Loop: Header=BB4_3091 Depth=2
	v_cmp_eq_u16_e64 s[18:19], s49, v50
	s_mov_b64 s[20:21], -1
	s_and_saveexec_b64 s[90:91], s[18:19]
; %bb.3449:                             ;   in Loop: Header=BB4_3091 Depth=2
	s_xor_b64 s[20:21], exec, -1
; %bb.3450:                             ;   in Loop: Header=BB4_3091 Depth=2
	s_or_b64 exec, exec, s[90:91]
	s_and_b64 s[20:21], s[20:21], exec
	s_or_saveexec_b64 s[88:89], s[88:89]
	v_bfrev_b32_e32 v5, 1
	s_xor_b64 exec, exec, s[88:89]
	s_cbranch_execnz .LBB4_3536
.LBB4_3451:                             ;   in Loop: Header=BB4_3091 Depth=2
	s_or_b64 exec, exec, s[88:89]
	s_and_saveexec_b64 s[88:89], s[20:21]
	s_cbranch_execz .LBB4_3453
.LBB4_3452:                             ;   in Loop: Header=BB4_3091 Depth=2
	v_and_b32_e32 v5, 7, v50
	v_ffbh_u32_e32 v10, v5
	v_min_u32_e32 v25, 32, v10
	v_subrev_u32_e32 v10, 28, v25
	v_lshlrev_b64 v[10:11], v10, v[50:51]
	v_and_b32_e32 v14, 0x7f, v50
	v_bfe_u32 v15, v50, 3, 4
	v_sub_u32_e32 v11, 29, v25
	v_and_b32_e32 v10, 7, v10
	v_cmp_gt_u32_e64 s[18:19], 8, v14
	v_cndmask_b32_e64 v11, v15, v11, s[18:19]
	v_cndmask_b32_e64 v5, v5, v10, s[18:19]
	v_lshlrev_b32_e32 v10, 24, v50
	v_lshlrev_b32_e32 v5, 20, v5
	v_and_b32_e32 v10, 0x80000000, v10
	v_lshl_add_u32 v11, v11, 23, v62
	v_or3_b32 v5, v10, v11, v5
	v_cmp_ne_u32_e64 s[18:19], s50, v14
	v_cndmask_b32_e64 v5, v56, v5, s[18:19]
.LBB4_3453:                             ;   in Loop: Header=BB4_3091 Depth=2
	s_or_b64 exec, exec, s[88:89]
	v_add_f32_e32 v10, v4, v5
	v_and_b32_e32 v50, 0x7f800000, v10
	v_cmp_ne_u64_e64 s[18:19], s[46:47], v[50:51]
                                        ; implicit-def: $vgpr4
	s_and_saveexec_b64 s[20:21], s[18:19]
	s_xor_b64 s[88:89], exec, s[20:21]
	s_cbranch_execz .LBB4_3467
; %bb.3454:                             ;   in Loop: Header=BB4_3091 Depth=2
	v_and_b32_e32 v50, 0x7fffffff, v10
	v_cmp_gt_u64_e64 s[18:19], s[56:57], v[50:51]
	v_and_b32_sdwa v5, v10, s49 dst_sel:DWORD dst_unused:UNUSED_PAD src0_sel:BYTE_3 src1_sel:DWORD
                                        ; implicit-def: $vgpr4
	s_and_saveexec_b64 s[20:21], s[18:19]
	s_xor_b64 s[90:91], exec, s[20:21]
	s_cbranch_execz .LBB4_3464
; %bb.3455:                             ;   in Loop: Header=BB4_3091 Depth=2
	v_mov_b32_e32 v4, 0
	v_cmp_ne_u32_e64 s[18:19], 0, v10
	s_and_saveexec_b64 s[92:93], s[18:19]
	s_cbranch_execz .LBB4_3463
; %bb.3456:                             ;   in Loop: Header=BB4_3091 Depth=2
	v_bfe_u32 v4, v10, 23, 8
	v_and_b32_e32 v11, 0x7fffff, v10
	v_cmp_gt_u32_e64 s[20:21], s51, v4
	v_sub_u32_e32 v10, 0x79, v4
	v_cmp_eq_u32_e64 s[18:19], 0, v4
	v_cndmask_b32_e64 v10, 0, v10, s[20:21]
	v_cndmask_b32_e64 v25, v10, v49, s[18:19]
	v_or_b32_e32 v14, 0x800000, v11
	v_add_u32_e32 v10, 20, v25
	v_cndmask_b32_e64 v50, v14, v11, s[18:19]
	v_lshlrev_b64 v[10:11], v10, -1
	v_add_u32_e32 v14, 19, v25
	v_lshlrev_b64 v[14:15], v14, 1
	v_bfi_b32 v11, v11, 0, 0
	v_bfi_b32 v10, v10, 0, v50
	v_cmp_eq_u64_e64 s[20:21], v[10:11], v[14:15]
	v_lshrrev_b64 v[10:11], v25, v[50:51]
	v_mov_b32_e32 v15, v11
	v_mov_b32_e32 v14, v10
	s_and_saveexec_b64 s[94:95], s[20:21]
; %bb.3457:                             ;   in Loop: Header=BB4_3091 Depth=2
	v_bfe_u32 v11, v10, 20, 1
	v_add_co_u32_e64 v11, s[20:21], v10, v11
	v_add_co_u32_e64 v14, s[20:21], -1, v11
; %bb.3458:                             ;   in Loop: Header=BB4_3091 Depth=2
	s_or_b64 exec, exec, s[94:95]
	v_add_u32_e32 v4, 0xffffff81, v4
	v_mov_b32_e32 v11, 0xffffff82
	v_cndmask_b32_e64 v4, v4, v11, s[18:19]
	v_lshrrev_b32_e32 v11, 23, v10
	v_add3_u32 v25, v25, v4, v11
	v_add_u32_e32 v15, 6, v25
	v_and_b32_e32 v4, 0xfffff, v14
	v_add_u32_e32 v50, v4, v10
	v_cmp_ne_u32_e64 s[18:19], 0, v15
                                        ; implicit-def: $vgpr10_vgpr11
                                        ; implicit-def: $vgpr4
	s_and_saveexec_b64 s[20:21], s[18:19]
	s_xor_b64 s[20:21], exec, s[20:21]
; %bb.3459:                             ;   in Loop: Header=BB4_3091 Depth=2
	v_cmp_lt_u64_e64 s[18:19], s[58:59], v[50:51]
	v_add_u32_e32 v4, 7, v25
	v_cndmask_b32_e64 v10, 0, 1, s[18:19]
	v_cndmask_b32_e64 v4, v15, v4, s[18:19]
	v_lshrrev_b64 v[10:11], v10, v[50:51]
; %bb.3460:                             ;   in Loop: Header=BB4_3091 Depth=2
	s_andn2_saveexec_b64 s[18:19], s[20:21]
; %bb.3461:                             ;   in Loop: Header=BB4_3091 Depth=2
	v_mov_b32_e32 v10, v50
	v_bfe_u32 v4, v50, 23, 1
	v_mov_b32_e32 v11, v51
; %bb.3462:                             ;   in Loop: Header=BB4_3091 Depth=2
	s_or_b64 exec, exec, s[18:19]
	v_lshrrev_b64 v[10:11], 20, v[10:11]
	v_cmp_gt_i32_e64 s[18:19], 16, v4
	v_cndmask_b32_e64 v11, 0, v11, s[18:19]
	v_cndmask_b32_e64 v10, 7, v10, s[18:19]
	v_cmp_eq_u32_e64 s[18:19], 0, v4
	v_min_i32_e32 v4, 15, v4
	v_cmp_eq_u64_e64 s[20:21], 0, v[10:11]
	v_lshlrev_b32_e32 v4, 3, v4
	v_and_b32_e32 v4, 0xf8, v4
	v_and_or_b32 v4, v10, 7, v4
	s_and_b64 s[18:19], s[18:19], s[20:21]
	v_cndmask_b32_e64 v4, v4, 0, s[18:19]
	v_or_b32_e32 v4, v4, v5
.LBB4_3463:                             ;   in Loop: Header=BB4_3091 Depth=2
	s_or_b64 exec, exec, s[92:93]
                                        ; implicit-def: $vgpr5
.LBB4_3464:                             ;   in Loop: Header=BB4_3091 Depth=2
	s_andn2_saveexec_b64 s[18:19], s[90:91]
; %bb.3465:                             ;   in Loop: Header=BB4_3091 Depth=2
	v_or_b32_e32 v4, 0x7e, v5
; %bb.3466:                             ;   in Loop: Header=BB4_3091 Depth=2
	s_or_b64 exec, exec, s[18:19]
                                        ; implicit-def: $vgpr10
.LBB4_3467:                             ;   in Loop: Header=BB4_3091 Depth=2
	s_andn2_saveexec_b64 s[18:19], s[88:89]
; %bb.3468:                             ;   in Loop: Header=BB4_3091 Depth=2
	v_or_b32_sdwa v4, v10, s50 dst_sel:DWORD dst_unused:UNUSED_PAD src0_sel:BYTE_3 src1_sel:DWORD
; %bb.3469:                             ;   in Loop: Header=BB4_3091 Depth=2
	s_or_b64 exec, exec, s[18:19]
	v_lshrrev_b32_e32 v10, 16, v17
	v_cmp_ne_u16_sdwa s[18:19], v10, v51 src0_sel:BYTE_0 src1_sel:DWORD
	v_mov_b32_e32 v5, 0
	s_and_saveexec_b64 s[20:21], s[18:19]
	s_cbranch_execz .LBB4_3475
; %bb.3470:                             ;   in Loop: Header=BB4_3091 Depth=2
	v_cmp_ne_u16_sdwa s[18:19], v10, s49 src0_sel:BYTE_0 src1_sel:DWORD
	v_bfrev_b32_e32 v5, 1
	s_and_saveexec_b64 s[88:89], s[18:19]
	s_cbranch_execz .LBB4_3474
; %bb.3471:                             ;   in Loop: Header=BB4_3091 Depth=2
	v_bfe_u32 v11, v17, 16, 7
	v_cmp_ne_u32_e64 s[18:19], s50, v11
	v_mov_b32_e32 v5, 0x7f800001
	s_and_saveexec_b64 s[90:91], s[18:19]
	s_cbranch_execz .LBB4_3473
; %bb.3472:                             ;   in Loop: Header=BB4_3091 Depth=2
	v_and_b32_e32 v5, 7, v10
	v_lshrrev_b32_e32 v25, 3, v11
	v_cmp_gt_u32_e64 s[18:19], 8, v11
	v_ffbh_u32_e32 v11, v5
	v_min_u32_e32 v11, 32, v11
	v_subrev_u32_e32 v14, 28, v11
	v_lshlrev_b64 v[14:15], v14, v[10:11]
	v_sub_u32_e32 v11, 29, v11
	v_and_b32_e32 v14, 7, v14
	v_cndmask_b32_e64 v11, v25, v11, s[18:19]
	v_cndmask_b32_e64 v5, v5, v14, s[18:19]
	v_lshlrev_b32_e32 v10, 24, v10
	v_lshlrev_b32_e32 v5, 20, v5
	v_and_b32_e32 v10, 0x80000000, v10
	v_lshl_add_u32 v11, v11, 23, v62
	v_or3_b32 v5, v10, v11, v5
.LBB4_3473:                             ;   in Loop: Header=BB4_3091 Depth=2
	s_or_b64 exec, exec, s[90:91]
.LBB4_3474:                             ;   in Loop: Header=BB4_3091 Depth=2
	s_or_b64 exec, exec, s[88:89]
.LBB4_3475:                             ;   in Loop: Header=BB4_3091 Depth=2
	s_or_b64 exec, exec, s[20:21]
	v_lshrrev_b32_e32 v10, 16, v13
	v_cmp_gt_i16_sdwa s[20:21], v10, s50 src0_sel:BYTE_0 src1_sel:DWORD
	s_mov_b64 s[18:19], 0
	s_and_saveexec_b64 s[88:89], s[20:21]
	s_xor_b64 s[20:21], exec, s[88:89]
	s_cbranch_execz .LBB4_3537
; %bb.3476:                             ;   in Loop: Header=BB4_3091 Depth=2
	v_cmp_eq_u16_sdwa s[90:91], v10, s49 src0_sel:BYTE_0 src1_sel:DWORD
	s_mov_b64 s[18:19], -1
	s_and_saveexec_b64 s[88:89], s[90:91]
; %bb.3477:                             ;   in Loop: Header=BB4_3091 Depth=2
	s_xor_b64 s[18:19], exec, -1
; %bb.3478:                             ;   in Loop: Header=BB4_3091 Depth=2
	s_or_b64 exec, exec, s[88:89]
	s_and_b64 s[18:19], s[18:19], exec
	s_or_saveexec_b64 s[20:21], s[20:21]
	v_bfrev_b32_e32 v11, 1
	s_xor_b64 exec, exec, s[20:21]
	s_cbranch_execnz .LBB4_3538
.LBB4_3479:                             ;   in Loop: Header=BB4_3091 Depth=2
	s_or_b64 exec, exec, s[20:21]
	s_and_saveexec_b64 s[20:21], s[18:19]
	s_cbranch_execz .LBB4_3481
.LBB4_3480:                             ;   in Loop: Header=BB4_3091 Depth=2
	v_and_b32_e32 v11, 7, v10
	v_ffbh_u32_e32 v14, v11
	v_min_u32_e32 v49, 32, v14
	v_subrev_u32_e32 v14, 28, v49
	v_lshlrev_b64 v[14:15], v14, v[10:11]
	v_and_b32_e32 v25, 0x7f, v10
	v_bfe_u32 v48, v10, 3, 4
	v_sub_u32_e32 v15, 29, v49
	v_and_b32_e32 v14, 7, v14
	v_cmp_gt_u32_e64 s[18:19], 8, v25
	v_cndmask_b32_e64 v15, v48, v15, s[18:19]
	v_cndmask_b32_e64 v11, v11, v14, s[18:19]
	v_lshlrev_b32_e32 v10, 24, v10
	v_lshlrev_b32_e32 v11, 20, v11
	v_and_b32_e32 v10, 0x80000000, v10
	v_lshl_add_u32 v14, v15, 23, v62
	v_or3_b32 v10, v10, v14, v11
	v_cmp_ne_u32_e64 s[18:19], s50, v25
	v_mov_b32_e32 v49, 0x78
	v_cndmask_b32_e64 v11, v56, v10, s[18:19]
.LBB4_3481:                             ;   in Loop: Header=BB4_3091 Depth=2
	s_or_b64 exec, exec, s[20:21]
	v_add_f32_e32 v10, v5, v11
	v_and_b32_e32 v50, 0x7f800000, v10
	v_cmp_ne_u64_e64 s[18:19], s[46:47], v[50:51]
                                        ; implicit-def: $vgpr5
	s_and_saveexec_b64 s[20:21], s[18:19]
	s_xor_b64 s[88:89], exec, s[20:21]
	s_cbranch_execz .LBB4_3495
; %bb.3482:                             ;   in Loop: Header=BB4_3091 Depth=2
	v_and_b32_e32 v50, 0x7fffffff, v10
	v_cmp_gt_u64_e64 s[18:19], s[56:57], v[50:51]
	v_and_b32_sdwa v25, v10, s49 dst_sel:DWORD dst_unused:UNUSED_PAD src0_sel:BYTE_3 src1_sel:DWORD
                                        ; implicit-def: $vgpr5
	s_and_saveexec_b64 s[20:21], s[18:19]
	s_xor_b64 s[90:91], exec, s[20:21]
	s_cbranch_execz .LBB4_3492
; %bb.3483:                             ;   in Loop: Header=BB4_3091 Depth=2
	v_mov_b32_e32 v5, 0
	v_cmp_ne_u32_e64 s[18:19], 0, v10
	s_and_saveexec_b64 s[92:93], s[18:19]
	s_cbranch_execz .LBB4_3491
; %bb.3484:                             ;   in Loop: Header=BB4_3091 Depth=2
	v_bfe_u32 v5, v10, 23, 8
	v_and_b32_e32 v11, 0x7fffff, v10
	v_cmp_gt_u32_e64 s[20:21], s51, v5
	v_sub_u32_e32 v10, 0x79, v5
	v_cmp_eq_u32_e64 s[18:19], 0, v5
	v_cndmask_b32_e64 v10, 0, v10, s[20:21]
	v_cndmask_b32_e64 v48, v10, v49, s[18:19]
	v_or_b32_e32 v14, 0x800000, v11
	v_add_u32_e32 v10, 20, v48
	v_cndmask_b32_e64 v50, v14, v11, s[18:19]
	v_lshlrev_b64 v[10:11], v10, -1
	v_add_u32_e32 v14, 19, v48
	v_lshlrev_b64 v[14:15], v14, 1
	v_bfi_b32 v11, v11, 0, 0
	v_bfi_b32 v10, v10, 0, v50
	v_cmp_eq_u64_e64 s[20:21], v[10:11], v[14:15]
	v_lshrrev_b64 v[10:11], v48, v[50:51]
	v_mov_b32_e32 v15, v11
	v_mov_b32_e32 v14, v10
	s_and_saveexec_b64 s[94:95], s[20:21]
; %bb.3485:                             ;   in Loop: Header=BB4_3091 Depth=2
	v_bfe_u32 v11, v10, 20, 1
	v_add_co_u32_e64 v11, s[20:21], v10, v11
	v_add_co_u32_e64 v14, s[20:21], -1, v11
; %bb.3486:                             ;   in Loop: Header=BB4_3091 Depth=2
	s_or_b64 exec, exec, s[94:95]
	v_add_u32_e32 v5, 0xffffff81, v5
	v_mov_b32_e32 v11, 0xffffff82
	v_cndmask_b32_e64 v5, v5, v11, s[18:19]
	v_lshrrev_b32_e32 v11, 23, v10
	v_add3_u32 v48, v48, v5, v11
	v_add_u32_e32 v15, 6, v48
	v_and_b32_e32 v5, 0xfffff, v14
	v_add_u32_e32 v50, v5, v10
	v_cmp_ne_u32_e64 s[18:19], 0, v15
                                        ; implicit-def: $vgpr10_vgpr11
                                        ; implicit-def: $vgpr5
	s_and_saveexec_b64 s[20:21], s[18:19]
	s_xor_b64 s[20:21], exec, s[20:21]
; %bb.3487:                             ;   in Loop: Header=BB4_3091 Depth=2
	v_cmp_lt_u64_e64 s[18:19], s[58:59], v[50:51]
	v_add_u32_e32 v5, 7, v48
	v_cndmask_b32_e64 v10, 0, 1, s[18:19]
	v_cndmask_b32_e64 v5, v15, v5, s[18:19]
	v_lshrrev_b64 v[10:11], v10, v[50:51]
; %bb.3488:                             ;   in Loop: Header=BB4_3091 Depth=2
	s_andn2_saveexec_b64 s[18:19], s[20:21]
; %bb.3489:                             ;   in Loop: Header=BB4_3091 Depth=2
	v_mov_b32_e32 v10, v50
	v_bfe_u32 v5, v50, 23, 1
	v_mov_b32_e32 v11, v51
; %bb.3490:                             ;   in Loop: Header=BB4_3091 Depth=2
	s_or_b64 exec, exec, s[18:19]
	v_lshrrev_b64 v[10:11], 20, v[10:11]
	v_cmp_gt_i32_e64 s[18:19], 16, v5
	v_cndmask_b32_e64 v11, 0, v11, s[18:19]
	v_cndmask_b32_e64 v10, 7, v10, s[18:19]
	v_cmp_eq_u32_e64 s[18:19], 0, v5
	v_min_i32_e32 v5, 15, v5
	v_cmp_eq_u64_e64 s[20:21], 0, v[10:11]
	v_lshlrev_b32_e32 v5, 3, v5
	v_and_b32_e32 v5, 0xf8, v5
	v_and_or_b32 v5, v10, 7, v5
	s_and_b64 s[18:19], s[18:19], s[20:21]
	v_cndmask_b32_e64 v5, v5, 0, s[18:19]
	v_or_b32_e32 v5, v5, v25
.LBB4_3491:                             ;   in Loop: Header=BB4_3091 Depth=2
	s_or_b64 exec, exec, s[92:93]
                                        ; implicit-def: $vgpr25
.LBB4_3492:                             ;   in Loop: Header=BB4_3091 Depth=2
	s_andn2_saveexec_b64 s[18:19], s[90:91]
; %bb.3493:                             ;   in Loop: Header=BB4_3091 Depth=2
	v_or_b32_e32 v5, 0x7e, v25
; %bb.3494:                             ;   in Loop: Header=BB4_3091 Depth=2
	s_or_b64 exec, exec, s[18:19]
                                        ; implicit-def: $vgpr10
.LBB4_3495:                             ;   in Loop: Header=BB4_3091 Depth=2
	s_andn2_saveexec_b64 s[18:19], s[88:89]
; %bb.3496:                             ;   in Loop: Header=BB4_3091 Depth=2
	v_or_b32_sdwa v5, v10, s50 dst_sel:DWORD dst_unused:UNUSED_PAD src0_sel:BYTE_3 src1_sel:DWORD
; %bb.3497:                             ;   in Loop: Header=BB4_3091 Depth=2
	s_or_b64 exec, exec, s[18:19]
	v_cmp_lt_u64_e64 s[18:19], s[60:61], v[16:17]
	v_mov_b32_e32 v11, 0
	s_and_saveexec_b64 s[20:21], s[18:19]
	s_cbranch_execz .LBB4_3503
; %bb.3498:                             ;   in Loop: Header=BB4_3091 Depth=2
	v_lshrrev_b32_e32 v10, 24, v17
	v_cmp_ne_u32_e64 s[18:19], s49, v10
	v_bfrev_b32_e32 v11, 1
	s_and_saveexec_b64 s[88:89], s[18:19]
	s_cbranch_execz .LBB4_3502
; %bb.3499:                             ;   in Loop: Header=BB4_3091 Depth=2
	v_bfe_u32 v14, v17, 24, 7
	v_cmp_ne_u32_e64 s[18:19], s50, v14
	v_mov_b32_e32 v11, 0x7f800001
	s_and_saveexec_b64 s[90:91], s[18:19]
	s_cbranch_execz .LBB4_3501
; %bb.3500:                             ;   in Loop: Header=BB4_3091 Depth=2
	v_and_b32_e32 v11, 7, v10
	v_lshrrev_b32_e32 v16, 3, v14
	v_cmp_gt_u32_e64 s[18:19], 8, v14
	v_ffbh_u32_e32 v14, v11
	v_min_u32_e32 v17, 32, v14
	v_subrev_u32_e32 v14, 28, v17
	v_lshlrev_b64 v[14:15], v14, v[10:11]
	v_sub_u32_e32 v15, 29, v17
	v_and_b32_e32 v14, 7, v14
	v_cndmask_b32_e64 v15, v16, v15, s[18:19]
	v_cndmask_b32_e64 v11, v11, v14, s[18:19]
	v_lshlrev_b32_e32 v10, 24, v10
	v_lshlrev_b32_e32 v11, 20, v11
	v_and_b32_e32 v10, 0x80000000, v10
	v_lshl_add_u32 v14, v15, 23, v62
	v_or3_b32 v11, v10, v14, v11
.LBB4_3501:                             ;   in Loop: Header=BB4_3091 Depth=2
	s_or_b64 exec, exec, s[90:91]
.LBB4_3502:                             ;   in Loop: Header=BB4_3091 Depth=2
	s_or_b64 exec, exec, s[88:89]
.LBB4_3503:                             ;   in Loop: Header=BB4_3091 Depth=2
	s_or_b64 exec, exec, s[20:21]
	v_bfe_u32 v16, v13, 24, 3
	v_ffbh_u32_e32 v14, v16
	v_min_u32_e32 v48, 32, v14
	v_lshrrev_b32_e32 v10, 24, v13
	v_subrev_u32_e32 v14, 28, v48
	v_lshlrev_b64 v[14:15], v14, v[10:11]
	v_bfe_u32 v17, v13, 24, 7
	v_bfe_u32 v25, v10, 3, 4
	v_sub_u32_e32 v15, 29, v48
	v_and_b32_e32 v14, 7, v14
	v_cmp_gt_u32_e64 s[18:19], 8, v17
	v_cndmask_b32_e64 v15, v25, v15, s[18:19]
	v_cndmask_b32_e64 v14, v16, v14, s[18:19]
	v_lshlrev_b32_e32 v14, 20, v14
	v_and_b32_e32 v16, 0x80000000, v13
	v_lshl_add_u32 v15, v15, 23, v62
	v_or3_b32 v14, v16, v15, v14
	v_cmp_ne_u32_e64 s[18:19], s50, v17
	v_cndmask_b32_e64 v14, v56, v14, s[18:19]
	v_cmp_ne_u32_e64 s[18:19], s49, v10
	v_bfrev_b32_e32 v10, 1
	v_cndmask_b32_e64 v10, v10, v14, s[18:19]
	v_cmp_lt_u64_e64 s[18:19], s[60:61], v[12:13]
	v_cndmask_b32_e64 v10, 0, v10, s[18:19]
	v_add_f32_e32 v11, v10, v11
	v_and_b32_e32 v50, 0x7f800000, v11
	v_cmp_ne_u64_e64 s[18:19], s[46:47], v[50:51]
                                        ; implicit-def: $vgpr10
	s_and_saveexec_b64 s[20:21], s[18:19]
	s_xor_b64 s[88:89], exec, s[20:21]
	s_cbranch_execz .LBB4_3517
; %bb.3504:                             ;   in Loop: Header=BB4_3091 Depth=2
	v_and_b32_e32 v50, 0x7fffffff, v11
	v_cmp_gt_u64_e64 s[18:19], s[56:57], v[50:51]
	v_and_b32_sdwa v13, v11, s49 dst_sel:DWORD dst_unused:UNUSED_PAD src0_sel:BYTE_3 src1_sel:DWORD
                                        ; implicit-def: $vgpr10
	s_and_saveexec_b64 s[20:21], s[18:19]
	s_xor_b64 s[90:91], exec, s[20:21]
	s_cbranch_execz .LBB4_3514
; %bb.3505:                             ;   in Loop: Header=BB4_3091 Depth=2
	v_mov_b32_e32 v10, 0
	v_cmp_ne_u32_e64 s[18:19], 0, v11
	s_and_saveexec_b64 s[92:93], s[18:19]
	s_cbranch_execz .LBB4_3513
; %bb.3506:                             ;   in Loop: Header=BB4_3091 Depth=2
	v_bfe_u32 v14, v11, 23, 8
	v_and_b32_e32 v10, 0x7fffff, v11
	v_cmp_gt_u32_e64 s[20:21], s51, v14
	v_sub_u32_e32 v11, 0x79, v14
	v_cmp_eq_u32_e64 s[18:19], 0, v14
	v_cndmask_b32_e64 v11, 0, v11, s[20:21]
	v_or_b32_e32 v12, 0x800000, v10
	v_cndmask_b32_e64 v15, v11, v49, s[18:19]
	v_cndmask_b32_e64 v50, v12, v10, s[18:19]
	v_add_u32_e32 v10, 20, v15
	v_lshlrev_b64 v[10:11], v10, -1
	v_add_u32_e32 v12, 19, v15
	v_lshlrev_b64 v[16:17], v12, 1
	v_bfi_b32 v11, v11, 0, 0
	v_bfi_b32 v10, v10, 0, v50
	v_cmp_eq_u64_e64 s[20:21], v[10:11], v[16:17]
	v_lshrrev_b64 v[10:11], v15, v[50:51]
	v_mov_b32_e32 v12, v11
	v_mov_b32_e32 v11, v10
	s_and_saveexec_b64 s[94:95], s[20:21]
; %bb.3507:                             ;   in Loop: Header=BB4_3091 Depth=2
	v_bfe_u32 v11, v10, 20, 1
	v_add_co_u32_e64 v11, s[20:21], v10, v11
	v_add_co_u32_e64 v11, s[20:21], -1, v11
; %bb.3508:                             ;   in Loop: Header=BB4_3091 Depth=2
	s_or_b64 exec, exec, s[94:95]
	v_add_u32_e32 v12, 0xffffff81, v14
	v_mov_b32_e32 v14, 0xffffff82
	v_cndmask_b32_e64 v12, v12, v14, s[18:19]
	v_lshrrev_b32_e32 v14, 23, v10
	v_add3_u32 v15, v15, v12, v14
	v_add_u32_e32 v14, 6, v15
	v_and_b32_e32 v11, 0xfffff, v11
	v_add_u32_e32 v50, v11, v10
	v_cmp_ne_u32_e64 s[18:19], 0, v14
                                        ; implicit-def: $vgpr10_vgpr11
                                        ; implicit-def: $vgpr12
	s_and_saveexec_b64 s[20:21], s[18:19]
	s_xor_b64 s[20:21], exec, s[20:21]
; %bb.3509:                             ;   in Loop: Header=BB4_3091 Depth=2
	v_cmp_lt_u64_e64 s[18:19], s[58:59], v[50:51]
	v_add_u32_e32 v10, 7, v15
	v_cndmask_b32_e64 v12, v14, v10, s[18:19]
	v_cndmask_b32_e64 v10, 0, 1, s[18:19]
	v_lshrrev_b64 v[10:11], v10, v[50:51]
; %bb.3510:                             ;   in Loop: Header=BB4_3091 Depth=2
	s_andn2_saveexec_b64 s[18:19], s[20:21]
; %bb.3511:                             ;   in Loop: Header=BB4_3091 Depth=2
	v_mov_b32_e32 v10, v50
	v_bfe_u32 v12, v50, 23, 1
	v_mov_b32_e32 v11, v51
; %bb.3512:                             ;   in Loop: Header=BB4_3091 Depth=2
	s_or_b64 exec, exec, s[18:19]
	v_lshrrev_b64 v[10:11], 20, v[10:11]
	v_cmp_gt_i32_e64 s[18:19], 16, v12
	v_cndmask_b32_e64 v11, 0, v11, s[18:19]
	v_cndmask_b32_e64 v10, 7, v10, s[18:19]
	v_cmp_eq_u64_e64 s[20:21], 0, v[10:11]
	v_min_i32_e32 v11, 15, v12
	v_lshlrev_b32_e32 v11, 3, v11
	v_cmp_eq_u32_e64 s[18:19], 0, v12
	v_and_b32_e32 v11, 0xf8, v11
	v_and_or_b32 v10, v10, 7, v11
	s_and_b64 s[18:19], s[18:19], s[20:21]
	v_cndmask_b32_e64 v10, v10, 0, s[18:19]
	v_or_b32_e32 v10, v10, v13
.LBB4_3513:                             ;   in Loop: Header=BB4_3091 Depth=2
	s_or_b64 exec, exec, s[92:93]
                                        ; implicit-def: $vgpr13
.LBB4_3514:                             ;   in Loop: Header=BB4_3091 Depth=2
	s_andn2_saveexec_b64 s[18:19], s[90:91]
; %bb.3515:                             ;   in Loop: Header=BB4_3091 Depth=2
	v_or_b32_e32 v10, 0x7e, v13
; %bb.3516:                             ;   in Loop: Header=BB4_3091 Depth=2
	s_or_b64 exec, exec, s[18:19]
                                        ; implicit-def: $vgpr11
.LBB4_3517:                             ;   in Loop: Header=BB4_3091 Depth=2
	s_andn2_saveexec_b64 s[18:19], s[88:89]
	s_cbranch_execz .LBB4_3090
; %bb.3518:                             ;   in Loop: Header=BB4_3091 Depth=2
	v_or_b32_sdwa v10, v11, s50 dst_sel:DWORD dst_unused:UNUSED_PAD src0_sel:BYTE_3 src1_sel:DWORD
	s_branch .LBB4_3090
.LBB4_3519:                             ;   in Loop: Header=BB4_3091 Depth=2
	s_or_saveexec_b64 s[20:21], s[20:21]
	v_bfrev_b32_e32 v2, 1
	s_xor_b64 exec, exec, s[20:21]
	s_cbranch_execz .LBB4_3101
.LBB4_3520:                             ;   in Loop: Header=BB4_3091 Depth=2
	v_cmp_ne_u16_sdwa s[88:89], v10, v51 src0_sel:BYTE_0 src1_sel:DWORD
	s_andn2_b64 s[18:19], s[18:19], exec
	s_and_b64 s[88:89], s[88:89], exec
	v_mov_b32_e32 v2, 0
	s_or_b64 s[18:19], s[18:19], s[88:89]
	s_or_b64 exec, exec, s[20:21]
	s_and_saveexec_b64 s[20:21], s[18:19]
	s_cbranch_execnz .LBB4_3102
	s_branch .LBB4_3103
.LBB4_3521:                             ;   in Loop: Header=BB4_3091 Depth=2
	s_or_saveexec_b64 s[88:89], s[88:89]
	v_bfrev_b32_e32 v2, 1
	s_xor_b64 exec, exec, s[88:89]
	s_cbranch_execz .LBB4_3129
.LBB4_3522:                             ;   in Loop: Header=BB4_3091 Depth=2
	v_cmp_ne_u16_e64 s[18:19], 0, v50
	s_andn2_b64 s[20:21], s[20:21], exec
	s_and_b64 s[18:19], s[18:19], exec
	v_mov_b32_e32 v2, 0
	s_or_b64 s[20:21], s[20:21], s[18:19]
	s_or_b64 exec, exec, s[88:89]
	s_and_saveexec_b64 s[88:89], s[20:21]
	s_cbranch_execnz .LBB4_3130
	s_branch .LBB4_3131
.LBB4_3523:                             ;   in Loop: Header=BB4_3091 Depth=2
	s_or_saveexec_b64 s[20:21], s[20:21]
	v_bfrev_b32_e32 v2, 1
	s_xor_b64 exec, exec, s[20:21]
	s_cbranch_execz .LBB4_3157
.LBB4_3524:                             ;   in Loop: Header=BB4_3091 Depth=2
	v_cmp_ne_u16_sdwa s[88:89], v24, v51 src0_sel:BYTE_0 src1_sel:DWORD
	s_andn2_b64 s[18:19], s[18:19], exec
	s_and_b64 s[88:89], s[88:89], exec
	v_mov_b32_e32 v2, 0
	s_or_b64 s[18:19], s[18:19], s[88:89]
	s_or_b64 exec, exec, s[20:21]
	s_and_saveexec_b64 s[20:21], s[18:19]
	s_cbranch_execnz .LBB4_3158
	s_branch .LBB4_3159
.LBB4_3525:                             ;   in Loop: Header=BB4_3091 Depth=2
	s_or_saveexec_b64 s[88:89], s[88:89]
	v_bfrev_b32_e32 v2, 1
	s_xor_b64 exec, exec, s[88:89]
	s_cbranch_execz .LBB4_3237
.LBB4_3526:                             ;   in Loop: Header=BB4_3091 Depth=2
	v_cmp_ne_u16_e64 s[18:19], 0, v50
	s_andn2_b64 s[20:21], s[20:21], exec
	s_and_b64 s[18:19], s[18:19], exec
	v_mov_b32_e32 v2, 0
	s_or_b64 s[20:21], s[20:21], s[18:19]
	s_or_b64 exec, exec, s[88:89]
	s_and_saveexec_b64 s[88:89], s[20:21]
	s_cbranch_execnz .LBB4_3238
	s_branch .LBB4_3239
.LBB4_3527:                             ;   in Loop: Header=BB4_3091 Depth=2
	s_or_saveexec_b64 s[20:21], s[20:21]
	v_bfrev_b32_e32 v4, 1
	s_xor_b64 exec, exec, s[20:21]
	s_cbranch_execz .LBB4_3265
.LBB4_3528:                             ;   in Loop: Header=BB4_3091 Depth=2
	v_cmp_ne_u16_sdwa s[88:89], v24, v51 src0_sel:BYTE_0 src1_sel:DWORD
	s_andn2_b64 s[18:19], s[18:19], exec
	s_and_b64 s[88:89], s[88:89], exec
	v_mov_b32_e32 v4, 0
	s_or_b64 s[18:19], s[18:19], s[88:89]
	s_or_b64 exec, exec, s[20:21]
	s_and_saveexec_b64 s[20:21], s[18:19]
	s_cbranch_execnz .LBB4_3266
	s_branch .LBB4_3267
.LBB4_3529:                             ;   in Loop: Header=BB4_3091 Depth=2
	s_or_saveexec_b64 s[20:21], s[20:21]
	v_bfrev_b32_e32 v4, 1
	s_xor_b64 exec, exec, s[20:21]
	s_cbranch_execz .LBB4_3315
.LBB4_3530:                             ;   in Loop: Header=BB4_3091 Depth=2
	v_cmp_ne_u16_sdwa s[88:89], v12, v51 src0_sel:BYTE_0 src1_sel:DWORD
	s_andn2_b64 s[18:19], s[18:19], exec
	s_and_b64 s[88:89], s[88:89], exec
	v_mov_b32_e32 v4, 0
	s_or_b64 s[18:19], s[18:19], s[88:89]
	s_or_b64 exec, exec, s[20:21]
	s_and_saveexec_b64 s[20:21], s[18:19]
	s_cbranch_execnz .LBB4_3316
	s_branch .LBB4_3317
.LBB4_3531:                             ;   in Loop: Header=BB4_3091 Depth=2
	s_or_saveexec_b64 s[88:89], s[88:89]
	v_bfrev_b32_e32 v4, 1
	s_xor_b64 exec, exec, s[88:89]
	s_cbranch_execz .LBB4_3343
.LBB4_3532:                             ;   in Loop: Header=BB4_3091 Depth=2
	v_cmp_ne_u16_e64 s[18:19], 0, v50
	s_andn2_b64 s[20:21], s[20:21], exec
	s_and_b64 s[18:19], s[18:19], exec
	v_mov_b32_e32 v4, 0
	s_or_b64 s[20:21], s[20:21], s[18:19]
	s_or_b64 exec, exec, s[88:89]
	s_and_saveexec_b64 s[88:89], s[20:21]
	s_cbranch_execnz .LBB4_3344
	s_branch .LBB4_3345
.LBB4_3533:                             ;   in Loop: Header=BB4_3091 Depth=2
	s_or_saveexec_b64 s[20:21], s[20:21]
	v_bfrev_b32_e32 v4, 1
	s_xor_b64 exec, exec, s[20:21]
	s_cbranch_execz .LBB4_3371
.LBB4_3534:                             ;   in Loop: Header=BB4_3091 Depth=2
	v_cmp_ne_u16_sdwa s[88:89], v10, v51 src0_sel:BYTE_0 src1_sel:DWORD
	s_andn2_b64 s[18:19], s[18:19], exec
	s_and_b64 s[88:89], s[88:89], exec
	v_mov_b32_e32 v4, 0
	s_or_b64 s[18:19], s[18:19], s[88:89]
	s_or_b64 exec, exec, s[20:21]
	s_and_saveexec_b64 s[20:21], s[18:19]
	s_cbranch_execnz .LBB4_3372
	s_branch .LBB4_3373
.LBB4_3535:                             ;   in Loop: Header=BB4_3091 Depth=2
	s_or_saveexec_b64 s[88:89], s[88:89]
	v_bfrev_b32_e32 v5, 1
	s_xor_b64 exec, exec, s[88:89]
	s_cbranch_execz .LBB4_3451
.LBB4_3536:                             ;   in Loop: Header=BB4_3091 Depth=2
	v_cmp_ne_u16_e64 s[18:19], 0, v50
	s_andn2_b64 s[20:21], s[20:21], exec
	s_and_b64 s[18:19], s[18:19], exec
	v_mov_b32_e32 v5, 0
	s_or_b64 s[20:21], s[20:21], s[18:19]
	s_or_b64 exec, exec, s[88:89]
	s_and_saveexec_b64 s[88:89], s[20:21]
	s_cbranch_execnz .LBB4_3452
	s_branch .LBB4_3453
.LBB4_3537:                             ;   in Loop: Header=BB4_3091 Depth=2
	s_or_saveexec_b64 s[20:21], s[20:21]
	v_bfrev_b32_e32 v11, 1
	s_xor_b64 exec, exec, s[20:21]
	s_cbranch_execz .LBB4_3479
.LBB4_3538:                             ;   in Loop: Header=BB4_3091 Depth=2
	v_cmp_ne_u16_sdwa s[88:89], v10, v51 src0_sel:BYTE_0 src1_sel:DWORD
	s_andn2_b64 s[18:19], s[18:19], exec
	s_and_b64 s[88:89], s[88:89], exec
	v_mov_b32_e32 v11, 0
	s_or_b64 s[18:19], s[18:19], s[88:89]
	s_or_b64 exec, exec, s[20:21]
	s_and_saveexec_b64 s[20:21], s[18:19]
	s_cbranch_execnz .LBB4_3480
	s_branch .LBB4_3481
.LBB4_3539:                             ;   in Loop: Header=BB4_2115 Depth=1
	s_or_b64 exec, exec, s[78:79]
.LBB4_3540:                             ;   in Loop: Header=BB4_2115 Depth=1
	s_or_b64 exec, exec, s[76:77]
	buffer_load_dword v1, off, s[0:3], s33 offset:140 ; 4-byte Folded Reload
	v_mov_b32_e32 v5, 0
	s_mov_b64 s[20:21], 0
                                        ; implicit-def: $vgpr20
	s_waitcnt vmcnt(0)
	v_and_b32_e32 v1, 15, v1
	v_cndmask_b32_e32 v0, v0, v1, vcc
	v_cmp_ne_u32_e64 s[18:19], 0, v0
                                        ; implicit-def: $vgpr1
	s_and_saveexec_b64 s[76:77], s[18:19]
	s_cbranch_execz .LBB4_3542
; %bb.3541:                             ;   in Loop: Header=BB4_2115 Depth=1
	buffer_load_dword v2, off, s[0:3], s33 offset:140 ; 4-byte Folded Reload
	s_mov_b64 s[20:21], exec
	s_waitcnt vmcnt(0)
	v_and_b32_e32 v1, 0x3f0, v2
	v_cndmask_b32_e32 v1, 0, v1, vcc
	v_and_or_b32 v5, v2, s52, v1
	buffer_load_dword v1, off, s[0:3], s33 offset:68 ; 4-byte Folded Reload
	v_cmp_lt_i32_e32 vcc, 0, v27
	s_waitcnt vmcnt(0)
	v_cndmask_b32_e32 v1, 0, v1, vcc
	v_sub_u32_e32 v1, v1, v27
	v_lshl_add_u32 v20, v1, 6, v26
	v_ashrrev_i32_e32 v1, 31, v20
	v_lshrrev_b32_e32 v1, 26, v1
	v_add_u32_e32 v1, v20, v1
	v_ashrrev_i32_e32 v1, 6, v1
.LBB4_3542:                             ;   in Loop: Header=BB4_2115 Depth=1
	s_or_b64 exec, exec, s[76:77]
	s_and_b64 s[18:19], s[20:21], exec
.LBB4_3543:                             ;   in Loop: Header=BB4_2115 Depth=1
	s_or_b64 exec, exec, s[74:75]
	s_and_saveexec_b64 s[20:21], s[18:19]
	s_cbranch_execz .LBB4_4096
.LBB4_3544:                             ;   in Loop: Header=BB4_2115 Depth=1
	v_lshrrev_b32_e32 v2, 10, v0
	v_sub_u32_e32 v21, v2, v1
	s_waitcnt vmcnt(2)
	v_ashrrev_i32_e32 v2, 31, v20
	v_cmp_lt_i32_e32 vcc, 0, v21
	v_lshrrev_b32_e32 v4, 26, v2
	s_and_saveexec_b64 s[74:75], vcc
	s_cbranch_execz .LBB4_4060
; %bb.3545:                             ;   in Loop: Header=BB4_2115 Depth=1
	v_add_u32_e32 v2, v20, v4
	v_and_b32_e32 v2, 0xffffffc0, v2
	v_sub_u32_e32 v2, v20, v2
	v_lshlrev_b32_e32 v1, 10, v1
	buffer_store_dword v4, off, s[0:3], s33 offset:76 ; 4-byte Folded Spill
	buffer_store_dword v5, off, s[0:3], s33 offset:72 ; 4-byte Folded Spill
	v_add3_u32 v4, v5, v2, v1
	s_trap 2
	ds_read_b64 v[1:2], v0
	v_ashrrev_i32_e32 v5, 31, v4
	v_add_co_u32_e32 v10, vcc, v4, v57
	v_addc_co_u32_e32 v11, vcc, v5, v58, vcc
	s_waitcnt lgkmcnt(0)
	v_add_co_u32_e32 v12, vcc, v1, v4
	v_addc_co_u32_e32 v13, vcc, v2, v5, vcc
	buffer_load_dword v1, off, s[0:3], s33 offset:164 ; 4-byte Folded Reload
	buffer_load_dword v2, off, s[0:3], s33 offset:168 ; 4-byte Folded Reload
	s_mov_b64 s[76:77], 0
	s_waitcnt vmcnt(1)
	v_add_co_u32_e32 v1, vcc, 0x3c0, v1
	s_waitcnt vmcnt(0)
	v_addc_co_u32_e32 v2, vcc, 0, v2, vcc
	v_add_co_u32_e32 v14, vcc, v1, v4
	v_addc_co_u32_e32 v15, vcc, v2, v5, vcc
	s_branch .LBB4_3547
.LBB4_3546:                             ;   in Loop: Header=BB4_3547 Depth=2
	s_or_b64 exec, exec, s[18:19]
	v_add_co_u32_e32 v16, vcc, 0xfffffc40, v14
	v_addc_co_u32_e32 v17, vcc, -1, v15, vcc
	flat_store_byte v[16:17], v24 glc slc
	v_add_co_u32_e32 v16, vcc, 0xfffffc80, v14
	v_addc_co_u32_e32 v17, vcc, -1, v15, vcc
	flat_store_byte v[16:17], v27 glc slc
	;; [unrolled: 3-line block ×11, first 2 shown]
	v_add_co_u32_e32 v16, vcc, 0xffffff00, v14
	v_addc_co_u32_e32 v17, vcc, -1, v15, vcc
	v_add_co_u32_e32 v1, vcc, 0xffffff40, v14
	flat_store_byte v[16:17], v2 glc slc
	v_addc_co_u32_e32 v2, vcc, -1, v15, vcc
	flat_store_byte v[1:2], v40 glc slc
	v_add_co_u32_e32 v1, vcc, 0xffffff80, v14
	v_addc_co_u32_e32 v2, vcc, -1, v15, vcc
	flat_store_byte v[1:2], v22 glc slc
	v_add_co_u32_e32 v1, vcc, s39, v14
	v_addc_co_u32_e32 v2, vcc, -1, v15, vcc
	flat_store_byte v[1:2], v4 glc slc
	flat_store_byte v[14:15], v5 glc slc
	buffer_load_dword v2, off, s[0:3], s33 offset:88 ; 4-byte Folded Reload
	s_nop 0
	buffer_load_dword v1, off, s[0:3], s33 offset:68 ; 4-byte Folded Reload
	s_waitcnt vmcnt(0)
	v_add_co_u32_e32 v10, vcc, v10, v2
	v_addc_co_u32_e32 v11, vcc, 0, v11, vcc
	v_add_co_u32_e32 v12, vcc, v12, v2
	v_addc_co_u32_e32 v13, vcc, 0, v13, vcc
	v_sub_u32_e32 v21, v21, v1
	v_cmp_gt_i32_e32 vcc, 1, v21
	s_or_b64 s[76:77], vcc, s[76:77]
	v_add_co_u32_e32 v14, vcc, v14, v2
	v_addc_co_u32_e32 v15, vcc, 0, v15, vcc
	s_andn2_b64 exec, exec, s[76:77]
	s_cbranch_execz .LBB4_4059
.LBB4_3547:                             ;   Parent Loop BB4_2115 Depth=1
                                        ; =>  This Inner Loop Header: Depth=2
	flat_load_ubyte v27, v[10:11] glc slc
	flat_load_ubyte v5, v[10:11] offset:64 glc slc
	flat_load_ubyte v54, v[10:11] offset:128 glc slc
	;; [unrolled: 1-line block ×15, first 2 shown]
	flat_load_ubyte v17, v[12:13] glc slc
	flat_load_ubyte v4, v[12:13] offset:64 glc slc
	flat_load_ubyte v34, v[12:13] offset:128 glc slc
	;; [unrolled: 1-line block ×15, first 2 shown]
	v_mov_b32_e32 v18, 0
	v_mov_b32_e32 v24, 0
	s_waitcnt vmcnt(0) lgkmcnt(0)
	v_cmp_ne_u16_e32 vcc, 0, v27
	s_and_saveexec_b64 s[18:19], vcc
	s_cbranch_execz .LBB4_3553
; %bb.3548:                             ;   in Loop: Header=BB4_3547 Depth=2
	v_cmp_ne_u16_e32 vcc, s49, v27
	v_bfrev_b32_e32 v24, 1
	s_and_saveexec_b64 s[78:79], vcc
	s_cbranch_execz .LBB4_3552
; %bb.3549:                             ;   in Loop: Header=BB4_3547 Depth=2
	v_and_b32_e32 v16, 0xffff, v27
	v_and_b32_e32 v48, 0x7f, v16
	v_cmp_ne_u32_e32 vcc, s50, v48
	v_mov_b32_e32 v24, 0x7f800001
	s_and_saveexec_b64 s[88:89], vcc
	s_cbranch_execz .LBB4_3551
; %bb.3550:                             ;   in Loop: Header=BB4_3547 Depth=2
	v_and_b32_e32 v19, 7, v16
	v_lshrrev_b32_e32 v24, 3, v48
	v_cmp_gt_u32_e32 vcc, 8, v48
	v_ffbh_u32_e32 v48, v19
	v_min_u32_e32 v50, 32, v48
	v_subrev_u32_e32 v48, 28, v50
	v_lshlrev_b64 v[48:49], v48, v[16:17]
	v_sub_u32_e32 v16, 29, v50
	v_and_b32_e32 v48, 7, v48
	v_cndmask_b32_e32 v16, v24, v16, vcc
	v_cndmask_b32_e32 v19, v19, v48, vcc
	v_lshlrev_b32_e32 v24, 24, v27
	v_lshlrev_b32_e32 v19, 20, v19
	v_and_b32_e32 v24, 0x80000000, v24
	v_lshl_add_u32 v16, v16, 23, v62
	v_mov_b32_e32 v49, 0x78
	v_or3_b32 v24, v24, v16, v19
.LBB4_3551:                             ;   in Loop: Header=BB4_3547 Depth=2
	s_or_b64 exec, exec, s[88:89]
.LBB4_3552:                             ;   in Loop: Header=BB4_3547 Depth=2
	s_or_b64 exec, exec, s[78:79]
.LBB4_3553:                             ;   in Loop: Header=BB4_3547 Depth=2
	s_or_b64 exec, exec, s[18:19]
	v_and_b32_e32 v16, 0xff, v17
	v_cmp_ne_u16_e32 vcc, 0, v16
	s_and_saveexec_b64 s[18:19], vcc
	s_cbranch_execz .LBB4_3559
; %bb.3554:                             ;   in Loop: Header=BB4_3547 Depth=2
	v_cmp_ne_u16_e32 vcc, s49, v16
	v_bfrev_b32_e32 v18, 1
	s_and_saveexec_b64 s[78:79], vcc
	s_cbranch_execz .LBB4_3558
; %bb.3555:                             ;   in Loop: Header=BB4_3547 Depth=2
	v_and_b32_e32 v27, 0x7f, v17
	v_cmp_ne_u32_e32 vcc, s50, v27
	v_mov_b32_e32 v18, 0x7f800001
	s_and_saveexec_b64 s[88:89], vcc
	s_cbranch_execz .LBB4_3557
; %bb.3556:                             ;   in Loop: Header=BB4_3547 Depth=2
	v_and_b32_e32 v18, 7, v16
	v_lshrrev_b32_e32 v19, 3, v27
	v_cmp_gt_u32_e32 vcc, 8, v27
	v_ffbh_u32_e32 v27, v18
	v_min_u32_e32 v27, 32, v27
	v_subrev_u32_e32 v48, 28, v27
	v_lshlrev_b64 v[48:49], v48, v[16:17]
	v_sub_u32_e32 v16, 29, v27
	v_and_b32_e32 v27, 7, v48
	v_cndmask_b32_e32 v16, v19, v16, vcc
	v_cndmask_b32_e32 v18, v18, v27, vcc
	v_lshlrev_b32_e32 v17, 24, v17
	v_lshlrev_b32_e32 v18, 20, v18
	v_and_b32_e32 v17, 0x80000000, v17
	v_lshl_add_u32 v16, v16, 23, v62
	v_mov_b32_e32 v49, 0x78
	v_or3_b32 v18, v17, v16, v18
.LBB4_3557:                             ;   in Loop: Header=BB4_3547 Depth=2
	s_or_b64 exec, exec, s[88:89]
.LBB4_3558:                             ;   in Loop: Header=BB4_3547 Depth=2
	s_or_b64 exec, exec, s[78:79]
.LBB4_3559:                             ;   in Loop: Header=BB4_3547 Depth=2
	s_or_b64 exec, exec, s[18:19]
	v_add_f32_e32 v16, v24, v18
	v_and_b32_e32 v50, 0x7f800000, v16
	v_cmp_ne_u64_e32 vcc, s[46:47], v[50:51]
                                        ; implicit-def: $vgpr24
	s_and_saveexec_b64 s[18:19], vcc
	s_xor_b64 s[78:79], exec, s[18:19]
	s_cbranch_execz .LBB4_3577
; %bb.3560:                             ;   in Loop: Header=BB4_3547 Depth=2
	v_and_b32_e32 v50, 0x7fffffff, v16
	v_cmp_gt_u64_e32 vcc, s[56:57], v[50:51]
	v_and_b32_sdwa v27, v16, s49 dst_sel:DWORD dst_unused:UNUSED_PAD src0_sel:BYTE_3 src1_sel:DWORD
                                        ; implicit-def: $vgpr24
	s_and_saveexec_b64 s[18:19], vcc
	s_xor_b64 s[88:89], exec, s[18:19]
	s_cbranch_execz .LBB4_3574
; %bb.3561:                             ;   in Loop: Header=BB4_3547 Depth=2
	v_cmp_ne_u32_e32 vcc, 0, v16
	v_mov_b32_e32 v24, 0
	s_and_saveexec_b64 s[90:91], vcc
	s_cbranch_execz .LBB4_3573
; %bb.3562:                             ;   in Loop: Header=BB4_3547 Depth=2
	v_bfe_u32 v24, v16, 23, 8
	v_and_b32_e32 v17, 0x7fffff, v16
	v_cmp_gt_u32_e64 s[18:19], s51, v24
	v_sub_u32_e32 v16, 0x79, v24
	v_cmp_eq_u32_e32 vcc, 0, v24
	v_cndmask_b32_e64 v16, 0, v16, s[18:19]
	v_cndmask_b32_e32 v48, v16, v49, vcc
	v_or_b32_e32 v18, 0x800000, v17
	v_add_u32_e32 v16, 20, v48
	v_cndmask_b32_e32 v50, v18, v17, vcc
	v_lshlrev_b64 v[16:17], v16, -1
	v_add_u32_e32 v18, 19, v48
	v_lshlrev_b64 v[18:19], v18, 1
	v_bfi_b32 v17, v17, 0, 0
	v_bfi_b32 v16, v16, 0, v50
	v_cmp_eq_u64_e64 s[18:19], v[16:17], v[18:19]
	v_lshrrev_b64 v[16:17], v48, v[50:51]
	v_mov_b32_e32 v18, v17
	v_mov_b32_e32 v17, v16
	s_and_saveexec_b64 s[92:93], s[18:19]
; %bb.3563:                             ;   in Loop: Header=BB4_3547 Depth=2
	v_bfe_u32 v17, v16, 20, 1
	v_add_co_u32_e64 v17, s[18:19], v16, v17
	v_add_co_u32_e64 v17, s[18:19], -1, v17
; %bb.3564:                             ;   in Loop: Header=BB4_3547 Depth=2
	s_or_b64 exec, exec, s[92:93]
	v_add_u32_e32 v18, 0xffffff81, v24
	v_mov_b32_e32 v19, 0xffffff82
	v_cndmask_b32_e32 v18, v18, v19, vcc
	v_lshrrev_b32_e32 v19, 23, v16
	v_add3_u32 v48, v48, v18, v19
	v_add_u32_e32 v24, 6, v48
	v_and_b32_e32 v17, 0xfffff, v17
	v_add_u32_e32 v50, v17, v16
	v_cmp_ne_u32_e32 vcc, 0, v24
                                        ; implicit-def: $vgpr16_vgpr17
                                        ; implicit-def: $vgpr18
	s_and_saveexec_b64 s[18:19], vcc
	s_xor_b64 s[18:19], exec, s[18:19]
; %bb.3565:                             ;   in Loop: Header=BB4_3547 Depth=2
	v_cmp_lt_u64_e32 vcc, s[58:59], v[50:51]
	v_add_u32_e32 v16, 7, v48
	v_cndmask_b32_e32 v18, v24, v16, vcc
	v_cndmask_b32_e64 v16, 0, 1, vcc
	v_lshrrev_b64 v[16:17], v16, v[50:51]
; %bb.3566:                             ;   in Loop: Header=BB4_3547 Depth=2
	s_andn2_saveexec_b64 s[18:19], s[18:19]
; %bb.3567:                             ;   in Loop: Header=BB4_3547 Depth=2
	v_mov_b32_e32 v16, v50
	v_bfe_u32 v18, v50, 23, 1
	v_mov_b32_e32 v17, v51
; %bb.3568:                             ;   in Loop: Header=BB4_3547 Depth=2
	s_or_b64 exec, exec, s[18:19]
	v_lshrrev_b64 v[16:17], 20, v[16:17]
	v_cmp_gt_i32_e32 vcc, 16, v18
	v_cndmask_b32_e32 v17, 0, v17, vcc
	v_cndmask_b32_e32 v16, 7, v16, vcc
	v_cmp_ne_u64_e32 vcc, 0, v[16:17]
	v_cmp_ne_u32_e64 s[18:19], 0, v18
	s_or_b64 s[18:19], s[18:19], vcc
                                        ; implicit-def: $vgpr24
	s_and_saveexec_b64 s[92:93], s[18:19]
	s_xor_b64 s[18:19], exec, s[92:93]
; %bb.3569:                             ;   in Loop: Header=BB4_3547 Depth=2
	v_min_i32_e32 v17, 15, v18
	v_lshl_or_b32 v17, v17, 3, v27
	v_and_or_b32 v24, v16, 7, v17
                                        ; implicit-def: $vgpr27
; %bb.3570:                             ;   in Loop: Header=BB4_3547 Depth=2
	s_andn2_saveexec_b64 s[18:19], s[18:19]
; %bb.3571:                             ;   in Loop: Header=BB4_3547 Depth=2
	v_mov_b32_e32 v24, v27
; %bb.3572:                             ;   in Loop: Header=BB4_3547 Depth=2
	s_or_b64 exec, exec, s[18:19]
.LBB4_3573:                             ;   in Loop: Header=BB4_3547 Depth=2
	s_or_b64 exec, exec, s[90:91]
                                        ; implicit-def: $vgpr27
.LBB4_3574:                             ;   in Loop: Header=BB4_3547 Depth=2
	s_andn2_saveexec_b64 s[18:19], s[88:89]
; %bb.3575:                             ;   in Loop: Header=BB4_3547 Depth=2
	v_or_b32_e32 v24, 0x7e, v27
; %bb.3576:                             ;   in Loop: Header=BB4_3547 Depth=2
	s_or_b64 exec, exec, s[18:19]
                                        ; implicit-def: $vgpr16
.LBB4_3577:                             ;   in Loop: Header=BB4_3547 Depth=2
	s_andn2_saveexec_b64 s[18:19], s[78:79]
; %bb.3578:                             ;   in Loop: Header=BB4_3547 Depth=2
	v_or_b32_sdwa v24, v16, s50 dst_sel:DWORD dst_unused:UNUSED_PAD src0_sel:BYTE_3 src1_sel:DWORD
; %bb.3579:                             ;   in Loop: Header=BB4_3547 Depth=2
	s_or_b64 exec, exec, s[18:19]
	v_and_b32_e32 v16, 0xff, v5
	v_cmp_ne_u16_e32 vcc, 0, v16
	v_mov_b32_e32 v17, 0
	v_mov_b32_e32 v18, 0
	s_and_saveexec_b64 s[18:19], vcc
	s_cbranch_execz .LBB4_3585
; %bb.3580:                             ;   in Loop: Header=BB4_3547 Depth=2
	v_cmp_ne_u16_e32 vcc, s49, v16
	v_bfrev_b32_e32 v18, 1
	s_and_saveexec_b64 s[78:79], vcc
	s_cbranch_execz .LBB4_3584
; %bb.3581:                             ;   in Loop: Header=BB4_3547 Depth=2
	v_and_b32_e32 v27, 0x7f, v5
	v_cmp_ne_u32_e32 vcc, s50, v27
	v_mov_b32_e32 v18, 0x7f800001
	s_and_saveexec_b64 s[88:89], vcc
	s_cbranch_execz .LBB4_3583
; %bb.3582:                             ;   in Loop: Header=BB4_3547 Depth=2
	v_and_b32_e32 v48, 7, v16
	v_ffbh_u32_e32 v18, v48
	v_lshrrev_b32_e32 v49, 3, v27
	v_cmp_gt_u32_e32 vcc, 8, v27
	v_min_u32_e32 v27, 32, v18
	v_subrev_u32_e32 v18, 28, v27
	v_lshlrev_b64 v[18:19], v18, v[16:17]
	v_sub_u32_e32 v16, 29, v27
	v_and_b32_e32 v18, 7, v18
	v_cndmask_b32_e32 v16, v49, v16, vcc
	v_cndmask_b32_e32 v18, v48, v18, vcc
	v_lshlrev_b32_e32 v5, 24, v5
	v_lshlrev_b32_e32 v18, 20, v18
	v_and_b32_e32 v5, 0x80000000, v5
	v_lshl_add_u32 v16, v16, 23, v62
	v_mov_b32_e32 v49, 0x78
	v_or3_b32 v18, v5, v16, v18
.LBB4_3583:                             ;   in Loop: Header=BB4_3547 Depth=2
	s_or_b64 exec, exec, s[88:89]
.LBB4_3584:                             ;   in Loop: Header=BB4_3547 Depth=2
	s_or_b64 exec, exec, s[78:79]
.LBB4_3585:                             ;   in Loop: Header=BB4_3547 Depth=2
	s_or_b64 exec, exec, s[18:19]
	v_and_b32_e32 v16, 0xff, v4
	v_cmp_ne_u16_e32 vcc, 0, v16
	s_and_saveexec_b64 s[18:19], vcc
	s_cbranch_execz .LBB4_3591
; %bb.3586:                             ;   in Loop: Header=BB4_3547 Depth=2
	v_cmp_ne_u16_e32 vcc, s49, v16
	v_bfrev_b32_e32 v17, 1
	s_and_saveexec_b64 s[78:79], vcc
	s_cbranch_execz .LBB4_3590
; %bb.3587:                             ;   in Loop: Header=BB4_3547 Depth=2
	v_and_b32_e32 v5, 0x7f, v4
	v_cmp_ne_u32_e32 vcc, s50, v5
	v_mov_b32_e32 v17, 0x7f800001
	s_and_saveexec_b64 s[88:89], vcc
	s_cbranch_execz .LBB4_3589
; %bb.3588:                             ;   in Loop: Header=BB4_3547 Depth=2
	v_and_b32_e32 v19, 7, v16
	v_lshrrev_b32_e32 v27, 3, v5
	v_cmp_gt_u32_e32 vcc, 8, v5
	v_ffbh_u32_e32 v5, v19
	v_min_u32_e32 v5, 32, v5
	v_subrev_u32_e32 v17, 28, v5
	v_lshlrev_b64 v[16:17], v17, v[16:17]
	v_sub_u32_e32 v5, 29, v5
	v_and_b32_e32 v16, 7, v16
	v_cndmask_b32_e32 v5, v27, v5, vcc
	v_cndmask_b32_e32 v16, v19, v16, vcc
	v_lshlrev_b32_e32 v4, 24, v4
	v_lshlrev_b32_e32 v16, 20, v16
	v_and_b32_e32 v4, 0x80000000, v4
	v_lshl_add_u32 v5, v5, 23, v62
	v_or3_b32 v17, v4, v5, v16
.LBB4_3589:                             ;   in Loop: Header=BB4_3547 Depth=2
	s_or_b64 exec, exec, s[88:89]
.LBB4_3590:                             ;   in Loop: Header=BB4_3547 Depth=2
	s_or_b64 exec, exec, s[78:79]
.LBB4_3591:                             ;   in Loop: Header=BB4_3547 Depth=2
	s_or_b64 exec, exec, s[18:19]
	v_add_f32_e32 v5, v18, v17
	v_and_b32_e32 v50, 0x7f800000, v5
	v_cmp_ne_u64_e32 vcc, s[46:47], v[50:51]
                                        ; implicit-def: $vgpr27
	s_and_saveexec_b64 s[18:19], vcc
	s_xor_b64 s[78:79], exec, s[18:19]
	s_cbranch_execz .LBB4_3609
; %bb.3592:                             ;   in Loop: Header=BB4_3547 Depth=2
	v_and_b32_e32 v50, 0x7fffffff, v5
	v_cmp_gt_u64_e32 vcc, s[56:57], v[50:51]
	v_and_b32_sdwa v4, v5, s49 dst_sel:DWORD dst_unused:UNUSED_PAD src0_sel:BYTE_3 src1_sel:DWORD
                                        ; implicit-def: $vgpr27
	s_and_saveexec_b64 s[18:19], vcc
	s_xor_b64 s[88:89], exec, s[18:19]
	s_cbranch_execz .LBB4_3606
; %bb.3593:                             ;   in Loop: Header=BB4_3547 Depth=2
	v_cmp_ne_u32_e32 vcc, 0, v5
	v_mov_b32_e32 v27, 0
	s_and_saveexec_b64 s[90:91], vcc
	s_cbranch_execz .LBB4_3605
; %bb.3594:                             ;   in Loop: Header=BB4_3547 Depth=2
	v_and_b32_e32 v16, 0x7fffff, v5
	v_bfe_u32 v5, v5, 23, 8
	v_cmp_gt_u32_e64 s[18:19], s51, v5
	v_sub_u32_e32 v17, 0x79, v5
	v_cmp_eq_u32_e32 vcc, 0, v5
	v_cndmask_b32_e64 v17, 0, v17, s[18:19]
	v_or_b32_e32 v18, 0x800000, v16
	v_cndmask_b32_e32 v27, v17, v49, vcc
	v_cndmask_b32_e32 v50, v18, v16, vcc
	v_add_u32_e32 v16, 20, v27
	v_lshlrev_b64 v[16:17], v16, -1
	v_add_u32_e32 v18, 19, v27
	v_lshlrev_b64 v[18:19], v18, 1
	v_bfi_b32 v17, v17, 0, 0
	v_bfi_b32 v16, v16, 0, v50
	v_cmp_eq_u64_e64 s[18:19], v[16:17], v[18:19]
	v_lshrrev_b64 v[16:17], v27, v[50:51]
	v_mov_b32_e32 v18, v17
	v_mov_b32_e32 v17, v16
	s_and_saveexec_b64 s[92:93], s[18:19]
; %bb.3595:                             ;   in Loop: Header=BB4_3547 Depth=2
	v_bfe_u32 v17, v16, 20, 1
	v_add_co_u32_e64 v17, s[18:19], v16, v17
	v_add_co_u32_e64 v17, s[18:19], -1, v17
; %bb.3596:                             ;   in Loop: Header=BB4_3547 Depth=2
	s_or_b64 exec, exec, s[92:93]
	v_add_u32_e32 v5, 0xffffff81, v5
	v_mov_b32_e32 v18, 0xffffff82
	v_cndmask_b32_e32 v5, v5, v18, vcc
	v_lshrrev_b32_e32 v18, 23, v16
	v_add3_u32 v27, v27, v5, v18
	v_add_u32_e32 v18, 6, v27
	v_and_b32_e32 v5, 0xfffff, v17
	v_add_u32_e32 v50, v5, v16
	v_cmp_ne_u32_e32 vcc, 0, v18
                                        ; implicit-def: $vgpr16_vgpr17
                                        ; implicit-def: $vgpr5
	s_and_saveexec_b64 s[18:19], vcc
	s_xor_b64 s[18:19], exec, s[18:19]
; %bb.3597:                             ;   in Loop: Header=BB4_3547 Depth=2
	v_cmp_lt_u64_e32 vcc, s[58:59], v[50:51]
	v_add_u32_e32 v5, 7, v27
	v_cndmask_b32_e64 v16, 0, 1, vcc
	v_lshrrev_b64 v[16:17], v16, v[50:51]
	v_cndmask_b32_e32 v5, v18, v5, vcc
; %bb.3598:                             ;   in Loop: Header=BB4_3547 Depth=2
	s_andn2_saveexec_b64 s[18:19], s[18:19]
; %bb.3599:                             ;   in Loop: Header=BB4_3547 Depth=2
	v_mov_b32_e32 v16, v50
	v_bfe_u32 v5, v50, 23, 1
	v_mov_b32_e32 v17, v51
; %bb.3600:                             ;   in Loop: Header=BB4_3547 Depth=2
	s_or_b64 exec, exec, s[18:19]
	v_lshrrev_b64 v[16:17], 20, v[16:17]
	v_cmp_gt_i32_e32 vcc, 16, v5
	v_cndmask_b32_e32 v17, 0, v17, vcc
	v_cndmask_b32_e32 v16, 7, v16, vcc
	v_cmp_ne_u64_e32 vcc, 0, v[16:17]
	v_cmp_ne_u32_e64 s[18:19], 0, v5
	s_or_b64 s[18:19], s[18:19], vcc
                                        ; implicit-def: $vgpr27
	s_and_saveexec_b64 s[92:93], s[18:19]
	s_xor_b64 s[18:19], exec, s[92:93]
; %bb.3601:                             ;   in Loop: Header=BB4_3547 Depth=2
	v_min_i32_e32 v5, 15, v5
	v_lshl_or_b32 v4, v5, 3, v4
	v_and_or_b32 v27, v16, 7, v4
                                        ; implicit-def: $vgpr4
; %bb.3602:                             ;   in Loop: Header=BB4_3547 Depth=2
	s_andn2_saveexec_b64 s[18:19], s[18:19]
; %bb.3603:                             ;   in Loop: Header=BB4_3547 Depth=2
	v_mov_b32_e32 v27, v4
; %bb.3604:                             ;   in Loop: Header=BB4_3547 Depth=2
	s_or_b64 exec, exec, s[18:19]
.LBB4_3605:                             ;   in Loop: Header=BB4_3547 Depth=2
	s_or_b64 exec, exec, s[90:91]
                                        ; implicit-def: $vgpr4
.LBB4_3606:                             ;   in Loop: Header=BB4_3547 Depth=2
	s_andn2_saveexec_b64 s[18:19], s[88:89]
; %bb.3607:                             ;   in Loop: Header=BB4_3547 Depth=2
	v_or_b32_e32 v27, 0x7e, v4
; %bb.3608:                             ;   in Loop: Header=BB4_3547 Depth=2
	s_or_b64 exec, exec, s[18:19]
                                        ; implicit-def: $vgpr5
.LBB4_3609:                             ;   in Loop: Header=BB4_3547 Depth=2
	s_andn2_saveexec_b64 s[18:19], s[78:79]
; %bb.3610:                             ;   in Loop: Header=BB4_3547 Depth=2
	v_or_b32_sdwa v27, v5, s50 dst_sel:DWORD dst_unused:UNUSED_PAD src0_sel:BYTE_3 src1_sel:DWORD
; %bb.3611:                             ;   in Loop: Header=BB4_3547 Depth=2
	s_or_b64 exec, exec, s[18:19]
	v_and_b32_e32 v16, 0xff, v54
	v_cmp_ne_u16_e32 vcc, 0, v16
	v_mov_b32_e32 v4, 0
	v_mov_b32_e32 v5, 0
	s_and_saveexec_b64 s[18:19], vcc
	s_cbranch_execz .LBB4_3617
; %bb.3612:                             ;   in Loop: Header=BB4_3547 Depth=2
	v_cmp_ne_u16_e32 vcc, s49, v16
	v_bfrev_b32_e32 v5, 1
	s_and_saveexec_b64 s[78:79], vcc
	s_cbranch_execz .LBB4_3616
; %bb.3613:                             ;   in Loop: Header=BB4_3547 Depth=2
	v_and_b32_e32 v17, 0x7f, v54
	v_cmp_ne_u32_e32 vcc, s50, v17
	v_mov_b32_e32 v5, 0x7f800001
	s_and_saveexec_b64 s[88:89], vcc
	s_cbranch_execz .LBB4_3615
; %bb.3614:                             ;   in Loop: Header=BB4_3547 Depth=2
	v_and_b32_e32 v5, 7, v16
	v_lshrrev_b32_e32 v18, 3, v17
	v_cmp_gt_u32_e32 vcc, 8, v17
	v_ffbh_u32_e32 v17, v5
	v_min_u32_e32 v19, 32, v17
	v_subrev_u32_e32 v17, 28, v19
	v_lshlrev_b64 v[16:17], v17, v[16:17]
	v_sub_u32_e32 v17, 29, v19
	v_and_b32_e32 v16, 7, v16
	v_cndmask_b32_e32 v17, v18, v17, vcc
	v_cndmask_b32_e32 v5, v5, v16, vcc
	v_lshlrev_b32_e32 v16, 24, v54
	v_lshlrev_b32_e32 v5, 20, v5
	v_and_b32_e32 v16, 0x80000000, v16
	v_lshl_add_u32 v17, v17, 23, v62
	v_or3_b32 v5, v16, v17, v5
.LBB4_3615:                             ;   in Loop: Header=BB4_3547 Depth=2
	s_or_b64 exec, exec, s[88:89]
.LBB4_3616:                             ;   in Loop: Header=BB4_3547 Depth=2
	s_or_b64 exec, exec, s[78:79]
.LBB4_3617:                             ;   in Loop: Header=BB4_3547 Depth=2
	s_or_b64 exec, exec, s[18:19]
	v_and_b32_e32 v16, 0xff, v34
	v_cmp_ne_u16_e32 vcc, 0, v16
	s_and_saveexec_b64 s[18:19], vcc
	s_cbranch_execz .LBB4_3623
; %bb.3618:                             ;   in Loop: Header=BB4_3547 Depth=2
	v_cmp_ne_u16_e32 vcc, s49, v16
	v_bfrev_b32_e32 v4, 1
	s_and_saveexec_b64 s[78:79], vcc
	s_cbranch_execz .LBB4_3622
; %bb.3619:                             ;   in Loop: Header=BB4_3547 Depth=2
	v_and_b32_e32 v17, 0x7f, v34
	v_cmp_ne_u32_e32 vcc, s50, v17
	v_mov_b32_e32 v4, 0x7f800001
	s_and_saveexec_b64 s[88:89], vcc
	s_cbranch_execz .LBB4_3621
; %bb.3620:                             ;   in Loop: Header=BB4_3547 Depth=2
	v_and_b32_e32 v4, 7, v16
	v_lshrrev_b32_e32 v18, 3, v17
	v_cmp_gt_u32_e32 vcc, 8, v17
	v_ffbh_u32_e32 v17, v4
	v_min_u32_e32 v19, 32, v17
	v_subrev_u32_e32 v17, 28, v19
	v_lshlrev_b64 v[16:17], v17, v[16:17]
	v_sub_u32_e32 v17, 29, v19
	v_and_b32_e32 v16, 7, v16
	v_cndmask_b32_e32 v17, v18, v17, vcc
	v_cndmask_b32_e32 v4, v4, v16, vcc
	v_lshlrev_b32_e32 v16, 24, v34
	v_lshlrev_b32_e32 v4, 20, v4
	v_and_b32_e32 v16, 0x80000000, v16
	v_lshl_add_u32 v17, v17, 23, v62
	v_or3_b32 v4, v16, v17, v4
.LBB4_3621:                             ;   in Loop: Header=BB4_3547 Depth=2
	s_or_b64 exec, exec, s[88:89]
.LBB4_3622:                             ;   in Loop: Header=BB4_3547 Depth=2
	s_or_b64 exec, exec, s[78:79]
.LBB4_3623:                             ;   in Loop: Header=BB4_3547 Depth=2
	s_or_b64 exec, exec, s[18:19]
	v_add_f32_e32 v5, v5, v4
	v_and_b32_e32 v50, 0x7f800000, v5
	v_cmp_ne_u64_e32 vcc, s[46:47], v[50:51]
                                        ; implicit-def: $vgpr34
	s_and_saveexec_b64 s[18:19], vcc
	s_xor_b64 s[78:79], exec, s[18:19]
	s_cbranch_execz .LBB4_3641
; %bb.3624:                             ;   in Loop: Header=BB4_3547 Depth=2
	v_and_b32_e32 v50, 0x7fffffff, v5
	v_cmp_gt_u64_e32 vcc, s[56:57], v[50:51]
	v_and_b32_sdwa v4, v5, s49 dst_sel:DWORD dst_unused:UNUSED_PAD src0_sel:BYTE_3 src1_sel:DWORD
                                        ; implicit-def: $vgpr34
	s_and_saveexec_b64 s[18:19], vcc
	s_xor_b64 s[88:89], exec, s[18:19]
	s_cbranch_execz .LBB4_3638
; %bb.3625:                             ;   in Loop: Header=BB4_3547 Depth=2
	v_cmp_ne_u32_e32 vcc, 0, v5
	v_mov_b32_e32 v34, 0
	s_and_saveexec_b64 s[90:91], vcc
	s_cbranch_execz .LBB4_3637
; %bb.3626:                             ;   in Loop: Header=BB4_3547 Depth=2
	v_and_b32_e32 v16, 0x7fffff, v5
	v_bfe_u32 v5, v5, 23, 8
	v_cmp_gt_u32_e64 s[18:19], s51, v5
	v_sub_u32_e32 v17, 0x79, v5
	v_cmp_eq_u32_e32 vcc, 0, v5
	v_cndmask_b32_e64 v17, 0, v17, s[18:19]
	v_or_b32_e32 v18, 0x800000, v16
	v_cndmask_b32_e32 v34, v17, v49, vcc
	v_cndmask_b32_e32 v50, v18, v16, vcc
	v_add_u32_e32 v16, 20, v34
	v_lshlrev_b64 v[16:17], v16, -1
	v_add_u32_e32 v18, 19, v34
	v_lshlrev_b64 v[18:19], v18, 1
	v_bfi_b32 v17, v17, 0, 0
	v_bfi_b32 v16, v16, 0, v50
	v_cmp_eq_u64_e64 s[18:19], v[16:17], v[18:19]
	v_lshrrev_b64 v[16:17], v34, v[50:51]
	v_mov_b32_e32 v18, v17
	v_mov_b32_e32 v17, v16
	s_and_saveexec_b64 s[92:93], s[18:19]
; %bb.3627:                             ;   in Loop: Header=BB4_3547 Depth=2
	v_bfe_u32 v17, v16, 20, 1
	v_add_co_u32_e64 v17, s[18:19], v16, v17
	v_add_co_u32_e64 v17, s[18:19], -1, v17
; %bb.3628:                             ;   in Loop: Header=BB4_3547 Depth=2
	s_or_b64 exec, exec, s[92:93]
	v_add_u32_e32 v5, 0xffffff81, v5
	v_mov_b32_e32 v18, 0xffffff82
	v_cndmask_b32_e32 v5, v5, v18, vcc
	v_lshrrev_b32_e32 v18, 23, v16
	v_add3_u32 v34, v34, v5, v18
	v_add_u32_e32 v18, 6, v34
	v_and_b32_e32 v5, 0xfffff, v17
	v_add_u32_e32 v50, v5, v16
	v_cmp_ne_u32_e32 vcc, 0, v18
                                        ; implicit-def: $vgpr16_vgpr17
                                        ; implicit-def: $vgpr5
	s_and_saveexec_b64 s[18:19], vcc
	s_xor_b64 s[18:19], exec, s[18:19]
; %bb.3629:                             ;   in Loop: Header=BB4_3547 Depth=2
	v_cmp_lt_u64_e32 vcc, s[58:59], v[50:51]
	v_add_u32_e32 v5, 7, v34
	v_cndmask_b32_e64 v16, 0, 1, vcc
	v_lshrrev_b64 v[16:17], v16, v[50:51]
	v_cndmask_b32_e32 v5, v18, v5, vcc
; %bb.3630:                             ;   in Loop: Header=BB4_3547 Depth=2
	s_andn2_saveexec_b64 s[18:19], s[18:19]
; %bb.3631:                             ;   in Loop: Header=BB4_3547 Depth=2
	v_mov_b32_e32 v16, v50
	v_bfe_u32 v5, v50, 23, 1
	v_mov_b32_e32 v17, v51
; %bb.3632:                             ;   in Loop: Header=BB4_3547 Depth=2
	s_or_b64 exec, exec, s[18:19]
	v_lshrrev_b64 v[16:17], 20, v[16:17]
	v_cmp_gt_i32_e32 vcc, 16, v5
	v_cndmask_b32_e32 v17, 0, v17, vcc
	v_cndmask_b32_e32 v16, 7, v16, vcc
	v_cmp_ne_u64_e32 vcc, 0, v[16:17]
	v_cmp_ne_u32_e64 s[18:19], 0, v5
	s_or_b64 s[18:19], s[18:19], vcc
                                        ; implicit-def: $vgpr34
	s_and_saveexec_b64 s[92:93], s[18:19]
	s_xor_b64 s[18:19], exec, s[92:93]
; %bb.3633:                             ;   in Loop: Header=BB4_3547 Depth=2
	v_min_i32_e32 v5, 15, v5
	v_lshl_or_b32 v4, v5, 3, v4
	v_and_or_b32 v34, v16, 7, v4
                                        ; implicit-def: $vgpr4
; %bb.3634:                             ;   in Loop: Header=BB4_3547 Depth=2
	s_andn2_saveexec_b64 s[18:19], s[18:19]
; %bb.3635:                             ;   in Loop: Header=BB4_3547 Depth=2
	v_mov_b32_e32 v34, v4
; %bb.3636:                             ;   in Loop: Header=BB4_3547 Depth=2
	s_or_b64 exec, exec, s[18:19]
.LBB4_3637:                             ;   in Loop: Header=BB4_3547 Depth=2
	s_or_b64 exec, exec, s[90:91]
                                        ; implicit-def: $vgpr4
.LBB4_3638:                             ;   in Loop: Header=BB4_3547 Depth=2
	s_andn2_saveexec_b64 s[18:19], s[88:89]
; %bb.3639:                             ;   in Loop: Header=BB4_3547 Depth=2
	v_or_b32_e32 v34, 0x7e, v4
; %bb.3640:                             ;   in Loop: Header=BB4_3547 Depth=2
	s_or_b64 exec, exec, s[18:19]
                                        ; implicit-def: $vgpr5
.LBB4_3641:                             ;   in Loop: Header=BB4_3547 Depth=2
	s_andn2_saveexec_b64 s[18:19], s[78:79]
; %bb.3642:                             ;   in Loop: Header=BB4_3547 Depth=2
	v_or_b32_sdwa v34, v5, s50 dst_sel:DWORD dst_unused:UNUSED_PAD src0_sel:BYTE_3 src1_sel:DWORD
; %bb.3643:                             ;   in Loop: Header=BB4_3547 Depth=2
	s_or_b64 exec, exec, s[18:19]
	v_and_b32_e32 v16, 0xff, v22
	v_cmp_ne_u16_e32 vcc, 0, v16
	v_mov_b32_e32 v4, 0
	v_mov_b32_e32 v5, 0
	s_and_saveexec_b64 s[18:19], vcc
	s_cbranch_execz .LBB4_3649
; %bb.3644:                             ;   in Loop: Header=BB4_3547 Depth=2
	v_cmp_ne_u16_e32 vcc, s49, v16
	v_bfrev_b32_e32 v5, 1
	s_and_saveexec_b64 s[78:79], vcc
	s_cbranch_execz .LBB4_3648
; %bb.3645:                             ;   in Loop: Header=BB4_3547 Depth=2
	v_and_b32_e32 v17, 0x7f, v22
	v_cmp_ne_u32_e32 vcc, s50, v17
	v_mov_b32_e32 v5, 0x7f800001
	s_and_saveexec_b64 s[88:89], vcc
	s_cbranch_execz .LBB4_3647
; %bb.3646:                             ;   in Loop: Header=BB4_3547 Depth=2
	v_and_b32_e32 v5, 7, v16
	v_lshrrev_b32_e32 v18, 3, v17
	v_cmp_gt_u32_e32 vcc, 8, v17
	v_ffbh_u32_e32 v17, v5
	v_min_u32_e32 v19, 32, v17
	v_subrev_u32_e32 v17, 28, v19
	v_lshlrev_b64 v[16:17], v17, v[16:17]
	v_sub_u32_e32 v17, 29, v19
	v_and_b32_e32 v16, 7, v16
	v_cndmask_b32_e32 v17, v18, v17, vcc
	v_cndmask_b32_e32 v5, v5, v16, vcc
	v_lshlrev_b32_e32 v16, 24, v22
	v_lshlrev_b32_e32 v5, 20, v5
	v_and_b32_e32 v16, 0x80000000, v16
	v_lshl_add_u32 v17, v17, 23, v62
	v_or3_b32 v5, v16, v17, v5
.LBB4_3647:                             ;   in Loop: Header=BB4_3547 Depth=2
	s_or_b64 exec, exec, s[88:89]
.LBB4_3648:                             ;   in Loop: Header=BB4_3547 Depth=2
	s_or_b64 exec, exec, s[78:79]
.LBB4_3649:                             ;   in Loop: Header=BB4_3547 Depth=2
	s_or_b64 exec, exec, s[18:19]
	v_and_b32_e32 v16, 0xff, v55
	v_cmp_ne_u16_e32 vcc, 0, v16
	s_and_saveexec_b64 s[18:19], vcc
	s_cbranch_execz .LBB4_3655
; %bb.3650:                             ;   in Loop: Header=BB4_3547 Depth=2
	v_cmp_ne_u16_e32 vcc, s49, v16
	v_bfrev_b32_e32 v4, 1
	s_and_saveexec_b64 s[78:79], vcc
	s_cbranch_execz .LBB4_3654
; %bb.3651:                             ;   in Loop: Header=BB4_3547 Depth=2
	v_and_b32_e32 v17, 0x7f, v55
	v_cmp_ne_u32_e32 vcc, s50, v17
	v_mov_b32_e32 v4, 0x7f800001
	s_and_saveexec_b64 s[88:89], vcc
	s_cbranch_execz .LBB4_3653
; %bb.3652:                             ;   in Loop: Header=BB4_3547 Depth=2
	v_and_b32_e32 v4, 7, v16
	v_lshrrev_b32_e32 v18, 3, v17
	v_cmp_gt_u32_e32 vcc, 8, v17
	v_ffbh_u32_e32 v17, v4
	v_min_u32_e32 v19, 32, v17
	v_subrev_u32_e32 v17, 28, v19
	v_lshlrev_b64 v[16:17], v17, v[16:17]
	v_sub_u32_e32 v17, 29, v19
	v_and_b32_e32 v16, 7, v16
	v_cndmask_b32_e32 v17, v18, v17, vcc
	v_cndmask_b32_e32 v4, v4, v16, vcc
	v_lshlrev_b32_e32 v16, 24, v55
	v_lshlrev_b32_e32 v4, 20, v4
	v_and_b32_e32 v16, 0x80000000, v16
	v_lshl_add_u32 v17, v17, 23, v62
	v_or3_b32 v4, v16, v17, v4
.LBB4_3653:                             ;   in Loop: Header=BB4_3547 Depth=2
	s_or_b64 exec, exec, s[88:89]
.LBB4_3654:                             ;   in Loop: Header=BB4_3547 Depth=2
	s_or_b64 exec, exec, s[78:79]
.LBB4_3655:                             ;   in Loop: Header=BB4_3547 Depth=2
	s_or_b64 exec, exec, s[18:19]
	v_add_f32_e32 v5, v5, v4
	v_and_b32_e32 v50, 0x7f800000, v5
	v_cmp_ne_u64_e32 vcc, s[46:47], v[50:51]
                                        ; implicit-def: $vgpr55
	s_and_saveexec_b64 s[18:19], vcc
	s_xor_b64 s[78:79], exec, s[18:19]
	s_cbranch_execz .LBB4_3673
; %bb.3656:                             ;   in Loop: Header=BB4_3547 Depth=2
	v_and_b32_e32 v50, 0x7fffffff, v5
	v_cmp_gt_u64_e32 vcc, s[56:57], v[50:51]
	v_and_b32_sdwa v4, v5, s49 dst_sel:DWORD dst_unused:UNUSED_PAD src0_sel:BYTE_3 src1_sel:DWORD
                                        ; implicit-def: $vgpr55
	s_and_saveexec_b64 s[18:19], vcc
	s_xor_b64 s[88:89], exec, s[18:19]
	s_cbranch_execz .LBB4_3670
; %bb.3657:                             ;   in Loop: Header=BB4_3547 Depth=2
	v_cmp_ne_u32_e32 vcc, 0, v5
	v_mov_b32_e32 v55, 0
	s_and_saveexec_b64 s[90:91], vcc
	s_cbranch_execz .LBB4_3669
; %bb.3658:                             ;   in Loop: Header=BB4_3547 Depth=2
	v_and_b32_e32 v16, 0x7fffff, v5
	v_bfe_u32 v5, v5, 23, 8
	v_cmp_gt_u32_e64 s[18:19], s51, v5
	v_sub_u32_e32 v17, 0x79, v5
	v_cmp_eq_u32_e32 vcc, 0, v5
	v_cndmask_b32_e64 v17, 0, v17, s[18:19]
	v_or_b32_e32 v18, 0x800000, v16
	v_cndmask_b32_e32 v22, v17, v49, vcc
	v_cndmask_b32_e32 v50, v18, v16, vcc
	v_add_u32_e32 v16, 20, v22
	v_lshlrev_b64 v[16:17], v16, -1
	v_add_u32_e32 v18, 19, v22
	v_lshlrev_b64 v[18:19], v18, 1
	v_bfi_b32 v17, v17, 0, 0
	v_bfi_b32 v16, v16, 0, v50
	v_cmp_eq_u64_e64 s[18:19], v[16:17], v[18:19]
	v_lshrrev_b64 v[16:17], v22, v[50:51]
	v_mov_b32_e32 v18, v17
	v_mov_b32_e32 v17, v16
	s_and_saveexec_b64 s[92:93], s[18:19]
; %bb.3659:                             ;   in Loop: Header=BB4_3547 Depth=2
	v_bfe_u32 v17, v16, 20, 1
	v_add_co_u32_e64 v17, s[18:19], v16, v17
	v_add_co_u32_e64 v17, s[18:19], -1, v17
; %bb.3660:                             ;   in Loop: Header=BB4_3547 Depth=2
	s_or_b64 exec, exec, s[92:93]
	v_add_u32_e32 v5, 0xffffff81, v5
	v_mov_b32_e32 v18, 0xffffff82
	v_cndmask_b32_e32 v5, v5, v18, vcc
	v_lshrrev_b32_e32 v18, 23, v16
	v_add3_u32 v22, v22, v5, v18
	v_add_u32_e32 v18, 6, v22
	v_and_b32_e32 v5, 0xfffff, v17
	v_add_u32_e32 v50, v5, v16
	v_cmp_ne_u32_e32 vcc, 0, v18
                                        ; implicit-def: $vgpr16_vgpr17
                                        ; implicit-def: $vgpr5
	s_and_saveexec_b64 s[18:19], vcc
	s_xor_b64 s[18:19], exec, s[18:19]
; %bb.3661:                             ;   in Loop: Header=BB4_3547 Depth=2
	v_cmp_lt_u64_e32 vcc, s[58:59], v[50:51]
	v_add_u32_e32 v5, 7, v22
	v_cndmask_b32_e64 v16, 0, 1, vcc
	v_lshrrev_b64 v[16:17], v16, v[50:51]
	v_cndmask_b32_e32 v5, v18, v5, vcc
; %bb.3662:                             ;   in Loop: Header=BB4_3547 Depth=2
	s_andn2_saveexec_b64 s[18:19], s[18:19]
; %bb.3663:                             ;   in Loop: Header=BB4_3547 Depth=2
	v_mov_b32_e32 v16, v50
	v_bfe_u32 v5, v50, 23, 1
	v_mov_b32_e32 v17, v51
; %bb.3664:                             ;   in Loop: Header=BB4_3547 Depth=2
	s_or_b64 exec, exec, s[18:19]
	v_lshrrev_b64 v[16:17], 20, v[16:17]
	v_cmp_gt_i32_e32 vcc, 16, v5
	v_cndmask_b32_e32 v17, 0, v17, vcc
	v_cndmask_b32_e32 v16, 7, v16, vcc
	v_cmp_ne_u64_e32 vcc, 0, v[16:17]
	v_cmp_ne_u32_e64 s[18:19], 0, v5
	s_or_b64 s[18:19], s[18:19], vcc
                                        ; implicit-def: $vgpr55
	s_and_saveexec_b64 s[92:93], s[18:19]
	s_xor_b64 s[18:19], exec, s[92:93]
; %bb.3665:                             ;   in Loop: Header=BB4_3547 Depth=2
	v_min_i32_e32 v5, 15, v5
	v_lshl_or_b32 v4, v5, 3, v4
	v_and_or_b32 v55, v16, 7, v4
                                        ; implicit-def: $vgpr4
; %bb.3666:                             ;   in Loop: Header=BB4_3547 Depth=2
	s_andn2_saveexec_b64 s[18:19], s[18:19]
; %bb.3667:                             ;   in Loop: Header=BB4_3547 Depth=2
	v_mov_b32_e32 v55, v4
; %bb.3668:                             ;   in Loop: Header=BB4_3547 Depth=2
	s_or_b64 exec, exec, s[18:19]
.LBB4_3669:                             ;   in Loop: Header=BB4_3547 Depth=2
	s_or_b64 exec, exec, s[90:91]
                                        ; implicit-def: $vgpr4
.LBB4_3670:                             ;   in Loop: Header=BB4_3547 Depth=2
	s_andn2_saveexec_b64 s[18:19], s[88:89]
; %bb.3671:                             ;   in Loop: Header=BB4_3547 Depth=2
	v_or_b32_e32 v55, 0x7e, v4
; %bb.3672:                             ;   in Loop: Header=BB4_3547 Depth=2
	s_or_b64 exec, exec, s[18:19]
                                        ; implicit-def: $vgpr5
.LBB4_3673:                             ;   in Loop: Header=BB4_3547 Depth=2
	s_andn2_saveexec_b64 s[18:19], s[78:79]
; %bb.3674:                             ;   in Loop: Header=BB4_3547 Depth=2
	v_or_b32_sdwa v55, v5, s50 dst_sel:DWORD dst_unused:UNUSED_PAD src0_sel:BYTE_3 src1_sel:DWORD
; %bb.3675:                             ;   in Loop: Header=BB4_3547 Depth=2
	s_or_b64 exec, exec, s[18:19]
	v_and_b32_e32 v16, 0xff, v28
	v_cmp_ne_u16_e32 vcc, 0, v16
	v_mov_b32_e32 v4, 0
	v_mov_b32_e32 v5, 0
	s_and_saveexec_b64 s[18:19], vcc
	s_cbranch_execz .LBB4_3681
; %bb.3676:                             ;   in Loop: Header=BB4_3547 Depth=2
	v_cmp_ne_u16_e32 vcc, s49, v16
	v_bfrev_b32_e32 v5, 1
	s_and_saveexec_b64 s[78:79], vcc
	s_cbranch_execz .LBB4_3680
; %bb.3677:                             ;   in Loop: Header=BB4_3547 Depth=2
	v_and_b32_e32 v17, 0x7f, v28
	v_cmp_ne_u32_e32 vcc, s50, v17
	v_mov_b32_e32 v5, 0x7f800001
	s_and_saveexec_b64 s[88:89], vcc
	s_cbranch_execz .LBB4_3679
; %bb.3678:                             ;   in Loop: Header=BB4_3547 Depth=2
	v_and_b32_e32 v5, 7, v16
	v_lshrrev_b32_e32 v18, 3, v17
	v_cmp_gt_u32_e32 vcc, 8, v17
	v_ffbh_u32_e32 v17, v5
	v_min_u32_e32 v19, 32, v17
	v_subrev_u32_e32 v17, 28, v19
	v_lshlrev_b64 v[16:17], v17, v[16:17]
	v_sub_u32_e32 v17, 29, v19
	v_and_b32_e32 v16, 7, v16
	v_cndmask_b32_e32 v17, v18, v17, vcc
	v_cndmask_b32_e32 v5, v5, v16, vcc
	v_lshlrev_b32_e32 v16, 24, v28
	v_lshlrev_b32_e32 v5, 20, v5
	v_and_b32_e32 v16, 0x80000000, v16
	v_lshl_add_u32 v17, v17, 23, v62
	v_or3_b32 v5, v16, v17, v5
.LBB4_3679:                             ;   in Loop: Header=BB4_3547 Depth=2
	s_or_b64 exec, exec, s[88:89]
.LBB4_3680:                             ;   in Loop: Header=BB4_3547 Depth=2
	s_or_b64 exec, exec, s[78:79]
.LBB4_3681:                             ;   in Loop: Header=BB4_3547 Depth=2
	s_or_b64 exec, exec, s[18:19]
	v_and_b32_e32 v16, 0xff, v2
	v_cmp_ne_u16_e32 vcc, 0, v16
	s_and_saveexec_b64 s[18:19], vcc
	s_cbranch_execz .LBB4_3687
; %bb.3682:                             ;   in Loop: Header=BB4_3547 Depth=2
	v_cmp_ne_u16_e32 vcc, s49, v16
	v_bfrev_b32_e32 v4, 1
	s_and_saveexec_b64 s[78:79], vcc
	s_cbranch_execz .LBB4_3686
; %bb.3683:                             ;   in Loop: Header=BB4_3547 Depth=2
	v_and_b32_e32 v17, 0x7f, v2
	v_cmp_ne_u32_e32 vcc, s50, v17
	v_mov_b32_e32 v4, 0x7f800001
	s_and_saveexec_b64 s[88:89], vcc
	s_cbranch_execz .LBB4_3685
; %bb.3684:                             ;   in Loop: Header=BB4_3547 Depth=2
	v_and_b32_e32 v4, 7, v16
	v_lshrrev_b32_e32 v18, 3, v17
	v_cmp_gt_u32_e32 vcc, 8, v17
	v_ffbh_u32_e32 v17, v4
	v_min_u32_e32 v19, 32, v17
	v_subrev_u32_e32 v17, 28, v19
	v_lshlrev_b64 v[16:17], v17, v[16:17]
	v_sub_u32_e32 v17, 29, v19
	v_and_b32_e32 v16, 7, v16
	v_cndmask_b32_e32 v17, v18, v17, vcc
	v_cndmask_b32_e32 v4, v4, v16, vcc
	v_lshlrev_b32_e32 v2, 24, v2
	v_lshlrev_b32_e32 v4, 20, v4
	v_and_b32_e32 v2, 0x80000000, v2
	v_lshl_add_u32 v16, v17, 23, v62
	v_or3_b32 v4, v2, v16, v4
.LBB4_3685:                             ;   in Loop: Header=BB4_3547 Depth=2
	s_or_b64 exec, exec, s[88:89]
.LBB4_3686:                             ;   in Loop: Header=BB4_3547 Depth=2
	s_or_b64 exec, exec, s[78:79]
.LBB4_3687:                             ;   in Loop: Header=BB4_3547 Depth=2
	s_or_b64 exec, exec, s[18:19]
	v_add_f32_e32 v4, v5, v4
	v_and_b32_e32 v50, 0x7f800000, v4
	v_cmp_ne_u64_e32 vcc, s[46:47], v[50:51]
                                        ; implicit-def: $vgpr28
	s_and_saveexec_b64 s[18:19], vcc
	s_xor_b64 s[78:79], exec, s[18:19]
	s_cbranch_execz .LBB4_3705
; %bb.3688:                             ;   in Loop: Header=BB4_3547 Depth=2
	v_and_b32_e32 v50, 0x7fffffff, v4
	v_cmp_gt_u64_e32 vcc, s[56:57], v[50:51]
	v_and_b32_sdwa v2, v4, s49 dst_sel:DWORD dst_unused:UNUSED_PAD src0_sel:BYTE_3 src1_sel:DWORD
                                        ; implicit-def: $vgpr28
	s_and_saveexec_b64 s[18:19], vcc
	s_xor_b64 s[88:89], exec, s[18:19]
	s_cbranch_execz .LBB4_3702
; %bb.3689:                             ;   in Loop: Header=BB4_3547 Depth=2
	v_cmp_ne_u32_e32 vcc, 0, v4
	v_mov_b32_e32 v28, 0
	s_and_saveexec_b64 s[90:91], vcc
	s_cbranch_execz .LBB4_3701
; %bb.3690:                             ;   in Loop: Header=BB4_3547 Depth=2
	v_and_b32_e32 v16, 0x7fffff, v4
	v_bfe_u32 v4, v4, 23, 8
	v_cmp_gt_u32_e64 s[18:19], s51, v4
	v_sub_u32_e32 v5, 0x79, v4
	v_cmp_eq_u32_e32 vcc, 0, v4
	v_cndmask_b32_e64 v5, 0, v5, s[18:19]
	v_or_b32_e32 v17, 0x800000, v16
	v_cndmask_b32_e32 v5, v5, v49, vcc
	v_cndmask_b32_e32 v50, v17, v16, vcc
	v_add_u32_e32 v16, 20, v5
	v_lshlrev_b64 v[16:17], v16, -1
	v_add_u32_e32 v18, 19, v5
	v_lshlrev_b64 v[18:19], v18, 1
	v_bfi_b32 v17, v17, 0, 0
	v_bfi_b32 v16, v16, 0, v50
	v_cmp_eq_u64_e64 s[18:19], v[16:17], v[18:19]
	v_lshrrev_b64 v[16:17], v5, v[50:51]
	v_mov_b32_e32 v18, v17
	v_mov_b32_e32 v17, v16
	s_and_saveexec_b64 s[92:93], s[18:19]
; %bb.3691:                             ;   in Loop: Header=BB4_3547 Depth=2
	v_bfe_u32 v17, v16, 20, 1
	v_add_co_u32_e64 v17, s[18:19], v16, v17
	v_add_co_u32_e64 v17, s[18:19], -1, v17
; %bb.3692:                             ;   in Loop: Header=BB4_3547 Depth=2
	s_or_b64 exec, exec, s[92:93]
	v_add_u32_e32 v4, 0xffffff81, v4
	v_mov_b32_e32 v18, 0xffffff82
	v_cndmask_b32_e32 v4, v4, v18, vcc
	v_lshrrev_b32_e32 v18, 23, v16
	v_add3_u32 v18, v5, v4, v18
	v_add_u32_e32 v5, 6, v18
	v_and_b32_e32 v4, 0xfffff, v17
	v_add_u32_e32 v50, v4, v16
	v_cmp_ne_u32_e32 vcc, 0, v5
                                        ; implicit-def: $vgpr16_vgpr17
                                        ; implicit-def: $vgpr4
	s_and_saveexec_b64 s[18:19], vcc
	s_xor_b64 s[18:19], exec, s[18:19]
; %bb.3693:                             ;   in Loop: Header=BB4_3547 Depth=2
	v_cmp_lt_u64_e32 vcc, s[58:59], v[50:51]
	v_add_u32_e32 v4, 7, v18
	v_cndmask_b32_e32 v4, v5, v4, vcc
	v_cndmask_b32_e64 v5, 0, 1, vcc
	v_lshrrev_b64 v[16:17], v5, v[50:51]
; %bb.3694:                             ;   in Loop: Header=BB4_3547 Depth=2
	s_andn2_saveexec_b64 s[18:19], s[18:19]
; %bb.3695:                             ;   in Loop: Header=BB4_3547 Depth=2
	v_mov_b32_e32 v16, v50
	v_bfe_u32 v4, v50, 23, 1
	v_mov_b32_e32 v17, v51
; %bb.3696:                             ;   in Loop: Header=BB4_3547 Depth=2
	s_or_b64 exec, exec, s[18:19]
	v_lshrrev_b64 v[16:17], 20, v[16:17]
	v_cmp_gt_i32_e32 vcc, 16, v4
	v_cndmask_b32_e32 v17, 0, v17, vcc
	v_cndmask_b32_e32 v16, 7, v16, vcc
	v_cmp_ne_u64_e32 vcc, 0, v[16:17]
	v_cmp_ne_u32_e64 s[18:19], 0, v4
	s_or_b64 s[18:19], s[18:19], vcc
                                        ; implicit-def: $vgpr28
	s_and_saveexec_b64 s[92:93], s[18:19]
	s_xor_b64 s[18:19], exec, s[92:93]
; %bb.3697:                             ;   in Loop: Header=BB4_3547 Depth=2
	v_min_i32_e32 v4, 15, v4
	v_lshl_or_b32 v2, v4, 3, v2
	v_and_or_b32 v28, v16, 7, v2
                                        ; implicit-def: $vgpr2
; %bb.3698:                             ;   in Loop: Header=BB4_3547 Depth=2
	s_andn2_saveexec_b64 s[18:19], s[18:19]
; %bb.3699:                             ;   in Loop: Header=BB4_3547 Depth=2
	v_mov_b32_e32 v28, v2
; %bb.3700:                             ;   in Loop: Header=BB4_3547 Depth=2
	s_or_b64 exec, exec, s[18:19]
.LBB4_3701:                             ;   in Loop: Header=BB4_3547 Depth=2
	s_or_b64 exec, exec, s[90:91]
                                        ; implicit-def: $vgpr2
.LBB4_3702:                             ;   in Loop: Header=BB4_3547 Depth=2
	s_andn2_saveexec_b64 s[18:19], s[88:89]
; %bb.3703:                             ;   in Loop: Header=BB4_3547 Depth=2
	v_or_b32_e32 v28, 0x7e, v2
; %bb.3704:                             ;   in Loop: Header=BB4_3547 Depth=2
	s_or_b64 exec, exec, s[18:19]
                                        ; implicit-def: $vgpr4
.LBB4_3705:                             ;   in Loop: Header=BB4_3547 Depth=2
	s_andn2_saveexec_b64 s[18:19], s[78:79]
; %bb.3706:                             ;   in Loop: Header=BB4_3547 Depth=2
	v_or_b32_sdwa v28, v4, s50 dst_sel:DWORD dst_unused:UNUSED_PAD src0_sel:BYTE_3 src1_sel:DWORD
; %bb.3707:                             ;   in Loop: Header=BB4_3547 Depth=2
	s_or_b64 exec, exec, s[18:19]
	v_and_b32_e32 v16, 0xff, v29
	v_cmp_ne_u16_e32 vcc, 0, v16
	v_mov_b32_e32 v2, 0
	v_mov_b32_e32 v4, 0
	s_and_saveexec_b64 s[18:19], vcc
	s_cbranch_execz .LBB4_3713
; %bb.3708:                             ;   in Loop: Header=BB4_3547 Depth=2
	v_cmp_ne_u16_e32 vcc, s49, v16
	v_bfrev_b32_e32 v4, 1
	s_and_saveexec_b64 s[78:79], vcc
	s_cbranch_execz .LBB4_3712
; %bb.3709:                             ;   in Loop: Header=BB4_3547 Depth=2
	v_and_b32_e32 v5, 0x7f, v29
	v_cmp_ne_u32_e32 vcc, s50, v5
	v_mov_b32_e32 v4, 0x7f800001
	s_and_saveexec_b64 s[88:89], vcc
	s_cbranch_execz .LBB4_3711
; %bb.3710:                             ;   in Loop: Header=BB4_3547 Depth=2
	v_and_b32_e32 v17, 7, v16
	v_ffbh_u32_e32 v4, v17
	v_min_u32_e32 v19, 32, v4
	v_subrev_u32_e32 v4, 28, v19
	v_lshrrev_b32_e32 v18, 3, v5
	v_cmp_gt_u32_e32 vcc, 8, v5
	v_lshlrev_b64 v[4:5], v4, v[16:17]
	v_sub_u32_e32 v5, 29, v19
	v_and_b32_e32 v4, 7, v4
	v_cndmask_b32_e32 v5, v18, v5, vcc
	v_cndmask_b32_e32 v4, v17, v4, vcc
	v_lshlrev_b32_e32 v16, 24, v29
	v_lshlrev_b32_e32 v4, 20, v4
	v_and_b32_e32 v16, 0x80000000, v16
	v_lshl_add_u32 v5, v5, 23, v62
	v_or3_b32 v4, v16, v5, v4
.LBB4_3711:                             ;   in Loop: Header=BB4_3547 Depth=2
	s_or_b64 exec, exec, s[88:89]
.LBB4_3712:                             ;   in Loop: Header=BB4_3547 Depth=2
	s_or_b64 exec, exec, s[78:79]
.LBB4_3713:                             ;   in Loop: Header=BB4_3547 Depth=2
	s_or_b64 exec, exec, s[18:19]
	v_and_b32_e32 v16, 0xff, v1
	v_cmp_ne_u16_e32 vcc, 0, v16
	s_and_saveexec_b64 s[18:19], vcc
	s_cbranch_execz .LBB4_3719
; %bb.3714:                             ;   in Loop: Header=BB4_3547 Depth=2
	v_cmp_ne_u16_e32 vcc, s49, v16
	v_bfrev_b32_e32 v2, 1
	s_and_saveexec_b64 s[78:79], vcc
	s_cbranch_execz .LBB4_3718
; %bb.3715:                             ;   in Loop: Header=BB4_3547 Depth=2
	v_and_b32_e32 v5, 0x7f, v1
	v_cmp_ne_u32_e32 vcc, s50, v5
	v_mov_b32_e32 v2, 0x7f800001
	s_and_saveexec_b64 s[88:89], vcc
	s_cbranch_execz .LBB4_3717
; %bb.3716:                             ;   in Loop: Header=BB4_3547 Depth=2
	v_and_b32_e32 v2, 7, v16
	v_lshrrev_b32_e32 v18, 3, v5
	v_cmp_gt_u32_e32 vcc, 8, v5
	v_ffbh_u32_e32 v5, v2
	v_min_u32_e32 v5, 32, v5
	v_subrev_u32_e32 v17, 28, v5
	v_lshlrev_b64 v[16:17], v17, v[16:17]
	v_sub_u32_e32 v5, 29, v5
	v_and_b32_e32 v16, 7, v16
	v_cndmask_b32_e32 v5, v18, v5, vcc
	v_cndmask_b32_e32 v2, v2, v16, vcc
	v_lshlrev_b32_e32 v1, 24, v1
	v_lshlrev_b32_e32 v2, 20, v2
	v_and_b32_e32 v1, 0x80000000, v1
	v_lshl_add_u32 v5, v5, 23, v62
	v_or3_b32 v2, v1, v5, v2
.LBB4_3717:                             ;   in Loop: Header=BB4_3547 Depth=2
	s_or_b64 exec, exec, s[88:89]
.LBB4_3718:                             ;   in Loop: Header=BB4_3547 Depth=2
	s_or_b64 exec, exec, s[78:79]
.LBB4_3719:                             ;   in Loop: Header=BB4_3547 Depth=2
	s_or_b64 exec, exec, s[18:19]
	v_add_f32_e32 v4, v4, v2
	v_and_b32_e32 v50, 0x7f800000, v4
	v_cmp_ne_u64_e32 vcc, s[46:47], v[50:51]
                                        ; implicit-def: $vgpr1
	s_and_saveexec_b64 s[18:19], vcc
	s_xor_b64 s[78:79], exec, s[18:19]
	s_cbranch_execz .LBB4_3737
; %bb.3720:                             ;   in Loop: Header=BB4_3547 Depth=2
	v_and_b32_e32 v50, 0x7fffffff, v4
	v_cmp_gt_u64_e32 vcc, s[56:57], v[50:51]
	v_and_b32_sdwa v2, v4, s49 dst_sel:DWORD dst_unused:UNUSED_PAD src0_sel:BYTE_3 src1_sel:DWORD
                                        ; implicit-def: $vgpr1
	s_and_saveexec_b64 s[18:19], vcc
	s_xor_b64 s[88:89], exec, s[18:19]
	s_cbranch_execz .LBB4_3734
; %bb.3721:                             ;   in Loop: Header=BB4_3547 Depth=2
	v_cmp_ne_u32_e32 vcc, 0, v4
	v_mov_b32_e32 v1, 0
	s_and_saveexec_b64 s[90:91], vcc
	s_cbranch_execz .LBB4_3733
; %bb.3722:                             ;   in Loop: Header=BB4_3547 Depth=2
	v_bfe_u32 v1, v4, 23, 8
	v_and_b32_e32 v5, 0x7fffff, v4
	v_cmp_gt_u32_e64 s[18:19], s51, v1
	v_sub_u32_e32 v4, 0x79, v1
	v_cmp_eq_u32_e32 vcc, 0, v1
	v_cndmask_b32_e64 v4, 0, v4, s[18:19]
	v_or_b32_e32 v16, 0x800000, v5
	v_cndmask_b32_e32 v4, v4, v49, vcc
	v_cndmask_b32_e32 v50, v16, v5, vcc
	v_add_u32_e32 v5, 20, v4
	v_lshlrev_b64 v[16:17], v5, -1
	v_add_u32_e32 v5, 19, v4
	v_lshlrev_b64 v[18:19], v5, 1
	v_bfi_b32 v17, v17, 0, 0
	v_bfi_b32 v16, v16, 0, v50
	v_cmp_eq_u64_e64 s[18:19], v[16:17], v[18:19]
	v_lshrrev_b64 v[16:17], v4, v[50:51]
	v_mov_b32_e32 v18, v17
	v_mov_b32_e32 v17, v16
	s_and_saveexec_b64 s[92:93], s[18:19]
; %bb.3723:                             ;   in Loop: Header=BB4_3547 Depth=2
	v_bfe_u32 v5, v16, 20, 1
	v_add_co_u32_e64 v5, s[18:19], v16, v5
	v_add_co_u32_e64 v17, s[18:19], -1, v5
; %bb.3724:                             ;   in Loop: Header=BB4_3547 Depth=2
	s_or_b64 exec, exec, s[92:93]
	v_add_u32_e32 v1, 0xffffff81, v1
	v_mov_b32_e32 v5, 0xffffff82
	v_cndmask_b32_e32 v1, v1, v5, vcc
	v_lshrrev_b32_e32 v5, 23, v16
	v_add3_u32 v5, v4, v1, v5
	v_add_u32_e32 v1, 6, v5
	v_and_b32_e32 v4, 0xfffff, v17
	v_add_u32_e32 v50, v4, v16
	v_cmp_ne_u32_e32 vcc, 0, v1
                                        ; implicit-def: $vgpr16_vgpr17
                                        ; implicit-def: $vgpr4
	s_and_saveexec_b64 s[18:19], vcc
	s_xor_b64 s[18:19], exec, s[18:19]
; %bb.3725:                             ;   in Loop: Header=BB4_3547 Depth=2
	v_cmp_lt_u64_e32 vcc, s[58:59], v[50:51]
	v_add_u32_e32 v4, 7, v5
	v_cndmask_b32_e32 v4, v1, v4, vcc
	v_cndmask_b32_e64 v1, 0, 1, vcc
	v_lshrrev_b64 v[16:17], v1, v[50:51]
; %bb.3726:                             ;   in Loop: Header=BB4_3547 Depth=2
	s_andn2_saveexec_b64 s[18:19], s[18:19]
; %bb.3727:                             ;   in Loop: Header=BB4_3547 Depth=2
	v_mov_b32_e32 v16, v50
	v_bfe_u32 v4, v50, 23, 1
	v_mov_b32_e32 v17, v51
; %bb.3728:                             ;   in Loop: Header=BB4_3547 Depth=2
	s_or_b64 exec, exec, s[18:19]
	v_lshrrev_b64 v[16:17], 20, v[16:17]
	v_cmp_gt_i32_e32 vcc, 16, v4
	v_cndmask_b32_e32 v17, 0, v17, vcc
	v_cndmask_b32_e32 v16, 7, v16, vcc
	v_cmp_ne_u64_e32 vcc, 0, v[16:17]
	v_cmp_ne_u32_e64 s[18:19], 0, v4
	s_or_b64 s[18:19], s[18:19], vcc
                                        ; implicit-def: $vgpr1
	s_and_saveexec_b64 s[92:93], s[18:19]
	s_xor_b64 s[18:19], exec, s[92:93]
; %bb.3729:                             ;   in Loop: Header=BB4_3547 Depth=2
	v_min_i32_e32 v1, 15, v4
	v_lshl_or_b32 v1, v1, 3, v2
	v_and_or_b32 v1, v16, 7, v1
                                        ; implicit-def: $vgpr2
; %bb.3730:                             ;   in Loop: Header=BB4_3547 Depth=2
	s_andn2_saveexec_b64 s[18:19], s[18:19]
; %bb.3731:                             ;   in Loop: Header=BB4_3547 Depth=2
	v_mov_b32_e32 v1, v2
; %bb.3732:                             ;   in Loop: Header=BB4_3547 Depth=2
	s_or_b64 exec, exec, s[18:19]
.LBB4_3733:                             ;   in Loop: Header=BB4_3547 Depth=2
	s_or_b64 exec, exec, s[90:91]
                                        ; implicit-def: $vgpr2
.LBB4_3734:                             ;   in Loop: Header=BB4_3547 Depth=2
	s_andn2_saveexec_b64 s[18:19], s[88:89]
; %bb.3735:                             ;   in Loop: Header=BB4_3547 Depth=2
	v_or_b32_e32 v1, 0x7e, v2
; %bb.3736:                             ;   in Loop: Header=BB4_3547 Depth=2
	s_or_b64 exec, exec, s[18:19]
                                        ; implicit-def: $vgpr4
.LBB4_3737:                             ;   in Loop: Header=BB4_3547 Depth=2
	s_andn2_saveexec_b64 s[18:19], s[78:79]
; %bb.3738:                             ;   in Loop: Header=BB4_3547 Depth=2
	v_or_b32_sdwa v1, v4, s50 dst_sel:DWORD dst_unused:UNUSED_PAD src0_sel:BYTE_3 src1_sel:DWORD
; %bb.3739:                             ;   in Loop: Header=BB4_3547 Depth=2
	s_or_b64 exec, exec, s[18:19]
	v_and_b32_e32 v16, 0xff, v61
	v_cmp_ne_u16_e32 vcc, 0, v16
	v_mov_b32_e32 v2, 0
	v_mov_b32_e32 v4, 0
	s_and_saveexec_b64 s[18:19], vcc
	s_cbranch_execz .LBB4_3745
; %bb.3740:                             ;   in Loop: Header=BB4_3547 Depth=2
	v_cmp_ne_u16_e32 vcc, s49, v16
	v_bfrev_b32_e32 v4, 1
	s_and_saveexec_b64 s[78:79], vcc
	s_cbranch_execz .LBB4_3744
; %bb.3741:                             ;   in Loop: Header=BB4_3547 Depth=2
	v_and_b32_e32 v5, 0x7f, v61
	v_cmp_ne_u32_e32 vcc, s50, v5
	v_mov_b32_e32 v4, 0x7f800001
	s_and_saveexec_b64 s[88:89], vcc
	s_cbranch_execz .LBB4_3743
; %bb.3742:                             ;   in Loop: Header=BB4_3547 Depth=2
	v_and_b32_e32 v17, 7, v16
	v_ffbh_u32_e32 v4, v17
	v_min_u32_e32 v19, 32, v4
	v_subrev_u32_e32 v4, 28, v19
	v_lshrrev_b32_e32 v18, 3, v5
	v_cmp_gt_u32_e32 vcc, 8, v5
	v_lshlrev_b64 v[4:5], v4, v[16:17]
	v_sub_u32_e32 v5, 29, v19
	v_and_b32_e32 v4, 7, v4
	v_cndmask_b32_e32 v5, v18, v5, vcc
	v_cndmask_b32_e32 v4, v17, v4, vcc
	v_lshlrev_b32_e32 v16, 24, v61
	v_lshlrev_b32_e32 v4, 20, v4
	v_and_b32_e32 v16, 0x80000000, v16
	v_lshl_add_u32 v5, v5, 23, v62
	v_or3_b32 v4, v16, v5, v4
.LBB4_3743:                             ;   in Loop: Header=BB4_3547 Depth=2
	s_or_b64 exec, exec, s[88:89]
.LBB4_3744:                             ;   in Loop: Header=BB4_3547 Depth=2
	s_or_b64 exec, exec, s[78:79]
.LBB4_3745:                             ;   in Loop: Header=BB4_3547 Depth=2
	s_or_b64 exec, exec, s[18:19]
	v_and_b32_e32 v16, 0xff, v46
	v_cmp_ne_u16_e32 vcc, 0, v16
	s_and_saveexec_b64 s[18:19], vcc
	s_cbranch_execz .LBB4_3751
; %bb.3746:                             ;   in Loop: Header=BB4_3547 Depth=2
	v_cmp_ne_u16_e32 vcc, s49, v16
	v_bfrev_b32_e32 v2, 1
	s_and_saveexec_b64 s[78:79], vcc
	s_cbranch_execz .LBB4_3750
; %bb.3747:                             ;   in Loop: Header=BB4_3547 Depth=2
	v_and_b32_e32 v5, 0x7f, v46
	v_cmp_ne_u32_e32 vcc, s50, v5
	v_mov_b32_e32 v2, 0x7f800001
	s_and_saveexec_b64 s[88:89], vcc
	s_cbranch_execz .LBB4_3749
; %bb.3748:                             ;   in Loop: Header=BB4_3547 Depth=2
	v_and_b32_e32 v2, 7, v16
	v_lshrrev_b32_e32 v18, 3, v5
	v_cmp_gt_u32_e32 vcc, 8, v5
	v_ffbh_u32_e32 v5, v2
	v_min_u32_e32 v5, 32, v5
	v_subrev_u32_e32 v17, 28, v5
	v_lshlrev_b64 v[16:17], v17, v[16:17]
	v_sub_u32_e32 v5, 29, v5
	v_and_b32_e32 v16, 7, v16
	v_cndmask_b32_e32 v5, v18, v5, vcc
	v_cndmask_b32_e32 v2, v2, v16, vcc
	v_lshlrev_b32_e32 v16, 24, v46
	v_lshlrev_b32_e32 v2, 20, v2
	v_and_b32_e32 v16, 0x80000000, v16
	v_lshl_add_u32 v5, v5, 23, v62
	v_or3_b32 v2, v16, v5, v2
.LBB4_3749:                             ;   in Loop: Header=BB4_3547 Depth=2
	s_or_b64 exec, exec, s[88:89]
.LBB4_3750:                             ;   in Loop: Header=BB4_3547 Depth=2
	s_or_b64 exec, exec, s[78:79]
.LBB4_3751:                             ;   in Loop: Header=BB4_3547 Depth=2
	s_or_b64 exec, exec, s[18:19]
	v_add_f32_e32 v4, v4, v2
	v_and_b32_e32 v50, 0x7f800000, v4
	v_cmp_ne_u64_e32 vcc, s[46:47], v[50:51]
                                        ; implicit-def: $vgpr46
	s_and_saveexec_b64 s[18:19], vcc
	s_xor_b64 s[78:79], exec, s[18:19]
	s_cbranch_execz .LBB4_3769
; %bb.3752:                             ;   in Loop: Header=BB4_3547 Depth=2
	v_and_b32_e32 v50, 0x7fffffff, v4
	v_cmp_gt_u64_e32 vcc, s[56:57], v[50:51]
	v_and_b32_sdwa v2, v4, s49 dst_sel:DWORD dst_unused:UNUSED_PAD src0_sel:BYTE_3 src1_sel:DWORD
                                        ; implicit-def: $vgpr46
	s_and_saveexec_b64 s[18:19], vcc
	s_xor_b64 s[88:89], exec, s[18:19]
	s_cbranch_execz .LBB4_3766
; %bb.3753:                             ;   in Loop: Header=BB4_3547 Depth=2
	v_cmp_ne_u32_e32 vcc, 0, v4
	v_mov_b32_e32 v46, 0
	s_and_saveexec_b64 s[90:91], vcc
	s_cbranch_execz .LBB4_3765
; %bb.3754:                             ;   in Loop: Header=BB4_3547 Depth=2
	v_and_b32_e32 v16, 0x7fffff, v4
	v_bfe_u32 v4, v4, 23, 8
	v_cmp_gt_u32_e64 s[18:19], s51, v4
	v_sub_u32_e32 v5, 0x79, v4
	v_cmp_eq_u32_e32 vcc, 0, v4
	v_cndmask_b32_e64 v5, 0, v5, s[18:19]
	v_or_b32_e32 v17, 0x800000, v16
	v_cndmask_b32_e32 v5, v5, v49, vcc
	v_cndmask_b32_e32 v50, v17, v16, vcc
	v_add_u32_e32 v16, 20, v5
	v_lshlrev_b64 v[16:17], v16, -1
	v_add_u32_e32 v18, 19, v5
	v_lshlrev_b64 v[18:19], v18, 1
	v_bfi_b32 v17, v17, 0, 0
	v_bfi_b32 v16, v16, 0, v50
	v_cmp_eq_u64_e64 s[18:19], v[16:17], v[18:19]
	v_lshrrev_b64 v[16:17], v5, v[50:51]
	v_mov_b32_e32 v18, v17
	v_mov_b32_e32 v17, v16
	s_and_saveexec_b64 s[92:93], s[18:19]
; %bb.3755:                             ;   in Loop: Header=BB4_3547 Depth=2
	v_bfe_u32 v17, v16, 20, 1
	v_add_co_u32_e64 v17, s[18:19], v16, v17
	v_add_co_u32_e64 v17, s[18:19], -1, v17
; %bb.3756:                             ;   in Loop: Header=BB4_3547 Depth=2
	s_or_b64 exec, exec, s[92:93]
	v_add_u32_e32 v4, 0xffffff81, v4
	v_mov_b32_e32 v18, 0xffffff82
	v_cndmask_b32_e32 v4, v4, v18, vcc
	v_lshrrev_b32_e32 v18, 23, v16
	v_add3_u32 v18, v5, v4, v18
	v_add_u32_e32 v5, 6, v18
	v_and_b32_e32 v4, 0xfffff, v17
	v_add_u32_e32 v50, v4, v16
	v_cmp_ne_u32_e32 vcc, 0, v5
                                        ; implicit-def: $vgpr16_vgpr17
                                        ; implicit-def: $vgpr4
	s_and_saveexec_b64 s[18:19], vcc
	s_xor_b64 s[18:19], exec, s[18:19]
; %bb.3757:                             ;   in Loop: Header=BB4_3547 Depth=2
	v_cmp_lt_u64_e32 vcc, s[58:59], v[50:51]
	v_add_u32_e32 v4, 7, v18
	v_cndmask_b32_e32 v4, v5, v4, vcc
	v_cndmask_b32_e64 v5, 0, 1, vcc
	v_lshrrev_b64 v[16:17], v5, v[50:51]
; %bb.3758:                             ;   in Loop: Header=BB4_3547 Depth=2
	s_andn2_saveexec_b64 s[18:19], s[18:19]
; %bb.3759:                             ;   in Loop: Header=BB4_3547 Depth=2
	v_mov_b32_e32 v16, v50
	v_bfe_u32 v4, v50, 23, 1
	v_mov_b32_e32 v17, v51
; %bb.3760:                             ;   in Loop: Header=BB4_3547 Depth=2
	s_or_b64 exec, exec, s[18:19]
	v_lshrrev_b64 v[16:17], 20, v[16:17]
	v_cmp_gt_i32_e32 vcc, 16, v4
	v_cndmask_b32_e32 v17, 0, v17, vcc
	v_cndmask_b32_e32 v16, 7, v16, vcc
	v_cmp_ne_u64_e32 vcc, 0, v[16:17]
	v_cmp_ne_u32_e64 s[18:19], 0, v4
	s_or_b64 s[18:19], s[18:19], vcc
                                        ; implicit-def: $vgpr46
	s_and_saveexec_b64 s[92:93], s[18:19]
	s_xor_b64 s[18:19], exec, s[92:93]
; %bb.3761:                             ;   in Loop: Header=BB4_3547 Depth=2
	v_min_i32_e32 v4, 15, v4
	v_lshl_or_b32 v2, v4, 3, v2
	v_and_or_b32 v46, v16, 7, v2
                                        ; implicit-def: $vgpr2
; %bb.3762:                             ;   in Loop: Header=BB4_3547 Depth=2
	s_andn2_saveexec_b64 s[18:19], s[18:19]
; %bb.3763:                             ;   in Loop: Header=BB4_3547 Depth=2
	v_mov_b32_e32 v46, v2
; %bb.3764:                             ;   in Loop: Header=BB4_3547 Depth=2
	s_or_b64 exec, exec, s[18:19]
.LBB4_3765:                             ;   in Loop: Header=BB4_3547 Depth=2
	s_or_b64 exec, exec, s[90:91]
                                        ; implicit-def: $vgpr2
.LBB4_3766:                             ;   in Loop: Header=BB4_3547 Depth=2
	s_andn2_saveexec_b64 s[18:19], s[88:89]
; %bb.3767:                             ;   in Loop: Header=BB4_3547 Depth=2
	v_or_b32_e32 v46, 0x7e, v2
; %bb.3768:                             ;   in Loop: Header=BB4_3547 Depth=2
	s_or_b64 exec, exec, s[18:19]
                                        ; implicit-def: $vgpr4
.LBB4_3769:                             ;   in Loop: Header=BB4_3547 Depth=2
	s_andn2_saveexec_b64 s[18:19], s[78:79]
; %bb.3770:                             ;   in Loop: Header=BB4_3547 Depth=2
	v_or_b32_sdwa v46, v4, s50 dst_sel:DWORD dst_unused:UNUSED_PAD src0_sel:BYTE_3 src1_sel:DWORD
; %bb.3771:                             ;   in Loop: Header=BB4_3547 Depth=2
	s_or_b64 exec, exec, s[18:19]
	v_and_b32_e32 v16, 0xff, v60
	v_cmp_ne_u16_e32 vcc, 0, v16
	v_mov_b32_e32 v2, 0
	v_mov_b32_e32 v4, 0
	s_and_saveexec_b64 s[18:19], vcc
	s_cbranch_execz .LBB4_3777
; %bb.3772:                             ;   in Loop: Header=BB4_3547 Depth=2
	v_cmp_ne_u16_e32 vcc, s49, v16
	v_bfrev_b32_e32 v4, 1
	s_and_saveexec_b64 s[78:79], vcc
	s_cbranch_execz .LBB4_3776
; %bb.3773:                             ;   in Loop: Header=BB4_3547 Depth=2
	v_and_b32_e32 v5, 0x7f, v60
	v_cmp_ne_u32_e32 vcc, s50, v5
	v_mov_b32_e32 v4, 0x7f800001
	s_and_saveexec_b64 s[88:89], vcc
	s_cbranch_execz .LBB4_3775
; %bb.3774:                             ;   in Loop: Header=BB4_3547 Depth=2
	v_and_b32_e32 v17, 7, v16
	v_ffbh_u32_e32 v4, v17
	v_min_u32_e32 v19, 32, v4
	v_subrev_u32_e32 v4, 28, v19
	v_lshrrev_b32_e32 v18, 3, v5
	v_cmp_gt_u32_e32 vcc, 8, v5
	v_lshlrev_b64 v[4:5], v4, v[16:17]
	v_sub_u32_e32 v5, 29, v19
	v_and_b32_e32 v4, 7, v4
	v_cndmask_b32_e32 v5, v18, v5, vcc
	v_cndmask_b32_e32 v4, v17, v4, vcc
	v_lshlrev_b32_e32 v16, 24, v60
	v_lshlrev_b32_e32 v4, 20, v4
	v_and_b32_e32 v16, 0x80000000, v16
	v_lshl_add_u32 v5, v5, 23, v62
	v_or3_b32 v4, v16, v5, v4
.LBB4_3775:                             ;   in Loop: Header=BB4_3547 Depth=2
	s_or_b64 exec, exec, s[88:89]
.LBB4_3776:                             ;   in Loop: Header=BB4_3547 Depth=2
	s_or_b64 exec, exec, s[78:79]
.LBB4_3777:                             ;   in Loop: Header=BB4_3547 Depth=2
	s_or_b64 exec, exec, s[18:19]
	v_and_b32_e32 v16, 0xff, v57
	v_cmp_ne_u16_e32 vcc, 0, v16
	s_and_saveexec_b64 s[18:19], vcc
	s_cbranch_execz .LBB4_3783
; %bb.3778:                             ;   in Loop: Header=BB4_3547 Depth=2
	v_cmp_ne_u16_e32 vcc, s49, v16
	v_bfrev_b32_e32 v2, 1
	s_and_saveexec_b64 s[78:79], vcc
	s_cbranch_execz .LBB4_3782
; %bb.3779:                             ;   in Loop: Header=BB4_3547 Depth=2
	v_and_b32_e32 v5, 0x7f, v57
	v_cmp_ne_u32_e32 vcc, s50, v5
	v_mov_b32_e32 v2, 0x7f800001
	s_and_saveexec_b64 s[88:89], vcc
	s_cbranch_execz .LBB4_3781
; %bb.3780:                             ;   in Loop: Header=BB4_3547 Depth=2
	v_and_b32_e32 v2, 7, v16
	v_lshrrev_b32_e32 v18, 3, v5
	v_cmp_gt_u32_e32 vcc, 8, v5
	v_ffbh_u32_e32 v5, v2
	v_min_u32_e32 v5, 32, v5
	v_subrev_u32_e32 v17, 28, v5
	v_lshlrev_b64 v[16:17], v17, v[16:17]
	v_sub_u32_e32 v5, 29, v5
	v_and_b32_e32 v16, 7, v16
	v_cndmask_b32_e32 v5, v18, v5, vcc
	v_cndmask_b32_e32 v2, v2, v16, vcc
	v_lshlrev_b32_e32 v16, 24, v57
	v_lshlrev_b32_e32 v2, 20, v2
	v_and_b32_e32 v16, 0x80000000, v16
	v_lshl_add_u32 v5, v5, 23, v62
	v_or3_b32 v2, v16, v5, v2
.LBB4_3781:                             ;   in Loop: Header=BB4_3547 Depth=2
	s_or_b64 exec, exec, s[88:89]
.LBB4_3782:                             ;   in Loop: Header=BB4_3547 Depth=2
	s_or_b64 exec, exec, s[78:79]
.LBB4_3783:                             ;   in Loop: Header=BB4_3547 Depth=2
	s_or_b64 exec, exec, s[18:19]
	v_add_f32_e32 v4, v4, v2
	v_and_b32_e32 v50, 0x7f800000, v4
	v_cmp_ne_u64_e32 vcc, s[46:47], v[50:51]
                                        ; implicit-def: $vgpr57
	s_and_saveexec_b64 s[18:19], vcc
	s_xor_b64 s[78:79], exec, s[18:19]
	s_cbranch_execz .LBB4_3801
; %bb.3784:                             ;   in Loop: Header=BB4_3547 Depth=2
	v_and_b32_e32 v50, 0x7fffffff, v4
	v_cmp_gt_u64_e32 vcc, s[56:57], v[50:51]
	v_and_b32_sdwa v2, v4, s49 dst_sel:DWORD dst_unused:UNUSED_PAD src0_sel:BYTE_3 src1_sel:DWORD
                                        ; implicit-def: $vgpr57
	s_and_saveexec_b64 s[18:19], vcc
	s_xor_b64 s[88:89], exec, s[18:19]
	s_cbranch_execz .LBB4_3798
; %bb.3785:                             ;   in Loop: Header=BB4_3547 Depth=2
	v_cmp_ne_u32_e32 vcc, 0, v4
	v_mov_b32_e32 v57, 0
	s_and_saveexec_b64 s[90:91], vcc
	s_cbranch_execz .LBB4_3797
; %bb.3786:                             ;   in Loop: Header=BB4_3547 Depth=2
	v_and_b32_e32 v16, 0x7fffff, v4
	v_bfe_u32 v4, v4, 23, 8
	v_cmp_gt_u32_e64 s[18:19], s51, v4
	v_sub_u32_e32 v5, 0x79, v4
	v_cmp_eq_u32_e32 vcc, 0, v4
	v_cndmask_b32_e64 v5, 0, v5, s[18:19]
	v_or_b32_e32 v17, 0x800000, v16
	v_cndmask_b32_e32 v5, v5, v49, vcc
	v_cndmask_b32_e32 v50, v17, v16, vcc
	v_add_u32_e32 v16, 20, v5
	v_lshlrev_b64 v[16:17], v16, -1
	v_add_u32_e32 v18, 19, v5
	v_lshlrev_b64 v[18:19], v18, 1
	v_bfi_b32 v17, v17, 0, 0
	v_bfi_b32 v16, v16, 0, v50
	v_cmp_eq_u64_e64 s[18:19], v[16:17], v[18:19]
	v_lshrrev_b64 v[16:17], v5, v[50:51]
	v_mov_b32_e32 v18, v17
	v_mov_b32_e32 v17, v16
	s_and_saveexec_b64 s[92:93], s[18:19]
; %bb.3787:                             ;   in Loop: Header=BB4_3547 Depth=2
	v_bfe_u32 v17, v16, 20, 1
	v_add_co_u32_e64 v17, s[18:19], v16, v17
	v_add_co_u32_e64 v17, s[18:19], -1, v17
; %bb.3788:                             ;   in Loop: Header=BB4_3547 Depth=2
	s_or_b64 exec, exec, s[92:93]
	v_add_u32_e32 v4, 0xffffff81, v4
	v_mov_b32_e32 v18, 0xffffff82
	v_cndmask_b32_e32 v4, v4, v18, vcc
	v_lshrrev_b32_e32 v18, 23, v16
	v_add3_u32 v18, v5, v4, v18
	v_add_u32_e32 v5, 6, v18
	v_and_b32_e32 v4, 0xfffff, v17
	v_add_u32_e32 v50, v4, v16
	v_cmp_ne_u32_e32 vcc, 0, v5
                                        ; implicit-def: $vgpr16_vgpr17
                                        ; implicit-def: $vgpr4
	s_and_saveexec_b64 s[18:19], vcc
	s_xor_b64 s[18:19], exec, s[18:19]
; %bb.3789:                             ;   in Loop: Header=BB4_3547 Depth=2
	v_cmp_lt_u64_e32 vcc, s[58:59], v[50:51]
	v_add_u32_e32 v4, 7, v18
	v_cndmask_b32_e32 v4, v5, v4, vcc
	v_cndmask_b32_e64 v5, 0, 1, vcc
	v_lshrrev_b64 v[16:17], v5, v[50:51]
; %bb.3790:                             ;   in Loop: Header=BB4_3547 Depth=2
	s_andn2_saveexec_b64 s[18:19], s[18:19]
; %bb.3791:                             ;   in Loop: Header=BB4_3547 Depth=2
	v_mov_b32_e32 v16, v50
	v_bfe_u32 v4, v50, 23, 1
	v_mov_b32_e32 v17, v51
; %bb.3792:                             ;   in Loop: Header=BB4_3547 Depth=2
	s_or_b64 exec, exec, s[18:19]
	v_lshrrev_b64 v[16:17], 20, v[16:17]
	v_cmp_gt_i32_e32 vcc, 16, v4
	v_cndmask_b32_e32 v17, 0, v17, vcc
	v_cndmask_b32_e32 v16, 7, v16, vcc
	v_cmp_ne_u64_e32 vcc, 0, v[16:17]
	v_cmp_ne_u32_e64 s[18:19], 0, v4
	s_or_b64 s[18:19], s[18:19], vcc
                                        ; implicit-def: $vgpr57
	s_and_saveexec_b64 s[92:93], s[18:19]
	s_xor_b64 s[18:19], exec, s[92:93]
; %bb.3793:                             ;   in Loop: Header=BB4_3547 Depth=2
	v_min_i32_e32 v4, 15, v4
	v_lshl_or_b32 v2, v4, 3, v2
	v_and_or_b32 v57, v16, 7, v2
                                        ; implicit-def: $vgpr2
; %bb.3794:                             ;   in Loop: Header=BB4_3547 Depth=2
	s_andn2_saveexec_b64 s[18:19], s[18:19]
; %bb.3795:                             ;   in Loop: Header=BB4_3547 Depth=2
	v_mov_b32_e32 v57, v2
; %bb.3796:                             ;   in Loop: Header=BB4_3547 Depth=2
	s_or_b64 exec, exec, s[18:19]
.LBB4_3797:                             ;   in Loop: Header=BB4_3547 Depth=2
	s_or_b64 exec, exec, s[90:91]
                                        ; implicit-def: $vgpr2
.LBB4_3798:                             ;   in Loop: Header=BB4_3547 Depth=2
	s_andn2_saveexec_b64 s[18:19], s[88:89]
; %bb.3799:                             ;   in Loop: Header=BB4_3547 Depth=2
	v_or_b32_e32 v57, 0x7e, v2
; %bb.3800:                             ;   in Loop: Header=BB4_3547 Depth=2
	s_or_b64 exec, exec, s[18:19]
                                        ; implicit-def: $vgpr4
.LBB4_3801:                             ;   in Loop: Header=BB4_3547 Depth=2
	s_andn2_saveexec_b64 s[18:19], s[78:79]
; %bb.3802:                             ;   in Loop: Header=BB4_3547 Depth=2
	v_or_b32_sdwa v57, v4, s50 dst_sel:DWORD dst_unused:UNUSED_PAD src0_sel:BYTE_3 src1_sel:DWORD
; %bb.3803:                             ;   in Loop: Header=BB4_3547 Depth=2
	s_or_b64 exec, exec, s[18:19]
	v_and_b32_e32 v16, 0xff, v59
	v_cmp_ne_u16_e32 vcc, 0, v16
	v_mov_b32_e32 v2, 0
	v_mov_b32_e32 v4, 0
	s_and_saveexec_b64 s[18:19], vcc
	s_cbranch_execz .LBB4_3809
; %bb.3804:                             ;   in Loop: Header=BB4_3547 Depth=2
	v_cmp_ne_u16_e32 vcc, s49, v16
	v_bfrev_b32_e32 v4, 1
	s_and_saveexec_b64 s[78:79], vcc
	s_cbranch_execz .LBB4_3808
; %bb.3805:                             ;   in Loop: Header=BB4_3547 Depth=2
	v_and_b32_e32 v5, 0x7f, v59
	v_cmp_ne_u32_e32 vcc, s50, v5
	v_mov_b32_e32 v4, 0x7f800001
	s_and_saveexec_b64 s[88:89], vcc
	s_cbranch_execz .LBB4_3807
; %bb.3806:                             ;   in Loop: Header=BB4_3547 Depth=2
	v_and_b32_e32 v17, 7, v16
	v_ffbh_u32_e32 v4, v17
	v_min_u32_e32 v19, 32, v4
	v_subrev_u32_e32 v4, 28, v19
	v_lshrrev_b32_e32 v18, 3, v5
	v_cmp_gt_u32_e32 vcc, 8, v5
	v_lshlrev_b64 v[4:5], v4, v[16:17]
	v_sub_u32_e32 v5, 29, v19
	v_and_b32_e32 v4, 7, v4
	v_cndmask_b32_e32 v5, v18, v5, vcc
	v_cndmask_b32_e32 v4, v17, v4, vcc
	v_lshlrev_b32_e32 v16, 24, v59
	v_lshlrev_b32_e32 v4, 20, v4
	v_and_b32_e32 v16, 0x80000000, v16
	v_lshl_add_u32 v5, v5, 23, v62
	v_or3_b32 v4, v16, v5, v4
.LBB4_3807:                             ;   in Loop: Header=BB4_3547 Depth=2
	s_or_b64 exec, exec, s[88:89]
.LBB4_3808:                             ;   in Loop: Header=BB4_3547 Depth=2
	s_or_b64 exec, exec, s[78:79]
.LBB4_3809:                             ;   in Loop: Header=BB4_3547 Depth=2
	s_or_b64 exec, exec, s[18:19]
	v_and_b32_e32 v16, 0xff, v58
	v_cmp_ne_u16_e32 vcc, 0, v16
	s_and_saveexec_b64 s[18:19], vcc
	s_cbranch_execz .LBB4_3815
; %bb.3810:                             ;   in Loop: Header=BB4_3547 Depth=2
	v_cmp_ne_u16_e32 vcc, s49, v16
	v_bfrev_b32_e32 v2, 1
	s_and_saveexec_b64 s[78:79], vcc
	s_cbranch_execz .LBB4_3814
; %bb.3811:                             ;   in Loop: Header=BB4_3547 Depth=2
	v_and_b32_e32 v5, 0x7f, v58
	v_cmp_ne_u32_e32 vcc, s50, v5
	v_mov_b32_e32 v2, 0x7f800001
	s_and_saveexec_b64 s[88:89], vcc
	s_cbranch_execz .LBB4_3813
; %bb.3812:                             ;   in Loop: Header=BB4_3547 Depth=2
	v_and_b32_e32 v2, 7, v16
	v_lshrrev_b32_e32 v18, 3, v5
	v_cmp_gt_u32_e32 vcc, 8, v5
	v_ffbh_u32_e32 v5, v2
	v_min_u32_e32 v5, 32, v5
	v_subrev_u32_e32 v17, 28, v5
	v_lshlrev_b64 v[16:17], v17, v[16:17]
	v_sub_u32_e32 v5, 29, v5
	v_and_b32_e32 v16, 7, v16
	v_cndmask_b32_e32 v5, v18, v5, vcc
	v_cndmask_b32_e32 v2, v2, v16, vcc
	v_lshlrev_b32_e32 v16, 24, v58
	v_lshlrev_b32_e32 v2, 20, v2
	v_and_b32_e32 v16, 0x80000000, v16
	v_lshl_add_u32 v5, v5, 23, v62
	v_or3_b32 v2, v16, v5, v2
.LBB4_3813:                             ;   in Loop: Header=BB4_3547 Depth=2
	s_or_b64 exec, exec, s[88:89]
.LBB4_3814:                             ;   in Loop: Header=BB4_3547 Depth=2
	s_or_b64 exec, exec, s[78:79]
.LBB4_3815:                             ;   in Loop: Header=BB4_3547 Depth=2
	s_or_b64 exec, exec, s[18:19]
	v_add_f32_e32 v4, v4, v2
	v_and_b32_e32 v50, 0x7f800000, v4
	v_cmp_ne_u64_e32 vcc, s[46:47], v[50:51]
                                        ; implicit-def: $vgpr58
	s_and_saveexec_b64 s[18:19], vcc
	s_xor_b64 s[78:79], exec, s[18:19]
	s_cbranch_execz .LBB4_3833
; %bb.3816:                             ;   in Loop: Header=BB4_3547 Depth=2
	v_and_b32_e32 v50, 0x7fffffff, v4
	v_cmp_gt_u64_e32 vcc, s[56:57], v[50:51]
	v_and_b32_sdwa v2, v4, s49 dst_sel:DWORD dst_unused:UNUSED_PAD src0_sel:BYTE_3 src1_sel:DWORD
                                        ; implicit-def: $vgpr58
	s_and_saveexec_b64 s[18:19], vcc
	s_xor_b64 s[88:89], exec, s[18:19]
	s_cbranch_execz .LBB4_3830
; %bb.3817:                             ;   in Loop: Header=BB4_3547 Depth=2
	v_cmp_ne_u32_e32 vcc, 0, v4
	v_mov_b32_e32 v58, 0
	s_and_saveexec_b64 s[90:91], vcc
	s_cbranch_execz .LBB4_3829
; %bb.3818:                             ;   in Loop: Header=BB4_3547 Depth=2
	v_and_b32_e32 v16, 0x7fffff, v4
	v_bfe_u32 v4, v4, 23, 8
	v_cmp_gt_u32_e64 s[18:19], s51, v4
	v_sub_u32_e32 v5, 0x79, v4
	v_cmp_eq_u32_e32 vcc, 0, v4
	v_cndmask_b32_e64 v5, 0, v5, s[18:19]
	v_or_b32_e32 v17, 0x800000, v16
	v_cndmask_b32_e32 v5, v5, v49, vcc
	v_cndmask_b32_e32 v50, v17, v16, vcc
	v_add_u32_e32 v16, 20, v5
	v_lshlrev_b64 v[16:17], v16, -1
	v_add_u32_e32 v18, 19, v5
	v_lshlrev_b64 v[18:19], v18, 1
	v_bfi_b32 v17, v17, 0, 0
	v_bfi_b32 v16, v16, 0, v50
	v_cmp_eq_u64_e64 s[18:19], v[16:17], v[18:19]
	v_lshrrev_b64 v[16:17], v5, v[50:51]
	v_mov_b32_e32 v18, v17
	v_mov_b32_e32 v17, v16
	s_and_saveexec_b64 s[92:93], s[18:19]
; %bb.3819:                             ;   in Loop: Header=BB4_3547 Depth=2
	v_bfe_u32 v17, v16, 20, 1
	v_add_co_u32_e64 v17, s[18:19], v16, v17
	v_add_co_u32_e64 v17, s[18:19], -1, v17
; %bb.3820:                             ;   in Loop: Header=BB4_3547 Depth=2
	s_or_b64 exec, exec, s[92:93]
	v_add_u32_e32 v4, 0xffffff81, v4
	v_mov_b32_e32 v18, 0xffffff82
	v_cndmask_b32_e32 v4, v4, v18, vcc
	v_lshrrev_b32_e32 v18, 23, v16
	v_add3_u32 v18, v5, v4, v18
	v_add_u32_e32 v5, 6, v18
	v_and_b32_e32 v4, 0xfffff, v17
	v_add_u32_e32 v50, v4, v16
	v_cmp_ne_u32_e32 vcc, 0, v5
                                        ; implicit-def: $vgpr16_vgpr17
                                        ; implicit-def: $vgpr4
	s_and_saveexec_b64 s[18:19], vcc
	s_xor_b64 s[18:19], exec, s[18:19]
; %bb.3821:                             ;   in Loop: Header=BB4_3547 Depth=2
	v_cmp_lt_u64_e32 vcc, s[58:59], v[50:51]
	v_add_u32_e32 v4, 7, v18
	v_cndmask_b32_e32 v4, v5, v4, vcc
	v_cndmask_b32_e64 v5, 0, 1, vcc
	v_lshrrev_b64 v[16:17], v5, v[50:51]
; %bb.3822:                             ;   in Loop: Header=BB4_3547 Depth=2
	s_andn2_saveexec_b64 s[18:19], s[18:19]
; %bb.3823:                             ;   in Loop: Header=BB4_3547 Depth=2
	v_mov_b32_e32 v16, v50
	v_bfe_u32 v4, v50, 23, 1
	v_mov_b32_e32 v17, v51
; %bb.3824:                             ;   in Loop: Header=BB4_3547 Depth=2
	s_or_b64 exec, exec, s[18:19]
	v_lshrrev_b64 v[16:17], 20, v[16:17]
	v_cmp_gt_i32_e32 vcc, 16, v4
	v_cndmask_b32_e32 v17, 0, v17, vcc
	v_cndmask_b32_e32 v16, 7, v16, vcc
	v_cmp_ne_u64_e32 vcc, 0, v[16:17]
	v_cmp_ne_u32_e64 s[18:19], 0, v4
	s_or_b64 s[18:19], s[18:19], vcc
                                        ; implicit-def: $vgpr58
	s_and_saveexec_b64 s[92:93], s[18:19]
	s_xor_b64 s[18:19], exec, s[92:93]
; %bb.3825:                             ;   in Loop: Header=BB4_3547 Depth=2
	v_min_i32_e32 v4, 15, v4
	v_lshl_or_b32 v2, v4, 3, v2
	v_and_or_b32 v58, v16, 7, v2
                                        ; implicit-def: $vgpr2
; %bb.3826:                             ;   in Loop: Header=BB4_3547 Depth=2
	s_andn2_saveexec_b64 s[18:19], s[18:19]
; %bb.3827:                             ;   in Loop: Header=BB4_3547 Depth=2
	v_mov_b32_e32 v58, v2
; %bb.3828:                             ;   in Loop: Header=BB4_3547 Depth=2
	s_or_b64 exec, exec, s[18:19]
.LBB4_3829:                             ;   in Loop: Header=BB4_3547 Depth=2
	s_or_b64 exec, exec, s[90:91]
                                        ; implicit-def: $vgpr2
.LBB4_3830:                             ;   in Loop: Header=BB4_3547 Depth=2
	s_andn2_saveexec_b64 s[18:19], s[88:89]
; %bb.3831:                             ;   in Loop: Header=BB4_3547 Depth=2
	v_or_b32_e32 v58, 0x7e, v2
; %bb.3832:                             ;   in Loop: Header=BB4_3547 Depth=2
	s_or_b64 exec, exec, s[18:19]
                                        ; implicit-def: $vgpr4
.LBB4_3833:                             ;   in Loop: Header=BB4_3547 Depth=2
	s_andn2_saveexec_b64 s[18:19], s[78:79]
; %bb.3834:                             ;   in Loop: Header=BB4_3547 Depth=2
	v_or_b32_sdwa v58, v4, s50 dst_sel:DWORD dst_unused:UNUSED_PAD src0_sel:BYTE_3 src1_sel:DWORD
; %bb.3835:                             ;   in Loop: Header=BB4_3547 Depth=2
	s_or_b64 exec, exec, s[18:19]
	v_and_b32_e32 v16, 0xff, v56
	v_cmp_ne_u16_e32 vcc, 0, v16
	v_mov_b32_e32 v2, 0
	v_mov_b32_e32 v4, 0
	s_and_saveexec_b64 s[18:19], vcc
	s_cbranch_execz .LBB4_3841
; %bb.3836:                             ;   in Loop: Header=BB4_3547 Depth=2
	v_cmp_ne_u16_e32 vcc, s49, v16
	v_bfrev_b32_e32 v4, 1
	s_and_saveexec_b64 s[78:79], vcc
	s_cbranch_execz .LBB4_3840
; %bb.3837:                             ;   in Loop: Header=BB4_3547 Depth=2
	v_and_b32_e32 v5, 0x7f, v56
	v_cmp_ne_u32_e32 vcc, s50, v5
	v_mov_b32_e32 v4, 0x7f800001
	s_and_saveexec_b64 s[88:89], vcc
	s_cbranch_execz .LBB4_3839
; %bb.3838:                             ;   in Loop: Header=BB4_3547 Depth=2
	v_and_b32_e32 v17, 7, v16
	v_ffbh_u32_e32 v4, v17
	v_min_u32_e32 v19, 32, v4
	v_subrev_u32_e32 v4, 28, v19
	v_lshrrev_b32_e32 v18, 3, v5
	v_cmp_gt_u32_e32 vcc, 8, v5
	v_lshlrev_b64 v[4:5], v4, v[16:17]
	v_sub_u32_e32 v5, 29, v19
	v_and_b32_e32 v4, 7, v4
	v_cndmask_b32_e32 v5, v18, v5, vcc
	v_cndmask_b32_e32 v4, v17, v4, vcc
	v_lshlrev_b32_e32 v16, 24, v56
	v_lshlrev_b32_e32 v4, 20, v4
	v_and_b32_e32 v16, 0x80000000, v16
	v_lshl_add_u32 v5, v5, 23, v62
	v_or3_b32 v4, v16, v5, v4
.LBB4_3839:                             ;   in Loop: Header=BB4_3547 Depth=2
	s_or_b64 exec, exec, s[88:89]
.LBB4_3840:                             ;   in Loop: Header=BB4_3547 Depth=2
	s_or_b64 exec, exec, s[78:79]
.LBB4_3841:                             ;   in Loop: Header=BB4_3547 Depth=2
	s_or_b64 exec, exec, s[18:19]
	v_and_b32_e32 v16, 0xff, v47
	v_cmp_ne_u16_e32 vcc, 0, v16
	s_and_saveexec_b64 s[18:19], vcc
	s_cbranch_execz .LBB4_3847
; %bb.3842:                             ;   in Loop: Header=BB4_3547 Depth=2
	v_cmp_ne_u16_e32 vcc, s49, v16
	v_bfrev_b32_e32 v2, 1
	s_and_saveexec_b64 s[78:79], vcc
	s_cbranch_execz .LBB4_3846
; %bb.3843:                             ;   in Loop: Header=BB4_3547 Depth=2
	v_and_b32_e32 v5, 0x7f, v47
	v_cmp_ne_u32_e32 vcc, s50, v5
	v_mov_b32_e32 v2, 0x7f800001
	s_and_saveexec_b64 s[88:89], vcc
	s_cbranch_execz .LBB4_3845
; %bb.3844:                             ;   in Loop: Header=BB4_3547 Depth=2
	v_and_b32_e32 v2, 7, v16
	v_lshrrev_b32_e32 v18, 3, v5
	v_cmp_gt_u32_e32 vcc, 8, v5
	v_ffbh_u32_e32 v5, v2
	v_min_u32_e32 v5, 32, v5
	v_subrev_u32_e32 v17, 28, v5
	v_lshlrev_b64 v[16:17], v17, v[16:17]
	v_sub_u32_e32 v5, 29, v5
	v_and_b32_e32 v16, 7, v16
	v_cndmask_b32_e32 v5, v18, v5, vcc
	v_cndmask_b32_e32 v2, v2, v16, vcc
	v_lshlrev_b32_e32 v16, 24, v47
	v_lshlrev_b32_e32 v2, 20, v2
	v_and_b32_e32 v16, 0x80000000, v16
	v_lshl_add_u32 v5, v5, 23, v62
	v_or3_b32 v2, v16, v5, v2
.LBB4_3845:                             ;   in Loop: Header=BB4_3547 Depth=2
	s_or_b64 exec, exec, s[88:89]
.LBB4_3846:                             ;   in Loop: Header=BB4_3547 Depth=2
	s_or_b64 exec, exec, s[78:79]
.LBB4_3847:                             ;   in Loop: Header=BB4_3547 Depth=2
	s_or_b64 exec, exec, s[18:19]
	v_add_f32_e32 v4, v4, v2
	v_and_b32_e32 v50, 0x7f800000, v4
	v_cmp_ne_u64_e32 vcc, s[46:47], v[50:51]
                                        ; implicit-def: $vgpr47
	s_and_saveexec_b64 s[18:19], vcc
	s_xor_b64 s[78:79], exec, s[18:19]
	s_cbranch_execz .LBB4_3865
; %bb.3848:                             ;   in Loop: Header=BB4_3547 Depth=2
	v_and_b32_e32 v50, 0x7fffffff, v4
	v_cmp_gt_u64_e32 vcc, s[56:57], v[50:51]
	v_and_b32_sdwa v2, v4, s49 dst_sel:DWORD dst_unused:UNUSED_PAD src0_sel:BYTE_3 src1_sel:DWORD
                                        ; implicit-def: $vgpr47
	s_and_saveexec_b64 s[18:19], vcc
	s_xor_b64 s[88:89], exec, s[18:19]
	s_cbranch_execz .LBB4_3862
; %bb.3849:                             ;   in Loop: Header=BB4_3547 Depth=2
	v_cmp_ne_u32_e32 vcc, 0, v4
	v_mov_b32_e32 v47, 0
	s_and_saveexec_b64 s[90:91], vcc
	s_cbranch_execz .LBB4_3861
; %bb.3850:                             ;   in Loop: Header=BB4_3547 Depth=2
	v_and_b32_e32 v16, 0x7fffff, v4
	v_bfe_u32 v4, v4, 23, 8
	v_cmp_gt_u32_e64 s[18:19], s51, v4
	v_sub_u32_e32 v5, 0x79, v4
	v_cmp_eq_u32_e32 vcc, 0, v4
	v_cndmask_b32_e64 v5, 0, v5, s[18:19]
	v_or_b32_e32 v17, 0x800000, v16
	v_cndmask_b32_e32 v5, v5, v49, vcc
	v_cndmask_b32_e32 v50, v17, v16, vcc
	v_add_u32_e32 v16, 20, v5
	v_lshlrev_b64 v[16:17], v16, -1
	v_add_u32_e32 v18, 19, v5
	v_lshlrev_b64 v[18:19], v18, 1
	v_bfi_b32 v17, v17, 0, 0
	v_bfi_b32 v16, v16, 0, v50
	v_cmp_eq_u64_e64 s[18:19], v[16:17], v[18:19]
	v_lshrrev_b64 v[16:17], v5, v[50:51]
	v_mov_b32_e32 v18, v17
	v_mov_b32_e32 v17, v16
	s_and_saveexec_b64 s[92:93], s[18:19]
; %bb.3851:                             ;   in Loop: Header=BB4_3547 Depth=2
	v_bfe_u32 v17, v16, 20, 1
	v_add_co_u32_e64 v17, s[18:19], v16, v17
	v_add_co_u32_e64 v17, s[18:19], -1, v17
; %bb.3852:                             ;   in Loop: Header=BB4_3547 Depth=2
	s_or_b64 exec, exec, s[92:93]
	v_add_u32_e32 v4, 0xffffff81, v4
	v_mov_b32_e32 v18, 0xffffff82
	v_cndmask_b32_e32 v4, v4, v18, vcc
	v_lshrrev_b32_e32 v18, 23, v16
	v_add3_u32 v18, v5, v4, v18
	v_add_u32_e32 v5, 6, v18
	v_and_b32_e32 v4, 0xfffff, v17
	v_add_u32_e32 v50, v4, v16
	v_cmp_ne_u32_e32 vcc, 0, v5
                                        ; implicit-def: $vgpr16_vgpr17
                                        ; implicit-def: $vgpr4
	s_and_saveexec_b64 s[18:19], vcc
	s_xor_b64 s[18:19], exec, s[18:19]
; %bb.3853:                             ;   in Loop: Header=BB4_3547 Depth=2
	v_cmp_lt_u64_e32 vcc, s[58:59], v[50:51]
	v_add_u32_e32 v4, 7, v18
	v_cndmask_b32_e32 v4, v5, v4, vcc
	v_cndmask_b32_e64 v5, 0, 1, vcc
	v_lshrrev_b64 v[16:17], v5, v[50:51]
; %bb.3854:                             ;   in Loop: Header=BB4_3547 Depth=2
	s_andn2_saveexec_b64 s[18:19], s[18:19]
; %bb.3855:                             ;   in Loop: Header=BB4_3547 Depth=2
	v_mov_b32_e32 v16, v50
	v_bfe_u32 v4, v50, 23, 1
	v_mov_b32_e32 v17, v51
; %bb.3856:                             ;   in Loop: Header=BB4_3547 Depth=2
	s_or_b64 exec, exec, s[18:19]
	v_lshrrev_b64 v[16:17], 20, v[16:17]
	v_cmp_gt_i32_e32 vcc, 16, v4
	v_cndmask_b32_e32 v17, 0, v17, vcc
	v_cndmask_b32_e32 v16, 7, v16, vcc
	v_cmp_ne_u64_e32 vcc, 0, v[16:17]
	v_cmp_ne_u32_e64 s[18:19], 0, v4
	s_or_b64 s[18:19], s[18:19], vcc
                                        ; implicit-def: $vgpr47
	s_and_saveexec_b64 s[92:93], s[18:19]
	s_xor_b64 s[18:19], exec, s[92:93]
; %bb.3857:                             ;   in Loop: Header=BB4_3547 Depth=2
	v_min_i32_e32 v4, 15, v4
	v_lshl_or_b32 v2, v4, 3, v2
	v_and_or_b32 v47, v16, 7, v2
                                        ; implicit-def: $vgpr2
; %bb.3858:                             ;   in Loop: Header=BB4_3547 Depth=2
	s_andn2_saveexec_b64 s[18:19], s[18:19]
; %bb.3859:                             ;   in Loop: Header=BB4_3547 Depth=2
	v_mov_b32_e32 v47, v2
; %bb.3860:                             ;   in Loop: Header=BB4_3547 Depth=2
	s_or_b64 exec, exec, s[18:19]
.LBB4_3861:                             ;   in Loop: Header=BB4_3547 Depth=2
	s_or_b64 exec, exec, s[90:91]
                                        ; implicit-def: $vgpr2
.LBB4_3862:                             ;   in Loop: Header=BB4_3547 Depth=2
	s_andn2_saveexec_b64 s[18:19], s[88:89]
; %bb.3863:                             ;   in Loop: Header=BB4_3547 Depth=2
	v_or_b32_e32 v47, 0x7e, v2
; %bb.3864:                             ;   in Loop: Header=BB4_3547 Depth=2
	s_or_b64 exec, exec, s[18:19]
                                        ; implicit-def: $vgpr4
.LBB4_3865:                             ;   in Loop: Header=BB4_3547 Depth=2
	s_andn2_saveexec_b64 s[18:19], s[78:79]
; %bb.3866:                             ;   in Loop: Header=BB4_3547 Depth=2
	v_or_b32_sdwa v47, v4, s50 dst_sel:DWORD dst_unused:UNUSED_PAD src0_sel:BYTE_3 src1_sel:DWORD
; %bb.3867:                             ;   in Loop: Header=BB4_3547 Depth=2
	s_or_b64 exec, exec, s[18:19]
	v_and_b32_e32 v16, 0xff, v45
	v_cmp_ne_u16_e32 vcc, 0, v16
	v_mov_b32_e32 v2, 0
	v_mov_b32_e32 v4, 0
	s_and_saveexec_b64 s[18:19], vcc
	s_cbranch_execz .LBB4_3873
; %bb.3868:                             ;   in Loop: Header=BB4_3547 Depth=2
	v_cmp_ne_u16_e32 vcc, s49, v16
	v_bfrev_b32_e32 v4, 1
	s_and_saveexec_b64 s[78:79], vcc
	s_cbranch_execz .LBB4_3872
; %bb.3869:                             ;   in Loop: Header=BB4_3547 Depth=2
	v_and_b32_e32 v5, 0x7f, v45
	v_cmp_ne_u32_e32 vcc, s50, v5
	v_mov_b32_e32 v4, 0x7f800001
	s_and_saveexec_b64 s[88:89], vcc
	s_cbranch_execz .LBB4_3871
; %bb.3870:                             ;   in Loop: Header=BB4_3547 Depth=2
	v_and_b32_e32 v17, 7, v16
	v_ffbh_u32_e32 v4, v17
	v_min_u32_e32 v19, 32, v4
	v_subrev_u32_e32 v4, 28, v19
	v_lshrrev_b32_e32 v18, 3, v5
	v_cmp_gt_u32_e32 vcc, 8, v5
	v_lshlrev_b64 v[4:5], v4, v[16:17]
	v_sub_u32_e32 v5, 29, v19
	v_and_b32_e32 v4, 7, v4
	v_cndmask_b32_e32 v5, v18, v5, vcc
	v_cndmask_b32_e32 v4, v17, v4, vcc
	v_lshlrev_b32_e32 v16, 24, v45
	v_lshlrev_b32_e32 v4, 20, v4
	v_and_b32_e32 v16, 0x80000000, v16
	v_lshl_add_u32 v5, v5, 23, v62
	v_or3_b32 v4, v16, v5, v4
.LBB4_3871:                             ;   in Loop: Header=BB4_3547 Depth=2
	s_or_b64 exec, exec, s[88:89]
.LBB4_3872:                             ;   in Loop: Header=BB4_3547 Depth=2
	s_or_b64 exec, exec, s[78:79]
.LBB4_3873:                             ;   in Loop: Header=BB4_3547 Depth=2
	s_or_b64 exec, exec, s[18:19]
	v_and_b32_e32 v16, 0xff, v44
	v_cmp_ne_u16_e32 vcc, 0, v16
	s_and_saveexec_b64 s[18:19], vcc
	s_cbranch_execz .LBB4_3879
; %bb.3874:                             ;   in Loop: Header=BB4_3547 Depth=2
	v_cmp_ne_u16_e32 vcc, s49, v16
	v_bfrev_b32_e32 v2, 1
	s_and_saveexec_b64 s[78:79], vcc
	s_cbranch_execz .LBB4_3878
; %bb.3875:                             ;   in Loop: Header=BB4_3547 Depth=2
	v_and_b32_e32 v5, 0x7f, v44
	v_cmp_ne_u32_e32 vcc, s50, v5
	v_mov_b32_e32 v2, 0x7f800001
	s_and_saveexec_b64 s[88:89], vcc
	s_cbranch_execz .LBB4_3877
; %bb.3876:                             ;   in Loop: Header=BB4_3547 Depth=2
	v_and_b32_e32 v2, 7, v16
	v_lshrrev_b32_e32 v18, 3, v5
	v_cmp_gt_u32_e32 vcc, 8, v5
	v_ffbh_u32_e32 v5, v2
	v_min_u32_e32 v5, 32, v5
	v_subrev_u32_e32 v17, 28, v5
	v_lshlrev_b64 v[16:17], v17, v[16:17]
	v_sub_u32_e32 v5, 29, v5
	v_and_b32_e32 v16, 7, v16
	v_cndmask_b32_e32 v5, v18, v5, vcc
	v_cndmask_b32_e32 v2, v2, v16, vcc
	v_lshlrev_b32_e32 v16, 24, v44
	v_lshlrev_b32_e32 v2, 20, v2
	v_and_b32_e32 v16, 0x80000000, v16
	v_lshl_add_u32 v5, v5, 23, v62
	v_or3_b32 v2, v16, v5, v2
.LBB4_3877:                             ;   in Loop: Header=BB4_3547 Depth=2
	s_or_b64 exec, exec, s[88:89]
.LBB4_3878:                             ;   in Loop: Header=BB4_3547 Depth=2
	s_or_b64 exec, exec, s[78:79]
.LBB4_3879:                             ;   in Loop: Header=BB4_3547 Depth=2
	s_or_b64 exec, exec, s[18:19]
	v_add_f32_e32 v4, v4, v2
	v_and_b32_e32 v50, 0x7f800000, v4
	v_cmp_ne_u64_e32 vcc, s[46:47], v[50:51]
                                        ; implicit-def: $vgpr29
	s_and_saveexec_b64 s[18:19], vcc
	s_xor_b64 s[78:79], exec, s[18:19]
	s_cbranch_execz .LBB4_3897
; %bb.3880:                             ;   in Loop: Header=BB4_3547 Depth=2
	v_and_b32_e32 v50, 0x7fffffff, v4
	v_cmp_gt_u64_e32 vcc, s[56:57], v[50:51]
	v_and_b32_sdwa v2, v4, s49 dst_sel:DWORD dst_unused:UNUSED_PAD src0_sel:BYTE_3 src1_sel:DWORD
                                        ; implicit-def: $vgpr29
	s_and_saveexec_b64 s[18:19], vcc
	s_xor_b64 s[88:89], exec, s[18:19]
	s_cbranch_execz .LBB4_3894
; %bb.3881:                             ;   in Loop: Header=BB4_3547 Depth=2
	v_cmp_ne_u32_e32 vcc, 0, v4
	v_mov_b32_e32 v29, 0
	s_and_saveexec_b64 s[90:91], vcc
	s_cbranch_execz .LBB4_3893
; %bb.3882:                             ;   in Loop: Header=BB4_3547 Depth=2
	v_and_b32_e32 v16, 0x7fffff, v4
	v_bfe_u32 v4, v4, 23, 8
	v_cmp_gt_u32_e64 s[18:19], s51, v4
	v_sub_u32_e32 v5, 0x79, v4
	v_cmp_eq_u32_e32 vcc, 0, v4
	v_cndmask_b32_e64 v5, 0, v5, s[18:19]
	v_or_b32_e32 v17, 0x800000, v16
	v_cndmask_b32_e32 v5, v5, v49, vcc
	v_cndmask_b32_e32 v50, v17, v16, vcc
	v_add_u32_e32 v16, 20, v5
	v_lshlrev_b64 v[16:17], v16, -1
	v_add_u32_e32 v18, 19, v5
	v_lshlrev_b64 v[18:19], v18, 1
	v_bfi_b32 v17, v17, 0, 0
	v_bfi_b32 v16, v16, 0, v50
	v_cmp_eq_u64_e64 s[18:19], v[16:17], v[18:19]
	v_lshrrev_b64 v[16:17], v5, v[50:51]
	v_mov_b32_e32 v18, v17
	v_mov_b32_e32 v17, v16
	s_and_saveexec_b64 s[92:93], s[18:19]
; %bb.3883:                             ;   in Loop: Header=BB4_3547 Depth=2
	v_bfe_u32 v17, v16, 20, 1
	v_add_co_u32_e64 v17, s[18:19], v16, v17
	v_add_co_u32_e64 v17, s[18:19], -1, v17
; %bb.3884:                             ;   in Loop: Header=BB4_3547 Depth=2
	s_or_b64 exec, exec, s[92:93]
	v_add_u32_e32 v4, 0xffffff81, v4
	v_mov_b32_e32 v18, 0xffffff82
	v_cndmask_b32_e32 v4, v4, v18, vcc
	v_lshrrev_b32_e32 v18, 23, v16
	v_add3_u32 v18, v5, v4, v18
	v_add_u32_e32 v5, 6, v18
	v_and_b32_e32 v4, 0xfffff, v17
	v_add_u32_e32 v50, v4, v16
	v_cmp_ne_u32_e32 vcc, 0, v5
                                        ; implicit-def: $vgpr16_vgpr17
                                        ; implicit-def: $vgpr4
	s_and_saveexec_b64 s[18:19], vcc
	s_xor_b64 s[18:19], exec, s[18:19]
; %bb.3885:                             ;   in Loop: Header=BB4_3547 Depth=2
	v_cmp_lt_u64_e32 vcc, s[58:59], v[50:51]
	v_add_u32_e32 v4, 7, v18
	v_cndmask_b32_e32 v4, v5, v4, vcc
	v_cndmask_b32_e64 v5, 0, 1, vcc
	v_lshrrev_b64 v[16:17], v5, v[50:51]
; %bb.3886:                             ;   in Loop: Header=BB4_3547 Depth=2
	s_andn2_saveexec_b64 s[18:19], s[18:19]
; %bb.3887:                             ;   in Loop: Header=BB4_3547 Depth=2
	v_mov_b32_e32 v16, v50
	v_bfe_u32 v4, v50, 23, 1
	v_mov_b32_e32 v17, v51
; %bb.3888:                             ;   in Loop: Header=BB4_3547 Depth=2
	s_or_b64 exec, exec, s[18:19]
	v_lshrrev_b64 v[16:17], 20, v[16:17]
	v_cmp_gt_i32_e32 vcc, 16, v4
	v_cndmask_b32_e32 v17, 0, v17, vcc
	v_cndmask_b32_e32 v16, 7, v16, vcc
	v_cmp_ne_u64_e32 vcc, 0, v[16:17]
	v_cmp_ne_u32_e64 s[18:19], 0, v4
	s_or_b64 s[18:19], s[18:19], vcc
                                        ; implicit-def: $vgpr29
	s_and_saveexec_b64 s[92:93], s[18:19]
	s_xor_b64 s[18:19], exec, s[92:93]
; %bb.3889:                             ;   in Loop: Header=BB4_3547 Depth=2
	v_min_i32_e32 v4, 15, v4
	v_lshl_or_b32 v2, v4, 3, v2
	v_and_or_b32 v29, v16, 7, v2
                                        ; implicit-def: $vgpr2
; %bb.3890:                             ;   in Loop: Header=BB4_3547 Depth=2
	s_andn2_saveexec_b64 s[18:19], s[18:19]
; %bb.3891:                             ;   in Loop: Header=BB4_3547 Depth=2
	v_mov_b32_e32 v29, v2
; %bb.3892:                             ;   in Loop: Header=BB4_3547 Depth=2
	s_or_b64 exec, exec, s[18:19]
.LBB4_3893:                             ;   in Loop: Header=BB4_3547 Depth=2
	s_or_b64 exec, exec, s[90:91]
                                        ; implicit-def: $vgpr2
.LBB4_3894:                             ;   in Loop: Header=BB4_3547 Depth=2
	s_andn2_saveexec_b64 s[18:19], s[88:89]
; %bb.3895:                             ;   in Loop: Header=BB4_3547 Depth=2
	v_or_b32_e32 v29, 0x7e, v2
; %bb.3896:                             ;   in Loop: Header=BB4_3547 Depth=2
	s_or_b64 exec, exec, s[18:19]
                                        ; implicit-def: $vgpr4
.LBB4_3897:                             ;   in Loop: Header=BB4_3547 Depth=2
	s_andn2_saveexec_b64 s[18:19], s[78:79]
; %bb.3898:                             ;   in Loop: Header=BB4_3547 Depth=2
	v_or_b32_sdwa v29, v4, s50 dst_sel:DWORD dst_unused:UNUSED_PAD src0_sel:BYTE_3 src1_sel:DWORD
; %bb.3899:                             ;   in Loop: Header=BB4_3547 Depth=2
	s_or_b64 exec, exec, s[18:19]
	v_and_b32_e32 v16, 0xff, v43
	v_cmp_ne_u16_e32 vcc, 0, v16
	v_mov_b32_e32 v2, 0
	v_mov_b32_e32 v4, 0
	s_and_saveexec_b64 s[18:19], vcc
	s_cbranch_execz .LBB4_3905
; %bb.3900:                             ;   in Loop: Header=BB4_3547 Depth=2
	v_cmp_ne_u16_e32 vcc, s49, v16
	v_bfrev_b32_e32 v4, 1
	s_and_saveexec_b64 s[78:79], vcc
	s_cbranch_execz .LBB4_3904
; %bb.3901:                             ;   in Loop: Header=BB4_3547 Depth=2
	v_and_b32_e32 v5, 0x7f, v43
	v_cmp_ne_u32_e32 vcc, s50, v5
	v_mov_b32_e32 v4, 0x7f800001
	s_and_saveexec_b64 s[88:89], vcc
	s_cbranch_execz .LBB4_3903
; %bb.3902:                             ;   in Loop: Header=BB4_3547 Depth=2
	v_and_b32_e32 v17, 7, v16
	v_ffbh_u32_e32 v4, v17
	v_min_u32_e32 v19, 32, v4
	v_subrev_u32_e32 v4, 28, v19
	v_lshrrev_b32_e32 v18, 3, v5
	v_cmp_gt_u32_e32 vcc, 8, v5
	v_lshlrev_b64 v[4:5], v4, v[16:17]
	v_sub_u32_e32 v5, 29, v19
	v_and_b32_e32 v4, 7, v4
	v_cndmask_b32_e32 v5, v18, v5, vcc
	v_cndmask_b32_e32 v4, v17, v4, vcc
	v_lshlrev_b32_e32 v16, 24, v43
	v_lshlrev_b32_e32 v4, 20, v4
	v_and_b32_e32 v16, 0x80000000, v16
	v_lshl_add_u32 v5, v5, 23, v62
	v_or3_b32 v4, v16, v5, v4
.LBB4_3903:                             ;   in Loop: Header=BB4_3547 Depth=2
	s_or_b64 exec, exec, s[88:89]
.LBB4_3904:                             ;   in Loop: Header=BB4_3547 Depth=2
	s_or_b64 exec, exec, s[78:79]
.LBB4_3905:                             ;   in Loop: Header=BB4_3547 Depth=2
	s_or_b64 exec, exec, s[18:19]
	v_and_b32_e32 v16, 0xff, v42
	v_cmp_ne_u16_e32 vcc, 0, v16
	s_and_saveexec_b64 s[18:19], vcc
	s_cbranch_execz .LBB4_3911
; %bb.3906:                             ;   in Loop: Header=BB4_3547 Depth=2
	v_cmp_ne_u16_e32 vcc, s49, v16
	v_bfrev_b32_e32 v2, 1
	s_and_saveexec_b64 s[78:79], vcc
	s_cbranch_execz .LBB4_3910
; %bb.3907:                             ;   in Loop: Header=BB4_3547 Depth=2
	v_and_b32_e32 v5, 0x7f, v42
	v_cmp_ne_u32_e32 vcc, s50, v5
	v_mov_b32_e32 v2, 0x7f800001
	s_and_saveexec_b64 s[88:89], vcc
	s_cbranch_execz .LBB4_3909
; %bb.3908:                             ;   in Loop: Header=BB4_3547 Depth=2
	v_and_b32_e32 v2, 7, v16
	v_lshrrev_b32_e32 v18, 3, v5
	v_cmp_gt_u32_e32 vcc, 8, v5
	v_ffbh_u32_e32 v5, v2
	v_min_u32_e32 v5, 32, v5
	v_subrev_u32_e32 v17, 28, v5
	v_lshlrev_b64 v[16:17], v17, v[16:17]
	v_sub_u32_e32 v5, 29, v5
	v_and_b32_e32 v16, 7, v16
	v_cndmask_b32_e32 v5, v18, v5, vcc
	v_cndmask_b32_e32 v2, v2, v16, vcc
	v_lshlrev_b32_e32 v16, 24, v42
	v_lshlrev_b32_e32 v2, 20, v2
	v_and_b32_e32 v16, 0x80000000, v16
	v_lshl_add_u32 v5, v5, 23, v62
	v_or3_b32 v2, v16, v5, v2
.LBB4_3909:                             ;   in Loop: Header=BB4_3547 Depth=2
	s_or_b64 exec, exec, s[88:89]
.LBB4_3910:                             ;   in Loop: Header=BB4_3547 Depth=2
	s_or_b64 exec, exec, s[78:79]
.LBB4_3911:                             ;   in Loop: Header=BB4_3547 Depth=2
	s_or_b64 exec, exec, s[18:19]
	v_add_f32_e32 v5, v4, v2
	v_and_b32_e32 v50, 0x7f800000, v5
	v_cmp_ne_u64_e32 vcc, s[46:47], v[50:51]
                                        ; implicit-def: $vgpr2
	s_and_saveexec_b64 s[18:19], vcc
	s_xor_b64 s[78:79], exec, s[18:19]
	s_cbranch_execz .LBB4_3929
; %bb.3912:                             ;   in Loop: Header=BB4_3547 Depth=2
	v_and_b32_e32 v50, 0x7fffffff, v5
	v_cmp_gt_u64_e32 vcc, s[56:57], v[50:51]
	v_and_b32_sdwa v4, v5, s49 dst_sel:DWORD dst_unused:UNUSED_PAD src0_sel:BYTE_3 src1_sel:DWORD
                                        ; implicit-def: $vgpr2
	s_and_saveexec_b64 s[18:19], vcc
	s_xor_b64 s[88:89], exec, s[18:19]
	s_cbranch_execz .LBB4_3926
; %bb.3913:                             ;   in Loop: Header=BB4_3547 Depth=2
	v_cmp_ne_u32_e32 vcc, 0, v5
	v_mov_b32_e32 v2, 0
	s_and_saveexec_b64 s[90:91], vcc
	s_cbranch_execz .LBB4_3925
; %bb.3914:                             ;   in Loop: Header=BB4_3547 Depth=2
	v_bfe_u32 v2, v5, 23, 8
	v_and_b32_e32 v16, 0x7fffff, v5
	v_cmp_gt_u32_e64 s[18:19], s51, v2
	v_sub_u32_e32 v5, 0x79, v2
	v_cmp_eq_u32_e32 vcc, 0, v2
	v_cndmask_b32_e64 v5, 0, v5, s[18:19]
	v_or_b32_e32 v17, 0x800000, v16
	v_cndmask_b32_e32 v5, v5, v49, vcc
	v_cndmask_b32_e32 v50, v17, v16, vcc
	v_add_u32_e32 v16, 20, v5
	v_lshlrev_b64 v[16:17], v16, -1
	v_add_u32_e32 v18, 19, v5
	v_lshlrev_b64 v[18:19], v18, 1
	v_bfi_b32 v17, v17, 0, 0
	v_bfi_b32 v16, v16, 0, v50
	v_cmp_eq_u64_e64 s[18:19], v[16:17], v[18:19]
	v_lshrrev_b64 v[16:17], v5, v[50:51]
	v_mov_b32_e32 v18, v17
	v_mov_b32_e32 v17, v16
	s_and_saveexec_b64 s[92:93], s[18:19]
; %bb.3915:                             ;   in Loop: Header=BB4_3547 Depth=2
	v_bfe_u32 v17, v16, 20, 1
	v_add_co_u32_e64 v17, s[18:19], v16, v17
	v_add_co_u32_e64 v17, s[18:19], -1, v17
; %bb.3916:                             ;   in Loop: Header=BB4_3547 Depth=2
	s_or_b64 exec, exec, s[92:93]
	v_add_u32_e32 v2, 0xffffff81, v2
	v_mov_b32_e32 v18, 0xffffff82
	v_cndmask_b32_e32 v2, v2, v18, vcc
	v_lshrrev_b32_e32 v18, 23, v16
	v_add3_u32 v18, v5, v2, v18
	v_add_u32_e32 v2, 6, v18
	v_and_b32_e32 v5, 0xfffff, v17
	v_add_u32_e32 v50, v5, v16
	v_cmp_ne_u32_e32 vcc, 0, v2
                                        ; implicit-def: $vgpr16_vgpr17
                                        ; implicit-def: $vgpr5
	s_and_saveexec_b64 s[18:19], vcc
	s_xor_b64 s[18:19], exec, s[18:19]
; %bb.3917:                             ;   in Loop: Header=BB4_3547 Depth=2
	v_cmp_lt_u64_e32 vcc, s[58:59], v[50:51]
	v_add_u32_e32 v5, 7, v18
	v_cndmask_b32_e32 v5, v2, v5, vcc
	v_cndmask_b32_e64 v2, 0, 1, vcc
	v_lshrrev_b64 v[16:17], v2, v[50:51]
; %bb.3918:                             ;   in Loop: Header=BB4_3547 Depth=2
	s_andn2_saveexec_b64 s[18:19], s[18:19]
; %bb.3919:                             ;   in Loop: Header=BB4_3547 Depth=2
	v_mov_b32_e32 v16, v50
	v_bfe_u32 v5, v50, 23, 1
	v_mov_b32_e32 v17, v51
; %bb.3920:                             ;   in Loop: Header=BB4_3547 Depth=2
	s_or_b64 exec, exec, s[18:19]
	v_lshrrev_b64 v[16:17], 20, v[16:17]
	v_cmp_gt_i32_e32 vcc, 16, v5
	v_cndmask_b32_e32 v17, 0, v17, vcc
	v_cndmask_b32_e32 v16, 7, v16, vcc
	v_cmp_ne_u64_e32 vcc, 0, v[16:17]
	v_cmp_ne_u32_e64 s[18:19], 0, v5
	s_or_b64 s[18:19], s[18:19], vcc
                                        ; implicit-def: $vgpr2
	s_and_saveexec_b64 s[92:93], s[18:19]
	s_xor_b64 s[18:19], exec, s[92:93]
; %bb.3921:                             ;   in Loop: Header=BB4_3547 Depth=2
	v_min_i32_e32 v2, 15, v5
	v_lshl_or_b32 v2, v2, 3, v4
	v_and_or_b32 v2, v16, 7, v2
                                        ; implicit-def: $vgpr4
; %bb.3922:                             ;   in Loop: Header=BB4_3547 Depth=2
	s_andn2_saveexec_b64 s[18:19], s[18:19]
; %bb.3923:                             ;   in Loop: Header=BB4_3547 Depth=2
	v_mov_b32_e32 v2, v4
; %bb.3924:                             ;   in Loop: Header=BB4_3547 Depth=2
	s_or_b64 exec, exec, s[18:19]
.LBB4_3925:                             ;   in Loop: Header=BB4_3547 Depth=2
	s_or_b64 exec, exec, s[90:91]
                                        ; implicit-def: $vgpr4
.LBB4_3926:                             ;   in Loop: Header=BB4_3547 Depth=2
	s_andn2_saveexec_b64 s[18:19], s[88:89]
; %bb.3927:                             ;   in Loop: Header=BB4_3547 Depth=2
	v_or_b32_e32 v2, 0x7e, v4
; %bb.3928:                             ;   in Loop: Header=BB4_3547 Depth=2
	s_or_b64 exec, exec, s[18:19]
                                        ; implicit-def: $vgpr5
.LBB4_3929:                             ;   in Loop: Header=BB4_3547 Depth=2
	s_andn2_saveexec_b64 s[18:19], s[78:79]
; %bb.3930:                             ;   in Loop: Header=BB4_3547 Depth=2
	v_or_b32_sdwa v2, v5, s50 dst_sel:DWORD dst_unused:UNUSED_PAD src0_sel:BYTE_3 src1_sel:DWORD
; %bb.3931:                             ;   in Loop: Header=BB4_3547 Depth=2
	s_or_b64 exec, exec, s[18:19]
	v_and_b32_e32 v16, 0xff, v41
	v_cmp_ne_u16_e32 vcc, 0, v16
	v_mov_b32_e32 v4, 0
	v_mov_b32_e32 v5, 0
	s_and_saveexec_b64 s[18:19], vcc
	s_cbranch_execz .LBB4_3937
; %bb.3932:                             ;   in Loop: Header=BB4_3547 Depth=2
	v_cmp_ne_u16_e32 vcc, s49, v16
	v_bfrev_b32_e32 v5, 1
	s_and_saveexec_b64 s[78:79], vcc
	s_cbranch_execz .LBB4_3936
; %bb.3933:                             ;   in Loop: Header=BB4_3547 Depth=2
	v_and_b32_e32 v17, 0x7f, v41
	v_cmp_ne_u32_e32 vcc, s50, v17
	v_mov_b32_e32 v5, 0x7f800001
	s_and_saveexec_b64 s[88:89], vcc
	s_cbranch_execz .LBB4_3935
; %bb.3934:                             ;   in Loop: Header=BB4_3547 Depth=2
	v_and_b32_e32 v5, 7, v16
	v_lshrrev_b32_e32 v18, 3, v17
	v_cmp_gt_u32_e32 vcc, 8, v17
	v_ffbh_u32_e32 v17, v5
	v_min_u32_e32 v19, 32, v17
	v_subrev_u32_e32 v17, 28, v19
	v_lshlrev_b64 v[16:17], v17, v[16:17]
	v_sub_u32_e32 v17, 29, v19
	v_and_b32_e32 v16, 7, v16
	v_cndmask_b32_e32 v17, v18, v17, vcc
	v_cndmask_b32_e32 v5, v5, v16, vcc
	v_lshlrev_b32_e32 v16, 24, v41
	v_lshlrev_b32_e32 v5, 20, v5
	v_and_b32_e32 v16, 0x80000000, v16
	v_lshl_add_u32 v17, v17, 23, v62
	v_or3_b32 v5, v16, v17, v5
.LBB4_3935:                             ;   in Loop: Header=BB4_3547 Depth=2
	s_or_b64 exec, exec, s[88:89]
.LBB4_3936:                             ;   in Loop: Header=BB4_3547 Depth=2
	s_or_b64 exec, exec, s[78:79]
.LBB4_3937:                             ;   in Loop: Header=BB4_3547 Depth=2
	s_or_b64 exec, exec, s[18:19]
	v_and_b32_e32 v16, 0xff, v40
	v_cmp_ne_u16_e32 vcc, 0, v16
	s_and_saveexec_b64 s[18:19], vcc
	s_cbranch_execz .LBB4_3943
; %bb.3938:                             ;   in Loop: Header=BB4_3547 Depth=2
	v_cmp_ne_u16_e32 vcc, s49, v16
	v_bfrev_b32_e32 v4, 1
	s_and_saveexec_b64 s[78:79], vcc
	s_cbranch_execz .LBB4_3942
; %bb.3939:                             ;   in Loop: Header=BB4_3547 Depth=2
	v_and_b32_e32 v17, 0x7f, v40
	v_cmp_ne_u32_e32 vcc, s50, v17
	v_mov_b32_e32 v4, 0x7f800001
	s_and_saveexec_b64 s[88:89], vcc
	s_cbranch_execz .LBB4_3941
; %bb.3940:                             ;   in Loop: Header=BB4_3547 Depth=2
	v_and_b32_e32 v4, 7, v16
	v_lshrrev_b32_e32 v18, 3, v17
	v_cmp_gt_u32_e32 vcc, 8, v17
	v_ffbh_u32_e32 v17, v4
	v_min_u32_e32 v19, 32, v17
	v_subrev_u32_e32 v17, 28, v19
	v_lshlrev_b64 v[16:17], v17, v[16:17]
	v_sub_u32_e32 v17, 29, v19
	v_and_b32_e32 v16, 7, v16
	v_cndmask_b32_e32 v17, v18, v17, vcc
	v_cndmask_b32_e32 v4, v4, v16, vcc
	v_lshlrev_b32_e32 v16, 24, v40
	v_lshlrev_b32_e32 v4, 20, v4
	v_and_b32_e32 v16, 0x80000000, v16
	v_lshl_add_u32 v17, v17, 23, v62
	v_or3_b32 v4, v16, v17, v4
.LBB4_3941:                             ;   in Loop: Header=BB4_3547 Depth=2
	s_or_b64 exec, exec, s[88:89]
.LBB4_3942:                             ;   in Loop: Header=BB4_3547 Depth=2
	s_or_b64 exec, exec, s[78:79]
.LBB4_3943:                             ;   in Loop: Header=BB4_3547 Depth=2
	s_or_b64 exec, exec, s[18:19]
	v_add_f32_e32 v5, v5, v4
	v_and_b32_e32 v50, 0x7f800000, v5
	v_cmp_ne_u64_e32 vcc, s[46:47], v[50:51]
                                        ; implicit-def: $vgpr40
	s_and_saveexec_b64 s[18:19], vcc
	s_xor_b64 s[78:79], exec, s[18:19]
	s_cbranch_execz .LBB4_3961
; %bb.3944:                             ;   in Loop: Header=BB4_3547 Depth=2
	v_and_b32_e32 v50, 0x7fffffff, v5
	v_cmp_gt_u64_e32 vcc, s[56:57], v[50:51]
	v_and_b32_sdwa v4, v5, s49 dst_sel:DWORD dst_unused:UNUSED_PAD src0_sel:BYTE_3 src1_sel:DWORD
                                        ; implicit-def: $vgpr40
	s_and_saveexec_b64 s[18:19], vcc
	s_xor_b64 s[88:89], exec, s[18:19]
	s_cbranch_execz .LBB4_3958
; %bb.3945:                             ;   in Loop: Header=BB4_3547 Depth=2
	v_cmp_ne_u32_e32 vcc, 0, v5
	v_mov_b32_e32 v40, 0
	s_and_saveexec_b64 s[90:91], vcc
	s_cbranch_execz .LBB4_3957
; %bb.3946:                             ;   in Loop: Header=BB4_3547 Depth=2
	v_and_b32_e32 v16, 0x7fffff, v5
	v_bfe_u32 v5, v5, 23, 8
	v_cmp_gt_u32_e64 s[18:19], s51, v5
	v_sub_u32_e32 v17, 0x79, v5
	v_cmp_eq_u32_e32 vcc, 0, v5
	v_cndmask_b32_e64 v17, 0, v17, s[18:19]
	v_or_b32_e32 v18, 0x800000, v16
	v_cndmask_b32_e32 v22, v17, v49, vcc
	v_cndmask_b32_e32 v50, v18, v16, vcc
	v_add_u32_e32 v16, 20, v22
	v_lshlrev_b64 v[16:17], v16, -1
	v_add_u32_e32 v18, 19, v22
	v_lshlrev_b64 v[18:19], v18, 1
	v_bfi_b32 v17, v17, 0, 0
	v_bfi_b32 v16, v16, 0, v50
	v_cmp_eq_u64_e64 s[18:19], v[16:17], v[18:19]
	v_lshrrev_b64 v[16:17], v22, v[50:51]
	v_mov_b32_e32 v18, v17
	v_mov_b32_e32 v17, v16
	s_and_saveexec_b64 s[92:93], s[18:19]
; %bb.3947:                             ;   in Loop: Header=BB4_3547 Depth=2
	v_bfe_u32 v17, v16, 20, 1
	v_add_co_u32_e64 v17, s[18:19], v16, v17
	v_add_co_u32_e64 v17, s[18:19], -1, v17
; %bb.3948:                             ;   in Loop: Header=BB4_3547 Depth=2
	s_or_b64 exec, exec, s[92:93]
	v_add_u32_e32 v5, 0xffffff81, v5
	v_mov_b32_e32 v18, 0xffffff82
	v_cndmask_b32_e32 v5, v5, v18, vcc
	v_lshrrev_b32_e32 v18, 23, v16
	v_add3_u32 v22, v22, v5, v18
	v_add_u32_e32 v18, 6, v22
	v_and_b32_e32 v5, 0xfffff, v17
	v_add_u32_e32 v50, v5, v16
	v_cmp_ne_u32_e32 vcc, 0, v18
                                        ; implicit-def: $vgpr16_vgpr17
                                        ; implicit-def: $vgpr5
	s_and_saveexec_b64 s[18:19], vcc
	s_xor_b64 s[18:19], exec, s[18:19]
; %bb.3949:                             ;   in Loop: Header=BB4_3547 Depth=2
	v_cmp_lt_u64_e32 vcc, s[58:59], v[50:51]
	v_add_u32_e32 v5, 7, v22
	v_cndmask_b32_e64 v16, 0, 1, vcc
	v_lshrrev_b64 v[16:17], v16, v[50:51]
	v_cndmask_b32_e32 v5, v18, v5, vcc
; %bb.3950:                             ;   in Loop: Header=BB4_3547 Depth=2
	s_andn2_saveexec_b64 s[18:19], s[18:19]
; %bb.3951:                             ;   in Loop: Header=BB4_3547 Depth=2
	v_mov_b32_e32 v16, v50
	v_bfe_u32 v5, v50, 23, 1
	v_mov_b32_e32 v17, v51
; %bb.3952:                             ;   in Loop: Header=BB4_3547 Depth=2
	s_or_b64 exec, exec, s[18:19]
	v_lshrrev_b64 v[16:17], 20, v[16:17]
	v_cmp_gt_i32_e32 vcc, 16, v5
	v_cndmask_b32_e32 v17, 0, v17, vcc
	v_cndmask_b32_e32 v16, 7, v16, vcc
	v_cmp_ne_u64_e32 vcc, 0, v[16:17]
	v_cmp_ne_u32_e64 s[18:19], 0, v5
	s_or_b64 s[18:19], s[18:19], vcc
                                        ; implicit-def: $vgpr40
	s_and_saveexec_b64 s[92:93], s[18:19]
	s_xor_b64 s[18:19], exec, s[92:93]
; %bb.3953:                             ;   in Loop: Header=BB4_3547 Depth=2
	v_min_i32_e32 v5, 15, v5
	v_lshl_or_b32 v4, v5, 3, v4
	v_and_or_b32 v40, v16, 7, v4
                                        ; implicit-def: $vgpr4
; %bb.3954:                             ;   in Loop: Header=BB4_3547 Depth=2
	s_andn2_saveexec_b64 s[18:19], s[18:19]
; %bb.3955:                             ;   in Loop: Header=BB4_3547 Depth=2
	v_mov_b32_e32 v40, v4
; %bb.3956:                             ;   in Loop: Header=BB4_3547 Depth=2
	s_or_b64 exec, exec, s[18:19]
.LBB4_3957:                             ;   in Loop: Header=BB4_3547 Depth=2
	s_or_b64 exec, exec, s[90:91]
                                        ; implicit-def: $vgpr4
.LBB4_3958:                             ;   in Loop: Header=BB4_3547 Depth=2
	s_andn2_saveexec_b64 s[18:19], s[88:89]
; %bb.3959:                             ;   in Loop: Header=BB4_3547 Depth=2
	v_or_b32_e32 v40, 0x7e, v4
; %bb.3960:                             ;   in Loop: Header=BB4_3547 Depth=2
	s_or_b64 exec, exec, s[18:19]
                                        ; implicit-def: $vgpr5
.LBB4_3961:                             ;   in Loop: Header=BB4_3547 Depth=2
	s_andn2_saveexec_b64 s[18:19], s[78:79]
; %bb.3962:                             ;   in Loop: Header=BB4_3547 Depth=2
	v_or_b32_sdwa v40, v5, s50 dst_sel:DWORD dst_unused:UNUSED_PAD src0_sel:BYTE_3 src1_sel:DWORD
; %bb.3963:                             ;   in Loop: Header=BB4_3547 Depth=2
	s_or_b64 exec, exec, s[18:19]
	v_and_b32_e32 v16, 0xff, v35
	v_cmp_ne_u16_e32 vcc, 0, v16
	v_mov_b32_e32 v4, 0
	v_mov_b32_e32 v5, 0
	s_and_saveexec_b64 s[18:19], vcc
	s_cbranch_execz .LBB4_3969
; %bb.3964:                             ;   in Loop: Header=BB4_3547 Depth=2
	v_cmp_ne_u16_e32 vcc, s49, v16
	v_bfrev_b32_e32 v5, 1
	s_and_saveexec_b64 s[78:79], vcc
	s_cbranch_execz .LBB4_3968
; %bb.3965:                             ;   in Loop: Header=BB4_3547 Depth=2
	v_and_b32_e32 v17, 0x7f, v35
	v_cmp_ne_u32_e32 vcc, s50, v17
	v_mov_b32_e32 v5, 0x7f800001
	s_and_saveexec_b64 s[88:89], vcc
	s_cbranch_execz .LBB4_3967
; %bb.3966:                             ;   in Loop: Header=BB4_3547 Depth=2
	v_and_b32_e32 v5, 7, v16
	v_lshrrev_b32_e32 v18, 3, v17
	v_cmp_gt_u32_e32 vcc, 8, v17
	v_ffbh_u32_e32 v17, v5
	v_min_u32_e32 v19, 32, v17
	v_subrev_u32_e32 v17, 28, v19
	v_lshlrev_b64 v[16:17], v17, v[16:17]
	v_sub_u32_e32 v17, 29, v19
	v_and_b32_e32 v16, 7, v16
	v_cndmask_b32_e32 v17, v18, v17, vcc
	v_cndmask_b32_e32 v5, v5, v16, vcc
	v_lshlrev_b32_e32 v16, 24, v35
	v_lshlrev_b32_e32 v5, 20, v5
	v_and_b32_e32 v16, 0x80000000, v16
	v_lshl_add_u32 v17, v17, 23, v62
	v_or3_b32 v5, v16, v17, v5
.LBB4_3967:                             ;   in Loop: Header=BB4_3547 Depth=2
	s_or_b64 exec, exec, s[88:89]
.LBB4_3968:                             ;   in Loop: Header=BB4_3547 Depth=2
	s_or_b64 exec, exec, s[78:79]
.LBB4_3969:                             ;   in Loop: Header=BB4_3547 Depth=2
	s_or_b64 exec, exec, s[18:19]
	v_and_b32_e32 v16, 0xff, v31
	v_cmp_ne_u16_e32 vcc, 0, v16
	s_and_saveexec_b64 s[18:19], vcc
	s_cbranch_execz .LBB4_3975
; %bb.3970:                             ;   in Loop: Header=BB4_3547 Depth=2
	v_cmp_ne_u16_e32 vcc, s49, v16
	v_bfrev_b32_e32 v4, 1
	s_and_saveexec_b64 s[78:79], vcc
	s_cbranch_execz .LBB4_3974
; %bb.3971:                             ;   in Loop: Header=BB4_3547 Depth=2
	v_and_b32_e32 v17, 0x7f, v31
	v_cmp_ne_u32_e32 vcc, s50, v17
	v_mov_b32_e32 v4, 0x7f800001
	s_and_saveexec_b64 s[88:89], vcc
	s_cbranch_execz .LBB4_3973
; %bb.3972:                             ;   in Loop: Header=BB4_3547 Depth=2
	v_and_b32_e32 v4, 7, v16
	v_lshrrev_b32_e32 v18, 3, v17
	v_cmp_gt_u32_e32 vcc, 8, v17
	v_ffbh_u32_e32 v17, v4
	v_min_u32_e32 v19, 32, v17
	v_subrev_u32_e32 v17, 28, v19
	v_lshlrev_b64 v[16:17], v17, v[16:17]
	v_sub_u32_e32 v17, 29, v19
	v_and_b32_e32 v16, 7, v16
	v_cndmask_b32_e32 v17, v18, v17, vcc
	v_cndmask_b32_e32 v4, v4, v16, vcc
	v_lshlrev_b32_e32 v16, 24, v31
	v_lshlrev_b32_e32 v4, 20, v4
	v_and_b32_e32 v16, 0x80000000, v16
	v_lshl_add_u32 v17, v17, 23, v62
	v_or3_b32 v4, v16, v17, v4
.LBB4_3973:                             ;   in Loop: Header=BB4_3547 Depth=2
	s_or_b64 exec, exec, s[88:89]
.LBB4_3974:                             ;   in Loop: Header=BB4_3547 Depth=2
	s_or_b64 exec, exec, s[78:79]
.LBB4_3975:                             ;   in Loop: Header=BB4_3547 Depth=2
	s_or_b64 exec, exec, s[18:19]
	v_add_f32_e32 v5, v5, v4
	v_and_b32_e32 v50, 0x7f800000, v5
	v_cmp_ne_u64_e32 vcc, s[46:47], v[50:51]
                                        ; implicit-def: $vgpr22
	s_and_saveexec_b64 s[18:19], vcc
	s_xor_b64 s[78:79], exec, s[18:19]
	s_cbranch_execz .LBB4_3993
; %bb.3976:                             ;   in Loop: Header=BB4_3547 Depth=2
	v_and_b32_e32 v50, 0x7fffffff, v5
	v_cmp_gt_u64_e32 vcc, s[56:57], v[50:51]
	v_and_b32_sdwa v4, v5, s49 dst_sel:DWORD dst_unused:UNUSED_PAD src0_sel:BYTE_3 src1_sel:DWORD
                                        ; implicit-def: $vgpr22
	s_and_saveexec_b64 s[18:19], vcc
	s_xor_b64 s[88:89], exec, s[18:19]
	s_cbranch_execz .LBB4_3990
; %bb.3977:                             ;   in Loop: Header=BB4_3547 Depth=2
	v_cmp_ne_u32_e32 vcc, 0, v5
	v_mov_b32_e32 v22, 0
	s_and_saveexec_b64 s[90:91], vcc
	s_cbranch_execz .LBB4_3989
; %bb.3978:                             ;   in Loop: Header=BB4_3547 Depth=2
	v_and_b32_e32 v16, 0x7fffff, v5
	v_bfe_u32 v5, v5, 23, 8
	v_cmp_gt_u32_e64 s[18:19], s51, v5
	v_sub_u32_e32 v17, 0x79, v5
	v_cmp_eq_u32_e32 vcc, 0, v5
	v_cndmask_b32_e64 v17, 0, v17, s[18:19]
	v_or_b32_e32 v18, 0x800000, v16
	v_cndmask_b32_e32 v22, v17, v49, vcc
	v_cndmask_b32_e32 v50, v18, v16, vcc
	v_add_u32_e32 v16, 20, v22
	v_lshlrev_b64 v[16:17], v16, -1
	v_add_u32_e32 v18, 19, v22
	v_lshlrev_b64 v[18:19], v18, 1
	v_bfi_b32 v17, v17, 0, 0
	v_bfi_b32 v16, v16, 0, v50
	v_cmp_eq_u64_e64 s[18:19], v[16:17], v[18:19]
	v_lshrrev_b64 v[16:17], v22, v[50:51]
	v_mov_b32_e32 v18, v17
	v_mov_b32_e32 v17, v16
	s_and_saveexec_b64 s[92:93], s[18:19]
; %bb.3979:                             ;   in Loop: Header=BB4_3547 Depth=2
	v_bfe_u32 v17, v16, 20, 1
	v_add_co_u32_e64 v17, s[18:19], v16, v17
	v_add_co_u32_e64 v17, s[18:19], -1, v17
; %bb.3980:                             ;   in Loop: Header=BB4_3547 Depth=2
	s_or_b64 exec, exec, s[92:93]
	v_add_u32_e32 v5, 0xffffff81, v5
	v_mov_b32_e32 v18, 0xffffff82
	v_cndmask_b32_e32 v5, v5, v18, vcc
	v_lshrrev_b32_e32 v18, 23, v16
	v_add3_u32 v22, v22, v5, v18
	v_add_u32_e32 v18, 6, v22
	v_and_b32_e32 v5, 0xfffff, v17
	v_add_u32_e32 v50, v5, v16
	v_cmp_ne_u32_e32 vcc, 0, v18
                                        ; implicit-def: $vgpr16_vgpr17
                                        ; implicit-def: $vgpr5
	s_and_saveexec_b64 s[18:19], vcc
	s_xor_b64 s[18:19], exec, s[18:19]
; %bb.3981:                             ;   in Loop: Header=BB4_3547 Depth=2
	v_cmp_lt_u64_e32 vcc, s[58:59], v[50:51]
	v_add_u32_e32 v5, 7, v22
	v_cndmask_b32_e64 v16, 0, 1, vcc
	v_lshrrev_b64 v[16:17], v16, v[50:51]
	v_cndmask_b32_e32 v5, v18, v5, vcc
; %bb.3982:                             ;   in Loop: Header=BB4_3547 Depth=2
	s_andn2_saveexec_b64 s[18:19], s[18:19]
; %bb.3983:                             ;   in Loop: Header=BB4_3547 Depth=2
	v_mov_b32_e32 v16, v50
	v_bfe_u32 v5, v50, 23, 1
	v_mov_b32_e32 v17, v51
; %bb.3984:                             ;   in Loop: Header=BB4_3547 Depth=2
	s_or_b64 exec, exec, s[18:19]
	v_lshrrev_b64 v[16:17], 20, v[16:17]
	v_cmp_gt_i32_e32 vcc, 16, v5
	v_cndmask_b32_e32 v17, 0, v17, vcc
	v_cndmask_b32_e32 v16, 7, v16, vcc
	v_cmp_ne_u64_e32 vcc, 0, v[16:17]
	v_cmp_ne_u32_e64 s[18:19], 0, v5
	s_or_b64 s[18:19], s[18:19], vcc
                                        ; implicit-def: $vgpr22
	s_and_saveexec_b64 s[92:93], s[18:19]
	s_xor_b64 s[18:19], exec, s[92:93]
; %bb.3985:                             ;   in Loop: Header=BB4_3547 Depth=2
	v_min_i32_e32 v5, 15, v5
	v_lshl_or_b32 v4, v5, 3, v4
	v_and_or_b32 v22, v16, 7, v4
                                        ; implicit-def: $vgpr4
; %bb.3986:                             ;   in Loop: Header=BB4_3547 Depth=2
	s_andn2_saveexec_b64 s[18:19], s[18:19]
; %bb.3987:                             ;   in Loop: Header=BB4_3547 Depth=2
	v_mov_b32_e32 v22, v4
; %bb.3988:                             ;   in Loop: Header=BB4_3547 Depth=2
	s_or_b64 exec, exec, s[18:19]
.LBB4_3989:                             ;   in Loop: Header=BB4_3547 Depth=2
	s_or_b64 exec, exec, s[90:91]
                                        ; implicit-def: $vgpr4
.LBB4_3990:                             ;   in Loop: Header=BB4_3547 Depth=2
	s_andn2_saveexec_b64 s[18:19], s[88:89]
; %bb.3991:                             ;   in Loop: Header=BB4_3547 Depth=2
	v_or_b32_e32 v22, 0x7e, v4
; %bb.3992:                             ;   in Loop: Header=BB4_3547 Depth=2
	s_or_b64 exec, exec, s[18:19]
                                        ; implicit-def: $vgpr5
.LBB4_3993:                             ;   in Loop: Header=BB4_3547 Depth=2
	s_andn2_saveexec_b64 s[18:19], s[78:79]
; %bb.3994:                             ;   in Loop: Header=BB4_3547 Depth=2
	v_or_b32_sdwa v22, v5, s50 dst_sel:DWORD dst_unused:UNUSED_PAD src0_sel:BYTE_3 src1_sel:DWORD
; %bb.3995:                             ;   in Loop: Header=BB4_3547 Depth=2
	s_or_b64 exec, exec, s[18:19]
	v_and_b32_e32 v16, 0xff, v30
	v_cmp_ne_u16_e32 vcc, 0, v16
	v_mov_b32_e32 v4, 0
	v_mov_b32_e32 v5, 0
	s_and_saveexec_b64 s[18:19], vcc
	s_cbranch_execz .LBB4_4001
; %bb.3996:                             ;   in Loop: Header=BB4_3547 Depth=2
	v_cmp_ne_u16_e32 vcc, s49, v16
	v_bfrev_b32_e32 v5, 1
	s_and_saveexec_b64 s[78:79], vcc
	s_cbranch_execz .LBB4_4000
; %bb.3997:                             ;   in Loop: Header=BB4_3547 Depth=2
	v_and_b32_e32 v17, 0x7f, v30
	v_cmp_ne_u32_e32 vcc, s50, v17
	v_mov_b32_e32 v5, 0x7f800001
	s_and_saveexec_b64 s[88:89], vcc
	s_cbranch_execz .LBB4_3999
; %bb.3998:                             ;   in Loop: Header=BB4_3547 Depth=2
	v_and_b32_e32 v5, 7, v16
	v_lshrrev_b32_e32 v18, 3, v17
	v_cmp_gt_u32_e32 vcc, 8, v17
	v_ffbh_u32_e32 v17, v5
	v_min_u32_e32 v19, 32, v17
	v_subrev_u32_e32 v17, 28, v19
	v_lshlrev_b64 v[16:17], v17, v[16:17]
	v_sub_u32_e32 v17, 29, v19
	v_and_b32_e32 v16, 7, v16
	v_cndmask_b32_e32 v17, v18, v17, vcc
	v_cndmask_b32_e32 v5, v5, v16, vcc
	v_lshlrev_b32_e32 v16, 24, v30
	v_lshlrev_b32_e32 v5, 20, v5
	v_and_b32_e32 v16, 0x80000000, v16
	v_lshl_add_u32 v17, v17, 23, v62
	v_or3_b32 v5, v16, v17, v5
.LBB4_3999:                             ;   in Loop: Header=BB4_3547 Depth=2
	s_or_b64 exec, exec, s[88:89]
.LBB4_4000:                             ;   in Loop: Header=BB4_3547 Depth=2
	s_or_b64 exec, exec, s[78:79]
.LBB4_4001:                             ;   in Loop: Header=BB4_3547 Depth=2
	s_or_b64 exec, exec, s[18:19]
	v_and_b32_e32 v16, 0xff, v26
	v_cmp_ne_u16_e32 vcc, 0, v16
	s_and_saveexec_b64 s[18:19], vcc
	s_cbranch_execz .LBB4_4007
; %bb.4002:                             ;   in Loop: Header=BB4_3547 Depth=2
	v_cmp_ne_u16_e32 vcc, s49, v16
	v_bfrev_b32_e32 v4, 1
	s_and_saveexec_b64 s[78:79], vcc
	s_cbranch_execz .LBB4_4006
; %bb.4003:                             ;   in Loop: Header=BB4_3547 Depth=2
	v_and_b32_e32 v17, 0x7f, v26
	v_cmp_ne_u32_e32 vcc, s50, v17
	v_mov_b32_e32 v4, 0x7f800001
	s_and_saveexec_b64 s[88:89], vcc
	s_cbranch_execz .LBB4_4005
; %bb.4004:                             ;   in Loop: Header=BB4_3547 Depth=2
	v_and_b32_e32 v4, 7, v16
	v_lshrrev_b32_e32 v18, 3, v17
	v_cmp_gt_u32_e32 vcc, 8, v17
	v_ffbh_u32_e32 v17, v4
	v_min_u32_e32 v19, 32, v17
	v_subrev_u32_e32 v17, 28, v19
	v_lshlrev_b64 v[16:17], v17, v[16:17]
	v_sub_u32_e32 v17, 29, v19
	v_and_b32_e32 v16, 7, v16
	v_cndmask_b32_e32 v17, v18, v17, vcc
	v_cndmask_b32_e32 v4, v4, v16, vcc
	v_lshlrev_b32_e32 v16, 24, v26
	v_lshlrev_b32_e32 v4, 20, v4
	v_and_b32_e32 v16, 0x80000000, v16
	v_lshl_add_u32 v17, v17, 23, v62
	v_or3_b32 v4, v16, v17, v4
.LBB4_4005:                             ;   in Loop: Header=BB4_3547 Depth=2
	s_or_b64 exec, exec, s[88:89]
.LBB4_4006:                             ;   in Loop: Header=BB4_3547 Depth=2
	s_or_b64 exec, exec, s[78:79]
.LBB4_4007:                             ;   in Loop: Header=BB4_3547 Depth=2
	s_or_b64 exec, exec, s[18:19]
	v_add_f32_e32 v16, v5, v4
	v_and_b32_e32 v50, 0x7f800000, v16
	v_cmp_ne_u64_e32 vcc, s[46:47], v[50:51]
                                        ; implicit-def: $vgpr4
	s_and_saveexec_b64 s[18:19], vcc
	s_xor_b64 s[78:79], exec, s[18:19]
	s_cbranch_execz .LBB4_4025
; %bb.4008:                             ;   in Loop: Header=BB4_3547 Depth=2
	v_and_b32_e32 v50, 0x7fffffff, v16
	v_cmp_gt_u64_e32 vcc, s[56:57], v[50:51]
	v_and_b32_sdwa v5, v16, s49 dst_sel:DWORD dst_unused:UNUSED_PAD src0_sel:BYTE_3 src1_sel:DWORD
                                        ; implicit-def: $vgpr4
	s_and_saveexec_b64 s[18:19], vcc
	s_xor_b64 s[88:89], exec, s[18:19]
	s_cbranch_execz .LBB4_4022
; %bb.4009:                             ;   in Loop: Header=BB4_3547 Depth=2
	v_cmp_ne_u32_e32 vcc, 0, v16
	v_mov_b32_e32 v4, 0
	s_and_saveexec_b64 s[90:91], vcc
	s_cbranch_execz .LBB4_4021
; %bb.4010:                             ;   in Loop: Header=BB4_3547 Depth=2
	v_bfe_u32 v4, v16, 23, 8
	v_and_b32_e32 v17, 0x7fffff, v16
	v_cmp_gt_u32_e64 s[18:19], s51, v4
	v_sub_u32_e32 v16, 0x79, v4
	v_cmp_eq_u32_e32 vcc, 0, v4
	v_cndmask_b32_e64 v16, 0, v16, s[18:19]
	v_cndmask_b32_e32 v26, v16, v49, vcc
	v_or_b32_e32 v18, 0x800000, v17
	v_add_u32_e32 v16, 20, v26
	v_cndmask_b32_e32 v50, v18, v17, vcc
	v_lshlrev_b64 v[16:17], v16, -1
	v_add_u32_e32 v18, 19, v26
	v_lshlrev_b64 v[18:19], v18, 1
	v_bfi_b32 v17, v17, 0, 0
	v_bfi_b32 v16, v16, 0, v50
	v_cmp_eq_u64_e64 s[18:19], v[16:17], v[18:19]
	v_lshrrev_b64 v[16:17], v26, v[50:51]
	v_mov_b32_e32 v18, v17
	v_mov_b32_e32 v17, v16
	s_and_saveexec_b64 s[92:93], s[18:19]
; %bb.4011:                             ;   in Loop: Header=BB4_3547 Depth=2
	v_bfe_u32 v17, v16, 20, 1
	v_add_co_u32_e64 v17, s[18:19], v16, v17
	v_add_co_u32_e64 v17, s[18:19], -1, v17
; %bb.4012:                             ;   in Loop: Header=BB4_3547 Depth=2
	s_or_b64 exec, exec, s[92:93]
	v_add_u32_e32 v4, 0xffffff81, v4
	v_mov_b32_e32 v18, 0xffffff82
	v_cndmask_b32_e32 v4, v4, v18, vcc
	v_lshrrev_b32_e32 v18, 23, v16
	v_add3_u32 v26, v26, v4, v18
	v_add_u32_e32 v4, 6, v26
	v_and_b32_e32 v17, 0xfffff, v17
	v_add_u32_e32 v50, v17, v16
	v_cmp_ne_u32_e32 vcc, 0, v4
                                        ; implicit-def: $vgpr16_vgpr17
                                        ; implicit-def: $vgpr18
	s_and_saveexec_b64 s[18:19], vcc
	s_xor_b64 s[18:19], exec, s[18:19]
; %bb.4013:                             ;   in Loop: Header=BB4_3547 Depth=2
	v_cmp_lt_u64_e32 vcc, s[58:59], v[50:51]
	v_add_u32_e32 v16, 7, v26
	v_cndmask_b32_e32 v18, v4, v16, vcc
	v_cndmask_b32_e64 v4, 0, 1, vcc
	v_lshrrev_b64 v[16:17], v4, v[50:51]
; %bb.4014:                             ;   in Loop: Header=BB4_3547 Depth=2
	s_andn2_saveexec_b64 s[18:19], s[18:19]
; %bb.4015:                             ;   in Loop: Header=BB4_3547 Depth=2
	v_mov_b32_e32 v16, v50
	v_bfe_u32 v18, v50, 23, 1
	v_mov_b32_e32 v17, v51
; %bb.4016:                             ;   in Loop: Header=BB4_3547 Depth=2
	s_or_b64 exec, exec, s[18:19]
	v_lshrrev_b64 v[16:17], 20, v[16:17]
	v_cmp_gt_i32_e32 vcc, 16, v18
	v_cndmask_b32_e32 v17, 0, v17, vcc
	v_cndmask_b32_e32 v16, 7, v16, vcc
	v_cmp_ne_u64_e32 vcc, 0, v[16:17]
	v_cmp_ne_u32_e64 s[18:19], 0, v18
	s_or_b64 s[18:19], s[18:19], vcc
                                        ; implicit-def: $vgpr4
	s_and_saveexec_b64 s[92:93], s[18:19]
	s_xor_b64 s[18:19], exec, s[92:93]
; %bb.4017:                             ;   in Loop: Header=BB4_3547 Depth=2
	v_min_i32_e32 v4, 15, v18
	v_lshl_or_b32 v4, v4, 3, v5
	v_and_or_b32 v4, v16, 7, v4
                                        ; implicit-def: $vgpr5
; %bb.4018:                             ;   in Loop: Header=BB4_3547 Depth=2
	s_andn2_saveexec_b64 s[18:19], s[18:19]
; %bb.4019:                             ;   in Loop: Header=BB4_3547 Depth=2
	v_mov_b32_e32 v4, v5
; %bb.4020:                             ;   in Loop: Header=BB4_3547 Depth=2
	s_or_b64 exec, exec, s[18:19]
.LBB4_4021:                             ;   in Loop: Header=BB4_3547 Depth=2
	s_or_b64 exec, exec, s[90:91]
                                        ; implicit-def: $vgpr5
.LBB4_4022:                             ;   in Loop: Header=BB4_3547 Depth=2
	s_andn2_saveexec_b64 s[18:19], s[88:89]
; %bb.4023:                             ;   in Loop: Header=BB4_3547 Depth=2
	v_or_b32_e32 v4, 0x7e, v5
; %bb.4024:                             ;   in Loop: Header=BB4_3547 Depth=2
	s_or_b64 exec, exec, s[18:19]
                                        ; implicit-def: $vgpr16
.LBB4_4025:                             ;   in Loop: Header=BB4_3547 Depth=2
	s_andn2_saveexec_b64 s[18:19], s[78:79]
; %bb.4026:                             ;   in Loop: Header=BB4_3547 Depth=2
	v_or_b32_sdwa v4, v16, s50 dst_sel:DWORD dst_unused:UNUSED_PAD src0_sel:BYTE_3 src1_sel:DWORD
; %bb.4027:                             ;   in Loop: Header=BB4_3547 Depth=2
	s_or_b64 exec, exec, s[18:19]
	v_and_b32_e32 v16, 0xff, v25
	v_cmp_ne_u16_e32 vcc, 0, v16
	v_mov_b32_e32 v5, 0
	v_mov_b32_e32 v17, 0
	s_and_saveexec_b64 s[18:19], vcc
	s_cbranch_execz .LBB4_4033
; %bb.4028:                             ;   in Loop: Header=BB4_3547 Depth=2
	v_cmp_ne_u16_e32 vcc, s49, v16
	v_bfrev_b32_e32 v17, 1
	s_and_saveexec_b64 s[78:79], vcc
	s_cbranch_execz .LBB4_4032
; %bb.4029:                             ;   in Loop: Header=BB4_3547 Depth=2
	v_and_b32_e32 v18, 0x7f, v25
	v_cmp_ne_u32_e32 vcc, s50, v18
	v_mov_b32_e32 v17, 0x7f800001
	s_and_saveexec_b64 s[88:89], vcc
	s_cbranch_execz .LBB4_4031
; %bb.4030:                             ;   in Loop: Header=BB4_3547 Depth=2
	v_and_b32_e32 v19, 7, v16
	v_ffbh_u32_e32 v17, v19
	v_lshrrev_b32_e32 v26, 3, v18
	v_cmp_gt_u32_e32 vcc, 8, v18
	v_min_u32_e32 v18, 32, v17
	v_subrev_u32_e32 v17, 28, v18
	v_lshlrev_b64 v[16:17], v17, v[16:17]
	v_sub_u32_e32 v17, 29, v18
	v_and_b32_e32 v16, 7, v16
	v_cndmask_b32_e32 v17, v26, v17, vcc
	v_cndmask_b32_e32 v16, v19, v16, vcc
	v_lshlrev_b32_e32 v18, 24, v25
	v_lshlrev_b32_e32 v16, 20, v16
	v_and_b32_e32 v18, 0x80000000, v18
	v_lshl_add_u32 v17, v17, 23, v62
	v_or3_b32 v17, v18, v17, v16
.LBB4_4031:                             ;   in Loop: Header=BB4_3547 Depth=2
	s_or_b64 exec, exec, s[88:89]
.LBB4_4032:                             ;   in Loop: Header=BB4_3547 Depth=2
	s_or_b64 exec, exec, s[78:79]
.LBB4_4033:                             ;   in Loop: Header=BB4_3547 Depth=2
	s_or_b64 exec, exec, s[18:19]
	v_and_b32_e32 v16, 0xff, v23
	v_cmp_ne_u16_e32 vcc, 0, v16
	s_and_saveexec_b64 s[18:19], vcc
	s_cbranch_execz .LBB4_4039
; %bb.4034:                             ;   in Loop: Header=BB4_3547 Depth=2
	v_cmp_ne_u16_e32 vcc, s49, v16
	v_bfrev_b32_e32 v5, 1
	s_and_saveexec_b64 s[78:79], vcc
	s_cbranch_execz .LBB4_4038
; %bb.4035:                             ;   in Loop: Header=BB4_3547 Depth=2
	v_and_b32_e32 v18, 0x7f, v23
	v_cmp_ne_u32_e32 vcc, s50, v18
	v_mov_b32_e32 v5, 0x7f800001
	s_and_saveexec_b64 s[88:89], vcc
	s_cbranch_execz .LBB4_4037
; %bb.4036:                             ;   in Loop: Header=BB4_3547 Depth=2
	v_and_b32_e32 v5, 7, v16
	v_lshrrev_b32_e32 v25, 3, v18
	v_cmp_gt_u32_e32 vcc, 8, v18
	v_ffbh_u32_e32 v18, v5
	v_min_u32_e32 v26, 32, v18
	v_subrev_u32_e32 v18, 28, v26
	v_lshlrev_b64 v[18:19], v18, v[16:17]
	v_sub_u32_e32 v16, 29, v26
	v_and_b32_e32 v18, 7, v18
	v_cndmask_b32_e32 v16, v25, v16, vcc
	v_cndmask_b32_e32 v5, v5, v18, vcc
	v_lshlrev_b32_e32 v18, 24, v23
	v_lshlrev_b32_e32 v5, 20, v5
	v_and_b32_e32 v18, 0x80000000, v18
	v_lshl_add_u32 v16, v16, 23, v62
	v_or3_b32 v5, v18, v16, v5
.LBB4_4037:                             ;   in Loop: Header=BB4_3547 Depth=2
	s_or_b64 exec, exec, s[88:89]
.LBB4_4038:                             ;   in Loop: Header=BB4_3547 Depth=2
	s_or_b64 exec, exec, s[78:79]
.LBB4_4039:                             ;   in Loop: Header=BB4_3547 Depth=2
	s_or_b64 exec, exec, s[18:19]
	v_add_f32_e32 v16, v17, v5
	v_and_b32_e32 v50, 0x7f800000, v16
	v_cmp_ne_u64_e32 vcc, s[46:47], v[50:51]
                                        ; implicit-def: $vgpr5
	s_and_saveexec_b64 s[18:19], vcc
	s_xor_b64 s[78:79], exec, s[18:19]
	s_cbranch_execz .LBB4_4057
; %bb.4040:                             ;   in Loop: Header=BB4_3547 Depth=2
	v_and_b32_e32 v50, 0x7fffffff, v16
	v_cmp_gt_u64_e32 vcc, s[56:57], v[50:51]
	v_and_b32_sdwa v23, v16, s49 dst_sel:DWORD dst_unused:UNUSED_PAD src0_sel:BYTE_3 src1_sel:DWORD
                                        ; implicit-def: $vgpr5
	s_and_saveexec_b64 s[18:19], vcc
	s_xor_b64 s[88:89], exec, s[18:19]
	s_cbranch_execz .LBB4_4054
; %bb.4041:                             ;   in Loop: Header=BB4_3547 Depth=2
	v_cmp_ne_u32_e32 vcc, 0, v16
	v_mov_b32_e32 v5, 0
	s_and_saveexec_b64 s[90:91], vcc
	s_cbranch_execz .LBB4_4053
; %bb.4042:                             ;   in Loop: Header=BB4_3547 Depth=2
	v_bfe_u32 v5, v16, 23, 8
	v_and_b32_e32 v17, 0x7fffff, v16
	v_cmp_gt_u32_e64 s[18:19], s51, v5
	v_sub_u32_e32 v16, 0x79, v5
	v_cmp_eq_u32_e32 vcc, 0, v5
	v_cndmask_b32_e64 v16, 0, v16, s[18:19]
	v_cndmask_b32_e32 v25, v16, v49, vcc
	v_or_b32_e32 v18, 0x800000, v17
	v_add_u32_e32 v16, 20, v25
	v_cndmask_b32_e32 v50, v18, v17, vcc
	v_lshlrev_b64 v[16:17], v16, -1
	v_add_u32_e32 v18, 19, v25
	v_lshlrev_b64 v[18:19], v18, 1
	v_bfi_b32 v17, v17, 0, 0
	v_bfi_b32 v16, v16, 0, v50
	v_cmp_eq_u64_e64 s[18:19], v[16:17], v[18:19]
	v_lshrrev_b64 v[16:17], v25, v[50:51]
	v_mov_b32_e32 v18, v17
	v_mov_b32_e32 v17, v16
	s_and_saveexec_b64 s[92:93], s[18:19]
; %bb.4043:                             ;   in Loop: Header=BB4_3547 Depth=2
	v_bfe_u32 v17, v16, 20, 1
	v_add_co_u32_e64 v17, s[18:19], v16, v17
	v_add_co_u32_e64 v17, s[18:19], -1, v17
; %bb.4044:                             ;   in Loop: Header=BB4_3547 Depth=2
	s_or_b64 exec, exec, s[92:93]
	v_add_u32_e32 v5, 0xffffff81, v5
	v_mov_b32_e32 v18, 0xffffff82
	v_cndmask_b32_e32 v5, v5, v18, vcc
	v_lshrrev_b32_e32 v18, 23, v16
	v_add3_u32 v25, v25, v5, v18
	v_add_u32_e32 v5, 6, v25
	v_and_b32_e32 v17, 0xfffff, v17
	v_add_u32_e32 v50, v17, v16
	v_cmp_ne_u32_e32 vcc, 0, v5
                                        ; implicit-def: $vgpr16_vgpr17
                                        ; implicit-def: $vgpr18
	s_and_saveexec_b64 s[18:19], vcc
	s_xor_b64 s[18:19], exec, s[18:19]
; %bb.4045:                             ;   in Loop: Header=BB4_3547 Depth=2
	v_cmp_lt_u64_e32 vcc, s[58:59], v[50:51]
	v_add_u32_e32 v16, 7, v25
	v_cndmask_b32_e32 v18, v5, v16, vcc
	v_cndmask_b32_e64 v5, 0, 1, vcc
	v_lshrrev_b64 v[16:17], v5, v[50:51]
; %bb.4046:                             ;   in Loop: Header=BB4_3547 Depth=2
	s_andn2_saveexec_b64 s[18:19], s[18:19]
; %bb.4047:                             ;   in Loop: Header=BB4_3547 Depth=2
	v_mov_b32_e32 v16, v50
	v_bfe_u32 v18, v50, 23, 1
	v_mov_b32_e32 v17, v51
; %bb.4048:                             ;   in Loop: Header=BB4_3547 Depth=2
	s_or_b64 exec, exec, s[18:19]
	v_lshrrev_b64 v[16:17], 20, v[16:17]
	v_cmp_gt_i32_e32 vcc, 16, v18
	v_cndmask_b32_e32 v17, 0, v17, vcc
	v_cndmask_b32_e32 v16, 7, v16, vcc
	v_cmp_ne_u64_e32 vcc, 0, v[16:17]
	v_cmp_ne_u32_e64 s[18:19], 0, v18
	s_or_b64 s[18:19], s[18:19], vcc
                                        ; implicit-def: $vgpr5
	s_and_saveexec_b64 s[92:93], s[18:19]
	s_xor_b64 s[18:19], exec, s[92:93]
; %bb.4049:                             ;   in Loop: Header=BB4_3547 Depth=2
	v_min_i32_e32 v5, 15, v18
	v_lshl_or_b32 v5, v5, 3, v23
	v_and_or_b32 v5, v16, 7, v5
                                        ; implicit-def: $vgpr23
; %bb.4050:                             ;   in Loop: Header=BB4_3547 Depth=2
	s_andn2_saveexec_b64 s[18:19], s[18:19]
; %bb.4051:                             ;   in Loop: Header=BB4_3547 Depth=2
	v_mov_b32_e32 v5, v23
; %bb.4052:                             ;   in Loop: Header=BB4_3547 Depth=2
	s_or_b64 exec, exec, s[18:19]
.LBB4_4053:                             ;   in Loop: Header=BB4_3547 Depth=2
	s_or_b64 exec, exec, s[90:91]
                                        ; implicit-def: $vgpr23
.LBB4_4054:                             ;   in Loop: Header=BB4_3547 Depth=2
	s_andn2_saveexec_b64 s[18:19], s[88:89]
; %bb.4055:                             ;   in Loop: Header=BB4_3547 Depth=2
	v_or_b32_e32 v5, 0x7e, v23
; %bb.4056:                             ;   in Loop: Header=BB4_3547 Depth=2
	s_or_b64 exec, exec, s[18:19]
                                        ; implicit-def: $vgpr16
.LBB4_4057:                             ;   in Loop: Header=BB4_3547 Depth=2
	s_andn2_saveexec_b64 s[18:19], s[78:79]
	s_cbranch_execz .LBB4_3546
; %bb.4058:                             ;   in Loop: Header=BB4_3547 Depth=2
	v_or_b32_sdwa v5, v16, s50 dst_sel:DWORD dst_unused:UNUSED_PAD src0_sel:BYTE_3 src1_sel:DWORD
	s_branch .LBB4_3546
.LBB4_4059:                             ;   in Loop: Header=BB4_2115 Depth=1
	s_or_b64 exec, exec, s[76:77]
	buffer_load_dword v54, off, s[0:3], s33 offset:180 ; 4-byte Folded Reload
	buffer_load_dword v47, off, s[0:3], s33 offset:184 ; 4-byte Folded Reload
	;; [unrolled: 1-line block ×4, first 2 shown]
	v_mov_b32_e32 v56, 0x7f800001
.LBB4_4060:                             ;   in Loop: Header=BB4_2115 Depth=1
	s_or_b64 exec, exec, s[74:75]
	v_and_b32_e32 v2, 0xfffffc00, v0
	v_cmp_ne_u32_e32 vcc, v0, v2
	s_and_b64 exec, exec, vcc
	s_cbranch_execz .LBB4_4096
; %bb.4061:                             ;   in Loop: Header=BB4_2115 Depth=1
	s_waitcnt vmcnt(0)
	v_add_u32_e32 v1, v20, v4
	v_and_b32_e32 v1, 0xffffffc0, v1
	v_sub_u32_e32 v1, v20, v1
	v_lshlrev_b32_e32 v4, 6, v21
	v_sub_u32_e32 v4, v1, v4
	v_and_b32_e32 v0, 0x3ff, v0
	v_sub_u32_e32 v1, v0, v4
	v_cmp_lt_i32_e32 vcc, 0, v1
	s_and_b64 exec, exec, vcc
	s_cbranch_execz .LBB4_4096
; %bb.4062:                             ;   in Loop: Header=BB4_2115 Depth=1
	s_trap 2
	ds_read_b128 v[10:13], v0
	v_add3_u32 v0, v2, v5, v4
	ds_read_b64 v[4:5], v0
	v_ashrrev_i32_e32 v2, 31, v0
	s_mov_b64 s[74:75], 0
	s_waitcnt lgkmcnt(0)
	v_add_co_u32_e32 v10, vcc, v10, v0
	v_addc_co_u32_e32 v11, vcc, v11, v2, vcc
	v_add_co_u32_e32 v12, vcc, v12, v0
	v_addc_co_u32_e32 v13, vcc, v13, v2, vcc
	;; [unrolled: 2-line block ×3, first 2 shown]
	s_branch .LBB4_4064
.LBB4_4063:                             ;   in Loop: Header=BB4_4064 Depth=2
	s_or_b64 exec, exec, s[18:19]
	v_add_co_u32_e32 v10, vcc, v10, v47
	v_addc_co_u32_e32 v11, vcc, 0, v11, vcc
	v_add_co_u32_e32 v12, vcc, v12, v47
	v_addc_co_u32_e32 v13, vcc, 0, v13, vcc
	v_sub_u32_e32 v1, v1, v47
	v_cmp_gt_i32_e32 vcc, 1, v1
	flat_store_byte v[14:15], v2 glc slc
	s_or_b64 s[74:75], vcc, s[74:75]
	v_add_co_u32_e32 v14, vcc, v14, v47
	v_addc_co_u32_e32 v15, vcc, 0, v15, vcc
	s_andn2_b64 exec, exec, s[74:75]
	s_cbranch_execz .LBB4_4096
.LBB4_4064:                             ;   Parent Loop BB4_2115 Depth=1
                                        ; =>  This Inner Loop Header: Depth=2
	flat_load_ubyte v5, v[10:11] glc slc
	flat_load_ubyte v2, v[12:13] glc slc
	v_mov_b32_e32 v0, 0
	v_mov_b32_e32 v4, 0
	s_waitcnt vmcnt(0) lgkmcnt(0)
	v_cmp_ne_u16_e32 vcc, 0, v5
	s_and_saveexec_b64 s[18:19], vcc
	s_cbranch_execz .LBB4_4070
; %bb.4065:                             ;   in Loop: Header=BB4_4064 Depth=2
	v_cmp_ne_u16_e32 vcc, s49, v5
	v_bfrev_b32_e32 v4, 1
	s_and_saveexec_b64 s[76:77], vcc
	s_cbranch_execz .LBB4_4069
; %bb.4066:                             ;   in Loop: Header=BB4_4064 Depth=2
	v_and_b32_e32 v16, 0xffff, v5
	v_and_b32_e32 v17, 0x7f, v16
	v_cmp_ne_u32_e32 vcc, s50, v17
	v_mov_b32_e32 v4, 0x7f800001
	s_and_saveexec_b64 s[78:79], vcc
	s_cbranch_execz .LBB4_4068
; %bb.4067:                             ;   in Loop: Header=BB4_4064 Depth=2
	v_and_b32_e32 v4, 7, v16
	v_lshrrev_b32_e32 v18, 3, v17
	v_cmp_gt_u32_e32 vcc, 8, v17
	v_ffbh_u32_e32 v17, v4
	v_min_u32_e32 v19, 32, v17
	v_subrev_u32_e32 v17, 28, v19
	v_lshlrev_b64 v[16:17], v17, v[16:17]
	v_sub_u32_e32 v17, 29, v19
	v_and_b32_e32 v16, 7, v16
	v_cndmask_b32_e32 v17, v18, v17, vcc
	v_cndmask_b32_e32 v4, v4, v16, vcc
	v_lshlrev_b32_e32 v5, 24, v5
	v_lshlrev_b32_e32 v4, 20, v4
	v_and_b32_e32 v5, 0x80000000, v5
	v_lshl_add_u32 v16, v17, 23, v62
	v_or3_b32 v4, v5, v16, v4
.LBB4_4068:                             ;   in Loop: Header=BB4_4064 Depth=2
	s_or_b64 exec, exec, s[78:79]
.LBB4_4069:                             ;   in Loop: Header=BB4_4064 Depth=2
	s_or_b64 exec, exec, s[76:77]
.LBB4_4070:                             ;   in Loop: Header=BB4_4064 Depth=2
	s_or_b64 exec, exec, s[18:19]
	v_and_b32_e32 v16, 0xff, v2
	v_cmp_ne_u16_e32 vcc, 0, v16
	s_and_saveexec_b64 s[18:19], vcc
	s_cbranch_execz .LBB4_4076
; %bb.4071:                             ;   in Loop: Header=BB4_4064 Depth=2
	v_cmp_ne_u16_e32 vcc, s49, v16
	v_bfrev_b32_e32 v0, 1
	s_and_saveexec_b64 s[76:77], vcc
	s_cbranch_execz .LBB4_4075
; %bb.4072:                             ;   in Loop: Header=BB4_4064 Depth=2
	v_and_b32_e32 v5, 0x7f, v2
	v_cmp_ne_u32_e32 vcc, s50, v5
	v_mov_b32_e32 v0, 0x7f800001
	s_and_saveexec_b64 s[78:79], vcc
	s_cbranch_execz .LBB4_4074
; %bb.4073:                             ;   in Loop: Header=BB4_4064 Depth=2
	v_and_b32_e32 v0, 7, v16
	v_lshrrev_b32_e32 v18, 3, v5
	v_cmp_gt_u32_e32 vcc, 8, v5
	v_ffbh_u32_e32 v5, v0
	v_min_u32_e32 v5, 32, v5
	v_subrev_u32_e32 v17, 28, v5
	v_lshlrev_b64 v[16:17], v17, v[16:17]
	v_sub_u32_e32 v5, 29, v5
	v_and_b32_e32 v16, 7, v16
	v_lshlrev_b32_e32 v2, 24, v2
	v_cndmask_b32_e32 v5, v18, v5, vcc
	v_cndmask_b32_e32 v0, v0, v16, vcc
	v_and_b32_e32 v2, 0x80000000, v2
	v_lshlrev_b32_e32 v0, 20, v0
	v_lshl_add_u32 v5, v5, 23, v62
	v_or3_b32 v0, v2, v5, v0
.LBB4_4074:                             ;   in Loop: Header=BB4_4064 Depth=2
	s_or_b64 exec, exec, s[78:79]
.LBB4_4075:                             ;   in Loop: Header=BB4_4064 Depth=2
	s_or_b64 exec, exec, s[76:77]
.LBB4_4076:                             ;   in Loop: Header=BB4_4064 Depth=2
	s_or_b64 exec, exec, s[18:19]
	v_add_f32_e32 v4, v4, v0
	v_and_b32_e32 v50, 0x7f800000, v4
	v_cmp_ne_u64_e32 vcc, s[46:47], v[50:51]
                                        ; implicit-def: $vgpr2
	s_and_saveexec_b64 s[18:19], vcc
	s_xor_b64 s[76:77], exec, s[18:19]
	s_cbranch_execz .LBB4_4094
; %bb.4077:                             ;   in Loop: Header=BB4_4064 Depth=2
	v_and_b32_e32 v50, 0x7fffffff, v4
	v_cmp_gt_u64_e32 vcc, s[56:57], v[50:51]
	v_and_b32_sdwa v0, v4, s49 dst_sel:DWORD dst_unused:UNUSED_PAD src0_sel:BYTE_3 src1_sel:DWORD
                                        ; implicit-def: $vgpr2
	s_and_saveexec_b64 s[18:19], vcc
	s_xor_b64 s[78:79], exec, s[18:19]
	s_cbranch_execz .LBB4_4091
; %bb.4078:                             ;   in Loop: Header=BB4_4064 Depth=2
	v_cmp_ne_u32_e32 vcc, 0, v4
	v_mov_b32_e32 v2, 0
	s_and_saveexec_b64 s[88:89], vcc
	s_cbranch_execz .LBB4_4090
; %bb.4079:                             ;   in Loop: Header=BB4_4064 Depth=2
	v_bfe_u32 v2, v4, 23, 8
	v_and_b32_e32 v5, 0x7fffff, v4
	v_cmp_gt_u32_e64 s[18:19], s51, v2
	v_sub_u32_e32 v4, 0x79, v2
	v_cmp_eq_u32_e32 vcc, 0, v2
	v_cndmask_b32_e64 v4, 0, v4, s[18:19]
	v_or_b32_e32 v16, 0x800000, v5
	v_cndmask_b32_e32 v4, v4, v49, vcc
	v_cndmask_b32_e32 v50, v16, v5, vcc
	v_add_u32_e32 v5, 20, v4
	v_lshlrev_b64 v[16:17], v5, -1
	v_add_u32_e32 v5, 19, v4
	v_lshlrev_b64 v[18:19], v5, 1
	v_bfi_b32 v17, v17, 0, 0
	v_bfi_b32 v16, v16, 0, v50
	v_cmp_eq_u64_e64 s[18:19], v[16:17], v[18:19]
	v_lshrrev_b64 v[16:17], v4, v[50:51]
	v_mov_b32_e32 v18, v17
	v_mov_b32_e32 v17, v16
	s_and_saveexec_b64 s[90:91], s[18:19]
; %bb.4080:                             ;   in Loop: Header=BB4_4064 Depth=2
	v_bfe_u32 v5, v16, 20, 1
	v_add_co_u32_e64 v5, s[18:19], v16, v5
	v_add_co_u32_e64 v17, s[18:19], -1, v5
; %bb.4081:                             ;   in Loop: Header=BB4_4064 Depth=2
	s_or_b64 exec, exec, s[90:91]
	v_add_u32_e32 v2, 0xffffff81, v2
	v_mov_b32_e32 v5, 0xffffff82
	v_cndmask_b32_e32 v2, v2, v5, vcc
	v_lshrrev_b32_e32 v5, 23, v16
	v_add3_u32 v5, v4, v2, v5
	v_add_u32_e32 v2, 6, v5
	v_and_b32_e32 v4, 0xfffff, v17
	v_add_u32_e32 v50, v4, v16
	v_cmp_ne_u32_e32 vcc, 0, v2
                                        ; implicit-def: $vgpr16_vgpr17
                                        ; implicit-def: $vgpr4
	s_and_saveexec_b64 s[18:19], vcc
	s_xor_b64 s[18:19], exec, s[18:19]
; %bb.4082:                             ;   in Loop: Header=BB4_4064 Depth=2
	v_cmp_lt_u64_e32 vcc, s[58:59], v[50:51]
	v_add_u32_e32 v4, 7, v5
	v_cndmask_b32_e32 v4, v2, v4, vcc
	v_cndmask_b32_e64 v2, 0, 1, vcc
	v_lshrrev_b64 v[16:17], v2, v[50:51]
; %bb.4083:                             ;   in Loop: Header=BB4_4064 Depth=2
	s_andn2_saveexec_b64 s[18:19], s[18:19]
; %bb.4084:                             ;   in Loop: Header=BB4_4064 Depth=2
	v_mov_b32_e32 v16, v50
	v_bfe_u32 v4, v50, 23, 1
	v_mov_b32_e32 v17, v51
; %bb.4085:                             ;   in Loop: Header=BB4_4064 Depth=2
	s_or_b64 exec, exec, s[18:19]
	v_lshrrev_b64 v[16:17], 20, v[16:17]
	v_cmp_gt_i32_e32 vcc, 16, v4
	v_cndmask_b32_e32 v17, 0, v17, vcc
	v_cndmask_b32_e32 v16, 7, v16, vcc
	v_cmp_ne_u64_e32 vcc, 0, v[16:17]
	v_cmp_ne_u32_e64 s[18:19], 0, v4
	s_or_b64 s[18:19], s[18:19], vcc
                                        ; implicit-def: $vgpr2
	s_and_saveexec_b64 s[90:91], s[18:19]
	s_xor_b64 s[18:19], exec, s[90:91]
; %bb.4086:                             ;   in Loop: Header=BB4_4064 Depth=2
	v_min_i32_e32 v2, 15, v4
	v_lshl_or_b32 v0, v2, 3, v0
	v_and_or_b32 v2, v16, 7, v0
                                        ; implicit-def: $vgpr0
; %bb.4087:                             ;   in Loop: Header=BB4_4064 Depth=2
	s_andn2_saveexec_b64 s[18:19], s[18:19]
; %bb.4088:                             ;   in Loop: Header=BB4_4064 Depth=2
	v_mov_b32_e32 v2, v0
; %bb.4089:                             ;   in Loop: Header=BB4_4064 Depth=2
	s_or_b64 exec, exec, s[18:19]
.LBB4_4090:                             ;   in Loop: Header=BB4_4064 Depth=2
	s_or_b64 exec, exec, s[88:89]
                                        ; implicit-def: $vgpr0
.LBB4_4091:                             ;   in Loop: Header=BB4_4064 Depth=2
	s_andn2_saveexec_b64 s[18:19], s[78:79]
; %bb.4092:                             ;   in Loop: Header=BB4_4064 Depth=2
	v_or_b32_e32 v2, 0x7e, v0
; %bb.4093:                             ;   in Loop: Header=BB4_4064 Depth=2
	s_or_b64 exec, exec, s[18:19]
                                        ; implicit-def: $vgpr4
.LBB4_4094:                             ;   in Loop: Header=BB4_4064 Depth=2
	s_andn2_saveexec_b64 s[18:19], s[76:77]
	s_cbranch_execz .LBB4_4063
; %bb.4095:                             ;   in Loop: Header=BB4_4064 Depth=2
	v_or_b32_sdwa v2, v4, s50 dst_sel:DWORD dst_unused:UNUSED_PAD src0_sel:BYTE_3 src1_sel:DWORD
	s_branch .LBB4_4063
.LBB4_4096:                             ;   in Loop: Header=BB4_2115 Depth=1
	s_or_b64 exec, exec, s[20:21]
	buffer_load_dword v0, off, s[0:3], s33 offset:140 ; 4-byte Folded Reload
	buffer_load_dword v15, off, s[0:3], s33 offset:172 ; 4-byte Folded Reload
	s_waitcnt vmcnt(0)
	v_cmp_ne_u32_e64 s[18:19], 0, v0
	s_and_saveexec_b64 s[20:21], s[10:11]
	s_cbranch_execz .LBB4_4115
.LBB4_4097:                             ;   in Loop: Header=BB4_2115 Depth=1
	s_and_saveexec_b64 s[74:75], s[40:41]
	s_xor_b64 s[74:75], exec, s[74:75]
	s_cbranch_execz .LBB4_4112
; %bb.4098:                             ;   in Loop: Header=BB4_2115 Depth=1
	s_and_saveexec_b64 s[76:77], s[12:13]
	s_cbranch_execz .LBB4_4111
; %bb.4099:                             ;   in Loop: Header=BB4_2115 Depth=1
	s_mov_b64 s[88:89], exec
	v_mbcnt_lo_u32_b32 v0, s88, 0
	v_mbcnt_hi_u32_b32 v0, s89, v0
	v_cmp_eq_u32_e32 vcc, 0, v0
	s_waitcnt vmcnt(0) lgkmcnt(0)
	buffer_wbinvl1_vol
	s_and_saveexec_b64 s[78:79], vcc
	s_cbranch_execz .LBB4_4101
; %bb.4100:                             ;   in Loop: Header=BB4_2115 Depth=1
	s_bcnt1_i32_b64 s88, s[88:89]
	v_mov_b32_e32 v50, s88
	ds_add_u64 v0, v[50:51]
	s_trap 2
.LBB4_4101:                             ;   in Loop: Header=BB4_2115 Depth=1
	s_or_b64 exec, exec, s[78:79]
	s_trap 2
	ds_read_b64 v[0:1], v0
	s_waitcnt lgkmcnt(0)
	buffer_load_dword v2, off, s[0:3], s33 offset:68 ; 4-byte Folded Reload
	s_waitcnt vmcnt(0)
	v_add_co_u32_e32 v36, vcc, v36, v2
	v_addc_co_u32_e32 v37, vcc, 0, v37, vcc
	v_cmp_lt_u64_e32 vcc, v[0:1], v[36:37]
	s_and_saveexec_b64 s[78:79], vcc
	s_cbranch_execz .LBB4_4110
; %bb.4102:                             ;   in Loop: Header=BB4_2115 Depth=1
	s_mov_b32 s34, 0
	s_mov_b64 s[88:89], 0
                                        ; implicit-def: $sgpr90_sgpr91
                                        ; implicit-def: $sgpr92_sgpr93
	s_branch .LBB4_4104
.LBB4_4103:                             ;   in Loop: Header=BB4_4104 Depth=2
	s_or_b64 exec, exec, s[30:31]
	s_and_b64 s[94:95], exec, vcc
	s_or_b64 s[88:89], s[94:95], s[88:89]
	s_andn2_b64 s[90:91], s[90:91], exec
	s_and_b64 s[94:95], s[92:93], exec
	s_or_b64 s[90:91], s[90:91], s[94:95]
	s_andn2_b64 exec, exec, s[88:89]
	s_cbranch_execz .LBB4_4108
.LBB4_4104:                             ;   Parent Loop BB4_2115 Depth=1
                                        ; =>  This Inner Loop Header: Depth=2
	s_add_i32 s34, s34, 1
	s_cmpk_lg_i32 s34, 0x2710
	s_cselect_b64 s[94:95], -1, 0
	s_and_b64 vcc, exec, s[94:95]
	s_cbranch_vccz .LBB4_4106
; %bb.4105:                             ;   in Loop: Header=BB4_4104 Depth=2
	s_mov_b64 vcc, -1
	s_or_b64 s[92:93], s[92:93], exec
	s_and_saveexec_b64 s[30:31], s[94:95]
	s_cbranch_execz .LBB4_4103
	s_branch .LBB4_4107
.LBB4_4106:                             ;   in Loop: Header=BB4_4104 Depth=2
	s_trap 2
	ds_read_b64 v[0:1], v0
	s_andn2_b64 s[94:95], s[94:95], exec
	s_mov_b32 s34, 0
	s_waitcnt lgkmcnt(0)
	flat_load_dword v0, v[0:1] glc
	s_waitcnt vmcnt(0) lgkmcnt(0)
	buffer_wbinvl1_vol
	v_cmp_eq_u32_e32 vcc, 0, v0
	s_and_b64 vcc, vcc, exec
	s_or_b64 s[94:95], s[94:95], vcc
	s_mov_b64 vcc, -1
	s_or_b64 s[92:93], s[92:93], exec
	s_and_saveexec_b64 s[30:31], s[94:95]
	s_cbranch_execz .LBB4_4103
.LBB4_4107:                             ;   in Loop: Header=BB4_4104 Depth=2
	s_sleep 1
	s_trap 2
	ds_read_b64 v[0:1], v0
	s_waitcnt lgkmcnt(0)
	s_andn2_b64 s[92:93], s[92:93], exec
	v_cmp_ge_u64_e32 vcc, v[0:1], v[36:37]
	s_orn2_b64 vcc, vcc, exec
	s_branch .LBB4_4103
.LBB4_4108:                             ;   in Loop: Header=BB4_2115 Depth=1
	s_or_b64 exec, exec, s[88:89]
	s_and_saveexec_b64 s[88:89], s[90:91]
	s_xor_b64 s[88:89], exec, s[88:89]
	s_cbranch_execz .LBB4_4110
; %bb.4109:                             ;   in Loop: Header=BB4_2115 Depth=1
	v_mov_b32_e32 v0, 1
	ds_write_b32 v0, v0
	s_trap 2
.LBB4_4110:                             ;   in Loop: Header=BB4_2115 Depth=1
	s_or_b64 exec, exec, s[78:79]
	;;#ASMSTART
	s_wakeup
	;;#ASMEND
.LBB4_4111:                             ;   in Loop: Header=BB4_2115 Depth=1
	s_or_b64 exec, exec, s[76:77]
.LBB4_4112:                             ;   in Loop: Header=BB4_2115 Depth=1
	s_andn2_saveexec_b64 s[74:75], s[74:75]
	s_cbranch_execz .LBB4_4114
; %bb.4113:                             ;   in Loop: Header=BB4_2115 Depth=1
	s_waitcnt vmcnt(0) lgkmcnt(0)
	buffer_wbinvl1_vol
	s_barrier
.LBB4_4114:                             ;   in Loop: Header=BB4_2115 Depth=1
	s_or_b64 exec, exec, s[74:75]
.LBB4_4115:                             ;   in Loop: Header=BB4_2115 Depth=1
	s_or_b64 exec, exec, s[20:21]
	v_and_b32_e32 v0, 16, v3
	v_cmp_ne_u32_e32 vcc, 0, v0
	s_and_b64 s[20:21], vcc, s[18:19]
	s_and_saveexec_b64 s[18:19], s[20:21]
	s_cbranch_execz .LBB4_4117
; %bb.4116:                             ;   in Loop: Header=BB4_2115 Depth=1
	s_waitcnt vmcnt(0) lgkmcnt(0)
	buffer_wbinvl1_vol
.LBB4_4117:                             ;   in Loop: Header=BB4_2115 Depth=1
	s_or_b64 exec, exec, s[18:19]
	v_and_b32_e32 v0, 32, v3
	v_cmp_ne_u32_e32 vcc, 0, v0
	s_and_saveexec_b64 s[18:19], vcc
	s_cbranch_execz .LBB4_4119
; %bb.4118:                             ;   in Loop: Header=BB4_2115 Depth=1
	v_add_co_u32_e32 v8, vcc, 1, v8
	v_addc_co_u32_e32 v9, vcc, 0, v9, vcc
	flat_store_dwordx2 v[32:33], v[8:9]
.LBB4_4119:                             ;   in Loop: Header=BB4_2115 Depth=1
	s_or_b64 exec, exec, s[18:19]
	v_mov_b32_e32 v0, v15
.LBB4_4120:                             ;   in Loop: Header=BB4_2115 Depth=1
	s_or_b64 exec, exec, s[72:73]
	s_and_saveexec_b64 s[20:21], s[62:63]
	s_cbranch_execz .LBB4_2114
; %bb.4121:                             ;   in Loop: Header=BB4_2115 Depth=1
	v_and_b32_e32 v1, 4, v3
	v_cmp_ne_u32_e32 vcc, 0, v1
	s_and_saveexec_b64 s[62:63], vcc
	s_cbranch_execz .LBB4_4143
; %bb.4122:                             ;   in Loop: Header=BB4_2115 Depth=1
	s_waitcnt lgkmcnt(0)
	v_add_co_u32_e32 v10, vcc, 1, v8
	v_addc_co_u32_e32 v11, vcc, 0, v9, vcc
	v_cmp_lt_u64_e32 vcc, v[38:39], v[10:11]
	s_and_saveexec_b64 s[72:73], vcc
	s_cbranch_execz .LBB4_4134
; %bb.4123:                             ;   in Loop: Header=BB4_2115 Depth=1
	v_and_b32_e32 v1, 64, v3
	s_mov_b32 s36, 0
	v_cmp_eq_u32_e32 vcc, 0, v1
	s_mov_b64 s[74:75], 0
                                        ; implicit-def: $sgpr76_sgpr77
                                        ; implicit-def: $sgpr78_sgpr79
                                        ; implicit-def: $sgpr88_sgpr89
	s_branch .LBB4_4127
.LBB4_4124:                             ;   in Loop: Header=BB4_4127 Depth=2
	s_waitcnt vmcnt(0) lgkmcnt(0)
	v_cmp_ge_u64_e64 s[18:19], v[38:39], v[10:11]
	s_or_b64 s[94:95], s[94:95], exec
	s_orn2_b64 s[92:93], s[18:19], exec
.LBB4_4125:                             ;   in Loop: Header=BB4_4127 Depth=2
	s_or_b64 exec, exec, s[34:35]
	s_andn2_b64 s[18:19], s[88:89], exec
	s_and_b64 s[88:89], s[94:95], exec
	s_or_b64 s[88:89], s[18:19], s[88:89]
	s_andn2_b64 s[18:19], s[78:79], exec
	s_and_b64 s[78:79], s[92:93], exec
	s_or_b64 s[78:79], s[18:19], s[78:79]
.LBB4_4126:                             ;   in Loop: Header=BB4_4127 Depth=2
	s_or_b64 exec, exec, s[90:91]
	s_and_b64 s[18:19], exec, s[78:79]
	s_or_b64 s[74:75], s[18:19], s[74:75]
	s_andn2_b64 s[18:19], s[76:77], exec
	s_and_b64 s[76:77], s[88:89], exec
	s_or_b64 s[76:77], s[18:19], s[76:77]
	s_andn2_b64 exec, exec, s[74:75]
	s_cbranch_execz .LBB4_4131
.LBB4_4127:                             ;   Parent Loop BB4_2115 Depth=1
                                        ; =>  This Inner Loop Header: Depth=2
	s_sleep 1
	s_waitcnt vmcnt(0) lgkmcnt(0)
	flat_load_dwordx2 v[38:39], v[32:33] glc
	s_or_b64 s[88:89], s[88:89], exec
	s_or_b64 s[78:79], s[78:79], exec
                                        ; implicit-def: $vgpr1
	s_and_saveexec_b64 s[90:91], vcc
	s_cbranch_execz .LBB4_4126
; %bb.4128:                             ;   in Loop: Header=BB4_4127 Depth=2
	s_cmpk_lt_i32 s36, 0x270f
	s_cselect_b64 s[30:31], -1, 0
	s_cmpk_gt_i32 s36, 0x270e
	s_mov_b64 s[92:93], -1
	s_cbranch_scc0 .LBB4_4130
; %bb.4129:                             ;   in Loop: Header=BB4_4127 Depth=2
	s_trap 2
	s_waitcnt vmcnt(0)
	ds_read_b64 v[1:2], v0
	s_andn2_b64 s[30:31], s[30:31], exec
	s_mov_b32 s36, 0
	s_mov_b64 s[94:95], 0
	s_waitcnt lgkmcnt(0)
	flat_load_dword v1, v[1:2] glc
	s_waitcnt vmcnt(0) lgkmcnt(0)
	buffer_wbinvl1_vol
	v_cmp_eq_u32_e64 s[18:19], 0, v1
	s_and_b64 s[18:19], s[18:19], exec
	s_or_b64 s[30:31], s[30:31], s[18:19]
	s_and_saveexec_b64 s[34:35], s[30:31]
	s_cbranch_execz .LBB4_4125
	s_branch .LBB4_4124
.LBB4_4130:                             ;   in Loop: Header=BB4_4127 Depth=2
	s_add_i32 s36, s36, 1
	s_mov_b64 s[94:95], -1
                                        ; implicit-def: $vgpr1
	s_and_saveexec_b64 s[34:35], s[30:31]
	s_cbranch_execz .LBB4_4125
	s_branch .LBB4_4124
.LBB4_4131:                             ;   in Loop: Header=BB4_2115 Depth=1
	s_or_b64 exec, exec, s[74:75]
	s_xor_b64 s[18:19], s[76:77], -1
	s_and_saveexec_b64 s[74:75], s[18:19]
	s_xor_b64 s[18:19], exec, s[74:75]
	s_cbranch_execz .LBB4_4133
; %bb.4132:                             ;   in Loop: Header=BB4_2115 Depth=1
	v_or_b32_e32 v3, 64, v3
	s_waitcnt lgkmcnt(0)
	ds_write_b32 v0, v1
	s_trap 2
.LBB4_4133:                             ;   in Loop: Header=BB4_2115 Depth=1
	s_or_b64 exec, exec, s[18:19]
.LBB4_4134:                             ;   in Loop: Header=BB4_2115 Depth=1
	s_or_b64 exec, exec, s[72:73]
	v_and_b32_e32 v1, 0x100, v3
	v_cmp_ne_u32_e32 vcc, 0, v1
	v_and_b32_e32 v1, 7, v8
	s_mov_b64 s[18:19], -1
	;;#ASMSTART
	s_wakeup
	;;#ASMEND
                                        ; implicit-def: $vgpr8_vgpr9
	s_and_saveexec_b64 s[72:73], vcc
	s_cbranch_execz .LBB4_4138
; %bb.4135:                             ;   in Loop: Header=BB4_2115 Depth=1
	v_mad_u64_u32 v[12:13], s[18:19], v1, 24, v[6:7]
                                        ; implicit-def: $vgpr8_vgpr9
	s_waitcnt vmcnt(0)
	flat_load_dword v2, v[12:13]
	s_waitcnt vmcnt(0) lgkmcnt(0)
	v_cmp_ne_u32_e32 vcc, 1, v2
	v_cmp_eq_u32_e64 s[18:19], 1, v2
	s_and_saveexec_b64 s[74:75], s[18:19]
	s_cbranch_execz .LBB4_4137
; %bb.4136:                             ;   in Loop: Header=BB4_2115 Depth=1
	flat_load_dword v8, v[12:13] offset:4 glc
	s_waitcnt vmcnt(0) lgkmcnt(0)
	v_ashrrev_i32_e32 v9, 31, v8
.LBB4_4137:                             ;   in Loop: Header=BB4_2115 Depth=1
	s_or_b64 exec, exec, s[74:75]
	s_orn2_b64 s[18:19], vcc, exec
.LBB4_4138:                             ;   in Loop: Header=BB4_2115 Depth=1
	s_or_b64 exec, exec, s[72:73]
	s_and_saveexec_b64 s[72:73], s[18:19]
	s_cbranch_execz .LBB4_4140
; %bb.4139:                             ;   in Loop: Header=BB4_2115 Depth=1
	buffer_load_dword v2, off, s[0:3], s33 offset:128 ; 4-byte Folded Reload
	s_waitcnt vmcnt(0)
	v_mad_i64_i32 v[8:9], s[18:19], v1, v2, 0
.LBB4_4140:                             ;   in Loop: Header=BB4_2115 Depth=1
	s_or_b64 exec, exec, s[72:73]
	buffer_load_dword v1, off, s[0:3], s33 offset:80 ; 4-byte Folded Reload
	buffer_load_dword v2, off, s[0:3], s33 offset:84 ; 4-byte Folded Reload
	s_waitcnt vmcnt(0)
	v_add_co_u32_e32 v1, vcc, v1, v8
	v_addc_co_u32_e32 v2, vcc, v2, v9, vcc
	ds_write_b64 v0, v[1:2] offset:728
	v_and_b32_e32 v1, 0x2000, v3
	v_cmp_ne_u32_e32 vcc, 0, v1
	s_and_saveexec_b64 s[18:19], vcc
	s_cbranch_execz .LBB4_4142
; %bb.4141:                             ;   in Loop: Header=BB4_2115 Depth=1
	ds_read_b64 v[1:2], v0 offset:872
	s_waitcnt lgkmcnt(0)
	v_add_co_u32_e32 v1, vcc, 1, v1
	v_addc_co_u32_e32 v2, vcc, 0, v2, vcc
	ds_write_b64 v0, v[1:2] offset:872
.LBB4_4142:                             ;   in Loop: Header=BB4_2115 Depth=1
	s_or_b64 exec, exec, s[18:19]
	v_mov_b32_e32 v8, v10
	v_mov_b32_e32 v9, v11
.LBB4_4143:                             ;   in Loop: Header=BB4_2115 Depth=1
	s_or_b64 exec, exec, s[62:63]
	s_and_saveexec_b64 s[18:19], s[10:11]
	s_cbranch_execz .LBB4_4162
; %bb.4144:                             ;   in Loop: Header=BB4_2115 Depth=1
	s_and_saveexec_b64 s[62:63], s[40:41]
	s_xor_b64 s[62:63], exec, s[62:63]
	s_cbranch_execz .LBB4_4159
; %bb.4145:                             ;   in Loop: Header=BB4_2115 Depth=1
	s_and_saveexec_b64 s[72:73], s[12:13]
	s_cbranch_execz .LBB4_4158
; %bb.4146:                             ;   in Loop: Header=BB4_2115 Depth=1
	s_mov_b64 s[76:77], exec
	v_mbcnt_lo_u32_b32 v1, s76, 0
	v_mbcnt_hi_u32_b32 v1, s77, v1
	v_cmp_eq_u32_e32 vcc, 0, v1
	s_waitcnt vmcnt(0) lgkmcnt(0)
	buffer_wbinvl1_vol
	s_and_saveexec_b64 s[74:75], vcc
	s_cbranch_execz .LBB4_4148
; %bb.4147:                             ;   in Loop: Header=BB4_2115 Depth=1
	s_bcnt1_i32_b64 s76, s[76:77]
	v_mov_b32_e32 v50, s76
	ds_add_u64 v0, v[50:51]
	s_trap 2
.LBB4_4148:                             ;   in Loop: Header=BB4_2115 Depth=1
	s_or_b64 exec, exec, s[74:75]
	s_trap 2
	ds_read_b64 v[1:2], v0
	s_waitcnt lgkmcnt(0)
	buffer_load_dword v4, off, s[0:3], s33 offset:68 ; 4-byte Folded Reload
	s_waitcnt vmcnt(0)
	v_add_co_u32_e32 v36, vcc, v36, v4
	v_addc_co_u32_e32 v37, vcc, 0, v37, vcc
	v_cmp_lt_u64_e32 vcc, v[1:2], v[36:37]
	s_and_saveexec_b64 s[74:75], vcc
	s_cbranch_execz .LBB4_4157
; %bb.4149:                             ;   in Loop: Header=BB4_2115 Depth=1
	s_mov_b32 s30, 0
	s_mov_b64 s[76:77], 0
                                        ; implicit-def: $sgpr78_sgpr79
                                        ; implicit-def: $sgpr88_sgpr89
	s_branch .LBB4_4151
.LBB4_4150:                             ;   in Loop: Header=BB4_4151 Depth=2
	s_or_b64 exec, exec, s[92:93]
	s_and_b64 s[90:91], exec, s[94:95]
	s_or_b64 s[76:77], s[90:91], s[76:77]
	s_andn2_b64 s[78:79], s[78:79], exec
	s_and_b64 s[90:91], s[88:89], exec
	s_or_b64 s[78:79], s[78:79], s[90:91]
	s_andn2_b64 exec, exec, s[76:77]
	s_cbranch_execz .LBB4_4155
.LBB4_4151:                             ;   Parent Loop BB4_2115 Depth=1
                                        ; =>  This Inner Loop Header: Depth=2
	s_add_i32 s30, s30, 1
	s_cmpk_lg_i32 s30, 0x2710
	s_cselect_b64 s[90:91], -1, 0
	s_and_b64 vcc, exec, s[90:91]
	s_cbranch_vccz .LBB4_4153
; %bb.4152:                             ;   in Loop: Header=BB4_4151 Depth=2
	s_mov_b64 s[94:95], -1
	s_or_b64 s[88:89], s[88:89], exec
	s_and_saveexec_b64 s[92:93], s[90:91]
	s_cbranch_execz .LBB4_4150
	s_branch .LBB4_4154
.LBB4_4153:                             ;   in Loop: Header=BB4_4151 Depth=2
	s_trap 2
	ds_read_b64 v[1:2], v0
	s_andn2_b64 s[90:91], s[90:91], exec
	s_mov_b32 s30, 0
	s_waitcnt lgkmcnt(0)
	flat_load_dword v1, v[1:2] glc
	s_waitcnt vmcnt(0) lgkmcnt(0)
	buffer_wbinvl1_vol
	v_cmp_eq_u32_e32 vcc, 0, v1
	s_and_b64 s[92:93], vcc, exec
	s_or_b64 s[90:91], s[90:91], s[92:93]
	s_mov_b64 s[94:95], -1
	s_or_b64 s[88:89], s[88:89], exec
	s_and_saveexec_b64 s[92:93], s[90:91]
	s_cbranch_execz .LBB4_4150
.LBB4_4154:                             ;   in Loop: Header=BB4_4151 Depth=2
	s_sleep 1
	s_trap 2
	ds_read_b64 v[1:2], v0
	s_waitcnt lgkmcnt(0)
	s_andn2_b64 s[88:89], s[88:89], exec
	v_cmp_ge_u64_e32 vcc, v[1:2], v[36:37]
	s_orn2_b64 s[94:95], vcc, exec
	s_branch .LBB4_4150
.LBB4_4155:                             ;   in Loop: Header=BB4_2115 Depth=1
	s_or_b64 exec, exec, s[76:77]
	s_and_saveexec_b64 s[76:77], s[78:79]
	s_xor_b64 s[76:77], exec, s[76:77]
	s_cbranch_execz .LBB4_4157
; %bb.4156:                             ;   in Loop: Header=BB4_2115 Depth=1
	v_mov_b32_e32 v1, 1
	ds_write_b32 v0, v1
	s_trap 2
.LBB4_4157:                             ;   in Loop: Header=BB4_2115 Depth=1
	s_or_b64 exec, exec, s[74:75]
	;;#ASMSTART
	s_wakeup
	;;#ASMEND
.LBB4_4158:                             ;   in Loop: Header=BB4_2115 Depth=1
	s_or_b64 exec, exec, s[72:73]
.LBB4_4159:                             ;   in Loop: Header=BB4_2115 Depth=1
	s_andn2_saveexec_b64 s[62:63], s[62:63]
	s_cbranch_execz .LBB4_4161
; %bb.4160:                             ;   in Loop: Header=BB4_2115 Depth=1
	s_waitcnt vmcnt(0) lgkmcnt(0)
	buffer_wbinvl1_vol
	s_barrier
.LBB4_4161:                             ;   in Loop: Header=BB4_2115 Depth=1
	s_or_b64 exec, exec, s[62:63]
.LBB4_4162:                             ;   in Loop: Header=BB4_2115 Depth=1
	s_or_b64 exec, exec, s[18:19]
	s_trap 2
	ds_read_b32 v1, v0
	buffer_load_dword v4, off, s[0:3], s33 offset:112 ; 4-byte Folded Reload
	buffer_load_dword v5, off, s[0:3], s33 offset:116 ; 4-byte Folded Reload
	s_waitcnt lgkmcnt(0)
	v_readfirstlane_b32 s18, v1
	s_cmp_eq_u32 s18, 0
	s_cselect_b64 s[18:19], -1, 0
	s_waitcnt vmcnt(0)
	v_sub_u32_e32 v0, v4, v0
	v_min_i32_e32 v0, v15, v0
	v_cmp_lt_i32_e32 vcc, 0, v0
	v_and_b32_e32 v0, 16, v3
	s_and_b64 s[18:19], vcc, s[18:19]
	v_cmp_ne_u32_e32 vcc, 0, v0
	s_and_b64 s[62:63], vcc, s[18:19]
	s_and_saveexec_b64 s[18:19], s[62:63]
	s_cbranch_execz .LBB4_4164
; %bb.4163:                             ;   in Loop: Header=BB4_2115 Depth=1
	buffer_wbinvl1_vol
.LBB4_4164:                             ;   in Loop: Header=BB4_2115 Depth=1
	s_or_b64 exec, exec, s[18:19]
	v_and_b32_e32 v0, 32, v3
	v_cmp_ne_u32_e32 vcc, 0, v0
	s_and_saveexec_b64 s[18:19], vcc
	s_cbranch_execz .LBB4_2113
; %bb.4165:                             ;   in Loop: Header=BB4_2115 Depth=1
	v_add_co_u32_e32 v8, vcc, 1, v8
	v_addc_co_u32_e32 v9, vcc, 0, v9, vcc
	flat_store_dwordx2 v[32:33], v[8:9]
	s_branch .LBB4_2113
.LBB4_4166:
	s_or_b64 exec, exec, s[42:43]
	buffer_load_dword v34, off, s[0:3], s33 offset:196 ; 4-byte Folded Reload
	buffer_load_dword v31, off, s[0:3], s33 offset:200 ; 4-byte Folded Reload
.LBB4_4167:
	s_or_b64 exec, exec, s[28:29]
.LBB4_4168:
	s_or_b64 exec, exec, s[22:23]
                                        ; implicit-def: $vgpr0_vgpr1
                                        ; kill: killed $vgpr0_vgpr1
                                        ; implicit-def: $vgpr53_vgpr54
                                        ; implicit-def: $vgpr49_vgpr50
                                        ; implicit-def: $vgpr38_vgpr39
                                        ; implicit-def: $vgpr32_vgpr33
                                        ; implicit-def: $vgpr48
                                        ; implicit-def: $vgpr4
                                        ; implicit-def: $vgpr0
                                        ; kill: killed $vgpr0
                                        ; implicit-def: $vgpr0_vgpr1
                                        ; kill: killed $vgpr0_vgpr1
                                        ; implicit-def: $vgpr0
	buffer_store_dword v0, off, s[0:3], s33 offset:60 ; 4-byte Folded Spill
	s_nop 0
	buffer_store_dword v1, off, s[0:3], s33 offset:64 ; 4-byte Folded Spill
.LBB4_4169:
	s_andn2_saveexec_b64 s[22:23], s[26:27]
	s_cbranch_execz .LBB4_4343
; %bb.4170:
	v_mov_b32_e32 v36, 0
	v_cmp_ne_u64_e32 vcc, 0, v[49:50]
	v_mov_b32_e32 v37, 0
	s_and_saveexec_b64 s[26:27], vcc
	s_cbranch_execz .LBB4_4342
; %bb.4171:
	v_ashrrev_i32_e32 v1, 31, v48
	v_lshrrev_b32_e32 v1, 26, v1
	v_add_u32_e32 v2, v48, v1
	v_and_b32_e32 v1, 0xffffffc0, v2
	v_sub_u32_e32 v1, v48, v1
	v_ashrrev_i32_e32 v2, 6, v2
	s_trap 2
	buffer_load_dword v0, off, s[0:3], s33 offset:160 ; 4-byte Folded Reload
	v_cmp_lt_i32_e64 s[16:17], v1, v4
	v_lshlrev_b32_e32 v4, 12, v2
	v_lshl_add_u32 v23, v1, 4, v4
	buffer_load_dword v4, off, s[0:3], s33 offset:120 ; 4-byte Folded Reload
	buffer_load_dword v5, off, s[0:3], s33 offset:124 ; 4-byte Folded Reload
	;; [unrolled: 1-line block ×4, first 2 shown]
	s_ashr_i32 s6, s48, 31
	s_lshr_b32 s6, s6, 24
	s_add_i32 s48, s48, s6
	s_waitcnt vmcnt(0)
	v_cmp_eq_u32_e32 vcc, 64, v34
	v_mov_b32_e32 v12, 0
	v_mov_b32_e32 v36, 0
	;; [unrolled: 1-line block ×4, first 2 shown]
	s_ashr_i32 s94, s48, 8
	v_cmp_ge_i32_e64 s[6:7], v48, v34
	v_cmp_ne_u32_e64 s[10:11], 64, v34
	v_mov_b32_e32 v11, 0
	v_cmp_gt_i32_e64 s[14:15], 1, v1
	v_ashrrev_i32_e32 v24, 31, v23
	v_and_b32_e32 v27, 0x3fc0, v34
	s_mov_b64 s[40:41], 0
	v_mov_b32_e32 v13, 0
	v_mov_b32_e32 v37, 0
	;; [unrolled: 1-line block ×3, first 2 shown]
	s_xor_b64 s[42:43], vcc, -1
	s_mov_b32 s95, 0x3ffffc00
	v_mov_b32_e32 v57, v48
	v_mov_b32_e32 v58, v49
	;; [unrolled: 1-line block ×3, first 2 shown]
	v_cmp_ne_u32_sdwa s[28:29], v34, v0 src0_sel:DWORD src1_sel:WORD_0
	v_and_b32_e32 v0, 63, v31
	v_cmp_eq_u32_e64 s[12:13], 0, v0
	v_lshrrev_b32_e32 v0, 6, v34
	v_cmp_ne_u64_e64 s[18:19], 0, v[4:5]
	v_lshlrev_b32_e32 v25, 12, v0
	v_lshlrev_b32_e32 v26, 10, v0
	s_branch .LBB4_4175
.LBB4_4172:                             ;   in Loop: Header=BB4_4175 Depth=1
	s_or_b64 exec, exec, s[44:45]
	v_add_co_u32_e32 v8, vcc, 1, v8
	v_addc_co_u32_e32 v9, vcc, 0, v9, vcc
	flat_store_dwordx2 v[32:33], v[8:9]
.LBB4_4173:                             ;   in Loop: Header=BB4_4175 Depth=1
	s_or_b64 exec, exec, s[20:21]
.LBB4_4174:                             ;   in Loop: Header=BB4_4175 Depth=1
	s_or_b64 exec, exec, s[46:47]
	buffer_load_dword v14, off, s[0:3], s33 offset:60 ; 4-byte Folded Reload
	buffer_load_dword v15, off, s[0:3], s33 offset:64 ; 4-byte Folded Reload
	s_waitcnt vmcnt(0)
	v_add_co_u32_e32 v12, vcc, v12, v14
	v_addc_co_u32_e32 v13, vcc, 0, v13, vcc
	v_cmp_ge_u64_e32 vcc, v[12:13], v[49:50]
	s_or_b64 s[40:41], vcc, s[40:41]
	s_andn2_b64 exec, exec, s[40:41]
	s_cbranch_execz .LBB4_4341
.LBB4_4175:                             ; =>This Loop Header: Depth=1
                                        ;     Child Loop BB4_4184 Depth 2
                                        ;     Child Loop BB4_4208 Depth 2
	;; [unrolled: 1-line block ×10, first 2 shown]
	v_sub_co_u32_e32 v4, vcc, v49, v12
	v_subb_co_u32_e32 v5, vcc, v50, v13, vcc
	v_cmp_lt_u64_e32 vcc, v[14:15], v[4:5]
	v_cndmask_b32_e64 v15, v5, 0, vcc
	v_cndmask_b32_e32 v14, v4, v14, vcc
	v_cmp_eq_u64_e32 vcc, 0, v[14:15]
	v_add_u32_e32 v4, 15, v14
	v_and_b32_e32 v4, 0x7ffffff0, v4
	s_or_b64 s[44:45], s[6:7], vcc
	v_max_i32_e32 v10, s94, v4
	s_xor_b64 s[20:21], s[44:45], -1
	v_mov_b32_e32 v4, 0
	s_and_saveexec_b64 s[46:47], s[20:21]
	s_cbranch_execz .LBB4_4294
; %bb.4176:                             ;   in Loop: Header=BB4_4175 Depth=1
	s_and_saveexec_b64 s[20:21], s[4:5]
	s_cbranch_execz .LBB4_4178
; %bb.4177:                             ;   in Loop: Header=BB4_4175 Depth=1
	s_trap 2
	ds_read_b64 v[4:5], v0
	s_waitcnt lgkmcnt(0)
	v_add_co_u32_e32 v4, vcc, v4, v53
	v_addc_co_u32_e32 v5, vcc, v5, v54, vcc
	v_add_co_u32_e32 v4, vcc, v4, v12
	v_addc_co_u32_e32 v5, vcc, v5, v13, vcc
	ds_write_b64 v0, v[4:5]
	v_mov_b32_e32 v4, v11
	v_mov_b32_e32 v5, v11
	ds_write_b64 v0, v[4:5]
.LBB4_4178:                             ;   in Loop: Header=BB4_4175 Depth=1
	s_or_b64 exec, exec, s[20:21]
	v_and_b32_e32 v4, 8, v3
	v_min_u32_e32 v10, v10, v14
	v_cmp_ne_u32_e32 vcc, 0, v4
	s_and_saveexec_b64 s[56:57], vcc
	s_cbranch_execz .LBB4_4200
; %bb.4179:                             ;   in Loop: Header=BB4_4175 Depth=1
	v_add_co_u32_e32 v4, vcc, 8, v38
	v_addc_co_u32_e32 v5, vcc, 0, v39, vcc
	s_waitcnt lgkmcnt(0)
	v_add_co_u32_e32 v15, vcc, 1, v8
	v_addc_co_u32_e32 v16, vcc, 0, v9, vcc
	v_cmp_lt_u64_e32 vcc, v[4:5], v[15:16]
	s_and_saveexec_b64 s[58:59], vcc
	s_cbranch_execz .LBB4_4191
; %bb.4180:                             ;   in Loop: Header=BB4_4175 Depth=1
	v_and_b32_e32 v4, 64, v3
	s_mov_b32 s30, 0
	v_cmp_eq_u32_e32 vcc, 0, v4
	s_mov_b64 s[60:61], 0
                                        ; implicit-def: $sgpr62_sgpr63
                                        ; implicit-def: $sgpr72_sgpr73
                                        ; implicit-def: $sgpr74_sgpr75
	s_branch .LBB4_4184
.LBB4_4181:                             ;   in Loop: Header=BB4_4184 Depth=2
	s_waitcnt vmcnt(0) lgkmcnt(0)
	v_add_co_u32_e64 v17, s[20:21], 8, v38
	v_addc_co_u32_e64 v18, s[20:21], 0, v39, s[20:21]
	v_cmp_ge_u64_e64 s[20:21], v[17:18], v[15:16]
	s_or_b64 s[88:89], s[88:89], exec
	s_orn2_b64 s[78:79], s[20:21], exec
.LBB4_4182:                             ;   in Loop: Header=BB4_4184 Depth=2
	s_or_b64 exec, exec, s[92:93]
	s_andn2_b64 s[20:21], s[74:75], exec
	s_and_b64 s[74:75], s[88:89], exec
	s_or_b64 s[74:75], s[20:21], s[74:75]
	s_andn2_b64 s[20:21], s[72:73], exec
	s_and_b64 s[72:73], s[78:79], exec
	s_or_b64 s[72:73], s[20:21], s[72:73]
.LBB4_4183:                             ;   in Loop: Header=BB4_4184 Depth=2
	s_or_b64 exec, exec, s[76:77]
	s_and_b64 s[20:21], exec, s[72:73]
	s_or_b64 s[60:61], s[20:21], s[60:61]
	s_andn2_b64 s[20:21], s[62:63], exec
	s_and_b64 s[62:63], s[74:75], exec
	s_or_b64 s[62:63], s[20:21], s[62:63]
	s_andn2_b64 exec, exec, s[60:61]
	s_cbranch_execz .LBB4_4188
.LBB4_4184:                             ;   Parent Loop BB4_4175 Depth=1
                                        ; =>  This Inner Loop Header: Depth=2
	s_sleep 1
	s_waitcnt vmcnt(0) lgkmcnt(0)
	flat_load_dwordx2 v[38:39], v[32:33] glc
	s_or_b64 s[74:75], s[74:75], exec
	s_or_b64 s[72:73], s[72:73], exec
                                        ; implicit-def: $vgpr4
	s_and_saveexec_b64 s[76:77], vcc
	s_cbranch_execz .LBB4_4183
; %bb.4185:                             ;   in Loop: Header=BB4_4184 Depth=2
	s_cmpk_lt_i32 s30, 0x270f
	s_cselect_b64 s[90:91], -1, 0
	s_cmpk_gt_i32 s30, 0x270e
	s_mov_b64 s[78:79], -1
	s_cbranch_scc0 .LBB4_4187
; %bb.4186:                             ;   in Loop: Header=BB4_4184 Depth=2
	s_trap 2
	ds_read_b64 v[4:5], v0
	s_andn2_b64 s[90:91], s[90:91], exec
	s_mov_b32 s30, 0
	s_mov_b64 s[88:89], 0
	s_waitcnt vmcnt(0) lgkmcnt(0)
	flat_load_dword v4, v[4:5] glc
	s_waitcnt vmcnt(0) lgkmcnt(0)
	buffer_wbinvl1_vol
	v_cmp_eq_u32_e64 s[20:21], 0, v4
	s_and_b64 s[20:21], s[20:21], exec
	s_or_b64 s[90:91], s[90:91], s[20:21]
	s_and_saveexec_b64 s[92:93], s[90:91]
	s_cbranch_execz .LBB4_4182
	s_branch .LBB4_4181
.LBB4_4187:                             ;   in Loop: Header=BB4_4184 Depth=2
	s_add_i32 s30, s30, 1
	s_mov_b64 s[88:89], -1
                                        ; implicit-def: $vgpr4
	s_and_saveexec_b64 s[92:93], s[90:91]
	s_cbranch_execz .LBB4_4182
	s_branch .LBB4_4181
.LBB4_4188:                             ;   in Loop: Header=BB4_4175 Depth=1
	s_or_b64 exec, exec, s[60:61]
	s_xor_b64 s[20:21], s[62:63], -1
	s_and_saveexec_b64 s[60:61], s[20:21]
	s_xor_b64 s[20:21], exec, s[60:61]
	s_cbranch_execz .LBB4_4190
; %bb.4189:                             ;   in Loop: Header=BB4_4175 Depth=1
	v_or_b32_e32 v3, 64, v3
	s_waitcnt lgkmcnt(0)
	ds_write_b32 v0, v4
	s_trap 2
.LBB4_4190:                             ;   in Loop: Header=BB4_4175 Depth=1
	s_or_b64 exec, exec, s[20:21]
.LBB4_4191:                             ;   in Loop: Header=BB4_4175 Depth=1
	s_or_b64 exec, exec, s[58:59]
	v_and_b32_e32 v4, 0x100, v3
	v_cmp_ne_u32_e32 vcc, 0, v4
	v_and_b32_e32 v4, 7, v8
	s_mov_b64 s[20:21], -1
	;;#ASMSTART
	s_wakeup
	;;#ASMEND
                                        ; implicit-def: $vgpr8_vgpr9
	s_and_saveexec_b64 s[58:59], vcc
	s_cbranch_execz .LBB4_4195
; %bb.4192:                             ;   in Loop: Header=BB4_4175 Depth=1
	v_mad_u64_u32 v[17:18], s[20:21], v4, 24, v[6:7]
                                        ; implicit-def: $vgpr8_vgpr9
	flat_load_dword v5, v[17:18]
	s_nop 0
	flat_store_dwordx2 v[17:18], v[10:11] offset:8
	s_waitcnt vmcnt(0) lgkmcnt(0)
	v_cmp_ne_u32_e32 vcc, 1, v5
	v_cmp_eq_u32_e64 s[20:21], 1, v5
	s_and_saveexec_b64 s[60:61], s[20:21]
	s_cbranch_execz .LBB4_4194
; %bb.4193:                             ;   in Loop: Header=BB4_4175 Depth=1
	flat_load_dword v8, v[17:18] offset:4 glc
	s_waitcnt vmcnt(0) lgkmcnt(0)
	v_ashrrev_i32_e32 v9, 31, v8
.LBB4_4194:                             ;   in Loop: Header=BB4_4175 Depth=1
	s_or_b64 exec, exec, s[60:61]
	s_orn2_b64 s[20:21], vcc, exec
.LBB4_4195:                             ;   in Loop: Header=BB4_4175 Depth=1
	s_or_b64 exec, exec, s[58:59]
	s_and_saveexec_b64 s[58:59], s[20:21]
	s_cbranch_execz .LBB4_4197
; %bb.4196:                             ;   in Loop: Header=BB4_4175 Depth=1
	buffer_load_dword v5, off, s[0:3], s33 offset:128 ; 4-byte Folded Reload
	s_waitcnt vmcnt(0)
	v_mad_i64_i32 v[8:9], s[20:21], v4, v5, 0
.LBB4_4197:                             ;   in Loop: Header=BB4_4175 Depth=1
	s_or_b64 exec, exec, s[58:59]
	buffer_load_dword v4, off, s[0:3], s33 offset:80 ; 4-byte Folded Reload
	buffer_load_dword v5, off, s[0:3], s33 offset:84 ; 4-byte Folded Reload
	s_waitcnt vmcnt(0)
	v_add_co_u32_e32 v4, vcc, v4, v8
	v_addc_co_u32_e32 v5, vcc, v5, v9, vcc
	ds_write_b64 v0, v[4:5] offset:784
	v_and_b32_e32 v4, 0x2000, v3
	v_cmp_ne_u32_e32 vcc, 0, v4
	s_and_saveexec_b64 s[20:21], vcc
	s_cbranch_execz .LBB4_4199
; %bb.4198:                             ;   in Loop: Header=BB4_4175 Depth=1
	ds_read_b64 v[4:5], v0 offset:872
	s_waitcnt lgkmcnt(0)
	v_add_co_u32_e32 v4, vcc, 1, v4
	v_addc_co_u32_e32 v5, vcc, 0, v5, vcc
	ds_write_b64 v0, v[4:5] offset:872
.LBB4_4199:                             ;   in Loop: Header=BB4_4175 Depth=1
	s_or_b64 exec, exec, s[20:21]
	v_mov_b32_e32 v8, v15
	v_mov_b32_e32 v9, v16
.LBB4_4200:                             ;   in Loop: Header=BB4_4175 Depth=1
	s_or_b64 exec, exec, s[56:57]
	s_and_saveexec_b64 s[20:21], s[10:11]
	s_cbranch_execz .LBB4_4219
; %bb.4201:                             ;   in Loop: Header=BB4_4175 Depth=1
	s_and_saveexec_b64 s[56:57], s[28:29]
	s_xor_b64 s[56:57], exec, s[56:57]
	s_cbranch_execz .LBB4_4216
; %bb.4202:                             ;   in Loop: Header=BB4_4175 Depth=1
	s_and_saveexec_b64 s[58:59], s[12:13]
	s_cbranch_execz .LBB4_4215
; %bb.4203:                             ;   in Loop: Header=BB4_4175 Depth=1
	s_mov_b64 s[62:63], exec
	v_mbcnt_lo_u32_b32 v4, s62, 0
	v_mbcnt_hi_u32_b32 v4, s63, v4
	v_cmp_eq_u32_e32 vcc, 0, v4
	s_waitcnt lgkmcnt(0)
	buffer_wbinvl1_vol
	s_and_saveexec_b64 s[60:61], vcc
	s_cbranch_execz .LBB4_4205
; %bb.4204:                             ;   in Loop: Header=BB4_4175 Depth=1
	s_bcnt1_i32_b64 s62, s[62:63]
	v_mov_b32_e32 v4, s62
	v_mov_b32_e32 v5, v11
	ds_add_u64 v0, v[4:5]
	s_trap 2
.LBB4_4205:                             ;   in Loop: Header=BB4_4175 Depth=1
	s_or_b64 exec, exec, s[60:61]
	s_trap 2
	ds_read_b64 v[4:5], v0
	s_waitcnt lgkmcnt(0)
	v_add_co_u32_e32 v36, vcc, v36, v0
	v_addc_co_u32_e32 v37, vcc, 0, v37, vcc
	v_cmp_lt_u64_e32 vcc, v[4:5], v[36:37]
	s_and_saveexec_b64 s[60:61], vcc
	s_cbranch_execz .LBB4_4214
; %bb.4206:                             ;   in Loop: Header=BB4_4175 Depth=1
	s_mov_b32 s90, 0
	s_mov_b64 s[62:63], 0
                                        ; implicit-def: $sgpr72_sgpr73
                                        ; implicit-def: $sgpr74_sgpr75
	s_branch .LBB4_4208
.LBB4_4207:                             ;   in Loop: Header=BB4_4208 Depth=2
	s_or_b64 exec, exec, s[78:79]
	s_and_b64 s[76:77], exec, s[88:89]
	s_or_b64 s[62:63], s[76:77], s[62:63]
	s_andn2_b64 s[72:73], s[72:73], exec
	s_and_b64 s[76:77], s[74:75], exec
	s_or_b64 s[72:73], s[72:73], s[76:77]
	s_andn2_b64 exec, exec, s[62:63]
	s_cbranch_execz .LBB4_4212
.LBB4_4208:                             ;   Parent Loop BB4_4175 Depth=1
                                        ; =>  This Inner Loop Header: Depth=2
	s_add_i32 s90, s90, 1
	s_cmpk_lg_i32 s90, 0x2710
	s_cselect_b64 s[76:77], -1, 0
	s_and_b64 vcc, exec, s[76:77]
	s_cbranch_vccz .LBB4_4210
; %bb.4209:                             ;   in Loop: Header=BB4_4208 Depth=2
	s_mov_b64 s[88:89], -1
	s_or_b64 s[74:75], s[74:75], exec
	s_and_saveexec_b64 s[78:79], s[76:77]
	s_cbranch_execz .LBB4_4207
	s_branch .LBB4_4211
.LBB4_4210:                             ;   in Loop: Header=BB4_4208 Depth=2
	s_trap 2
	ds_read_b64 v[4:5], v0
	s_andn2_b64 s[76:77], s[76:77], exec
	s_mov_b32 s90, 0
	s_waitcnt lgkmcnt(0)
	flat_load_dword v4, v[4:5] glc
	s_waitcnt vmcnt(0) lgkmcnt(0)
	buffer_wbinvl1_vol
	v_cmp_eq_u32_e32 vcc, 0, v4
	s_and_b64 s[78:79], vcc, exec
	s_or_b64 s[76:77], s[76:77], s[78:79]
	s_mov_b64 s[88:89], -1
	s_or_b64 s[74:75], s[74:75], exec
	s_and_saveexec_b64 s[78:79], s[76:77]
	s_cbranch_execz .LBB4_4207
.LBB4_4211:                             ;   in Loop: Header=BB4_4208 Depth=2
	s_sleep 1
	s_trap 2
	ds_read_b64 v[4:5], v0
	s_waitcnt lgkmcnt(0)
	s_andn2_b64 s[74:75], s[74:75], exec
	v_cmp_ge_u64_e32 vcc, v[4:5], v[36:37]
	s_orn2_b64 s[88:89], vcc, exec
	s_branch .LBB4_4207
.LBB4_4212:                             ;   in Loop: Header=BB4_4175 Depth=1
	s_or_b64 exec, exec, s[62:63]
	s_and_saveexec_b64 s[62:63], s[72:73]
	s_xor_b64 s[62:63], exec, s[62:63]
	s_cbranch_execz .LBB4_4214
; %bb.4213:                             ;   in Loop: Header=BB4_4175 Depth=1
	ds_write_b32 v0, v28
	s_trap 2
.LBB4_4214:                             ;   in Loop: Header=BB4_4175 Depth=1
	s_or_b64 exec, exec, s[60:61]
	;;#ASMSTART
	s_wakeup
	;;#ASMEND
.LBB4_4215:                             ;   in Loop: Header=BB4_4175 Depth=1
	s_or_b64 exec, exec, s[58:59]
.LBB4_4216:                             ;   in Loop: Header=BB4_4175 Depth=1
	s_andn2_saveexec_b64 s[56:57], s[56:57]
	s_cbranch_execz .LBB4_4218
; %bb.4217:                             ;   in Loop: Header=BB4_4175 Depth=1
	s_waitcnt lgkmcnt(0)
	buffer_wbinvl1_vol
	s_barrier
.LBB4_4218:                             ;   in Loop: Header=BB4_4175 Depth=1
	s_or_b64 exec, exec, s[56:57]
.LBB4_4219:                             ;   in Loop: Header=BB4_4175 Depth=1
	s_or_b64 exec, exec, s[20:21]
	s_trap 2
	ds_read_b32 v4, v0
	v_and_b32_e32 v5, 0x4000, v3
	v_cmp_ne_u32_e32 vcc, 0, v5
	s_and_b64 s[56:57], s[42:43], vcc
	s_and_saveexec_b64 s[20:21], s[56:57]
	s_cbranch_execz .LBB4_4238
; %bb.4220:                             ;   in Loop: Header=BB4_4175 Depth=1
	s_and_saveexec_b64 s[56:57], s[28:29]
	s_xor_b64 s[56:57], exec, s[56:57]
	s_cbranch_execz .LBB4_4235
; %bb.4221:                             ;   in Loop: Header=BB4_4175 Depth=1
	s_and_saveexec_b64 s[58:59], s[12:13]
	s_cbranch_execz .LBB4_4234
; %bb.4222:                             ;   in Loop: Header=BB4_4175 Depth=1
	s_mov_b64 s[62:63], exec
	v_mbcnt_lo_u32_b32 v5, s62, 0
	v_mbcnt_hi_u32_b32 v5, s63, v5
	v_cmp_eq_u32_e32 vcc, 0, v5
	s_waitcnt lgkmcnt(0)
	buffer_wbinvl1_vol
	s_and_saveexec_b64 s[60:61], vcc
	s_cbranch_execz .LBB4_4224
; %bb.4223:                             ;   in Loop: Header=BB4_4175 Depth=1
	s_bcnt1_i32_b64 s62, s[62:63]
	v_mov_b32_e32 v15, s62
	v_mov_b32_e32 v16, v11
	ds_add_u64 v0, v[15:16]
	s_trap 2
.LBB4_4224:                             ;   in Loop: Header=BB4_4175 Depth=1
	s_or_b64 exec, exec, s[60:61]
	s_trap 2
	ds_read_b64 v[15:16], v0
	s_waitcnt lgkmcnt(0)
	v_add_co_u32_e32 v36, vcc, v36, v0
	v_addc_co_u32_e32 v37, vcc, 0, v37, vcc
	v_cmp_lt_u64_e32 vcc, v[15:16], v[36:37]
	s_and_saveexec_b64 s[60:61], vcc
	s_cbranch_execz .LBB4_4233
; %bb.4225:                             ;   in Loop: Header=BB4_4175 Depth=1
	s_mov_b32 s90, 0
	s_mov_b64 s[62:63], 0
                                        ; implicit-def: $sgpr72_sgpr73
                                        ; implicit-def: $sgpr74_sgpr75
	s_branch .LBB4_4227
.LBB4_4226:                             ;   in Loop: Header=BB4_4227 Depth=2
	s_or_b64 exec, exec, s[78:79]
	s_and_b64 s[76:77], exec, s[88:89]
	s_or_b64 s[62:63], s[76:77], s[62:63]
	s_andn2_b64 s[72:73], s[72:73], exec
	s_and_b64 s[76:77], s[74:75], exec
	s_or_b64 s[72:73], s[72:73], s[76:77]
	s_andn2_b64 exec, exec, s[62:63]
	s_cbranch_execz .LBB4_4231
.LBB4_4227:                             ;   Parent Loop BB4_4175 Depth=1
                                        ; =>  This Inner Loop Header: Depth=2
	s_add_i32 s90, s90, 1
	s_cmpk_lg_i32 s90, 0x2710
	s_cselect_b64 s[76:77], -1, 0
	s_and_b64 vcc, exec, s[76:77]
	s_cbranch_vccz .LBB4_4229
; %bb.4228:                             ;   in Loop: Header=BB4_4227 Depth=2
	s_mov_b64 s[88:89], -1
	s_or_b64 s[74:75], s[74:75], exec
	s_and_saveexec_b64 s[78:79], s[76:77]
	s_cbranch_execz .LBB4_4226
	s_branch .LBB4_4230
.LBB4_4229:                             ;   in Loop: Header=BB4_4227 Depth=2
	s_trap 2
	ds_read_b64 v[15:16], v0
	s_andn2_b64 s[76:77], s[76:77], exec
	s_mov_b32 s90, 0
	s_waitcnt lgkmcnt(0)
	flat_load_dword v5, v[15:16] glc
	s_waitcnt vmcnt(0) lgkmcnt(0)
	buffer_wbinvl1_vol
	v_cmp_eq_u32_e32 vcc, 0, v5
	s_and_b64 s[78:79], vcc, exec
	s_or_b64 s[76:77], s[76:77], s[78:79]
	s_mov_b64 s[88:89], -1
	s_or_b64 s[74:75], s[74:75], exec
	s_and_saveexec_b64 s[78:79], s[76:77]
	s_cbranch_execz .LBB4_4226
.LBB4_4230:                             ;   in Loop: Header=BB4_4227 Depth=2
	s_sleep 1
	s_trap 2
	ds_read_b64 v[15:16], v0
	s_waitcnt lgkmcnt(0)
	s_andn2_b64 s[74:75], s[74:75], exec
	v_cmp_ge_u64_e32 vcc, v[15:16], v[36:37]
	s_orn2_b64 s[88:89], vcc, exec
	s_branch .LBB4_4226
.LBB4_4231:                             ;   in Loop: Header=BB4_4175 Depth=1
	s_or_b64 exec, exec, s[62:63]
	s_and_saveexec_b64 s[62:63], s[72:73]
	s_xor_b64 s[62:63], exec, s[62:63]
	s_cbranch_execz .LBB4_4233
; %bb.4232:                             ;   in Loop: Header=BB4_4175 Depth=1
	ds_write_b32 v0, v28
	s_trap 2
.LBB4_4233:                             ;   in Loop: Header=BB4_4175 Depth=1
	s_or_b64 exec, exec, s[60:61]
	;;#ASMSTART
	s_wakeup
	;;#ASMEND
.LBB4_4234:                             ;   in Loop: Header=BB4_4175 Depth=1
	s_or_b64 exec, exec, s[58:59]
.LBB4_4235:                             ;   in Loop: Header=BB4_4175 Depth=1
	s_andn2_saveexec_b64 s[56:57], s[56:57]
	s_cbranch_execz .LBB4_4237
; %bb.4236:                             ;   in Loop: Header=BB4_4175 Depth=1
	s_waitcnt lgkmcnt(0)
	buffer_wbinvl1_vol
	s_barrier
.LBB4_4237:                             ;   in Loop: Header=BB4_4175 Depth=1
	s_or_b64 exec, exec, s[56:57]
.LBB4_4238:                             ;   in Loop: Header=BB4_4175 Depth=1
	s_or_b64 exec, exec, s[20:21]
	s_trap 2
	ds_read_b64 v[15:16], v0
	s_waitcnt lgkmcnt(0)
	v_cmp_eq_u64_e32 vcc, 0, v[15:16]
	s_cbranch_vccnz .LBB4_4246
; %bb.4239:                             ;   in Loop: Header=BB4_4175 Depth=1
	s_trap 2
	ds_read_b64 v[17:18], v0
	s_waitcnt lgkmcnt(0)
	v_cmp_eq_u64_e32 vcc, 0, v[17:18]
	s_cbranch_vccnz .LBB4_4246
; %bb.4240:                             ;   in Loop: Header=BB4_4175 Depth=1
	s_mov_b64 s[20:21], -1
	s_and_saveexec_b64 s[56:57], s[14:15]
	s_cbranch_execz .LBB4_4242
; %bb.4241:                             ;   in Loop: Header=BB4_4175 Depth=1
	ds_read_b32 v5, v0 offset:720
	s_waitcnt lgkmcnt(0)
	v_and_b32_e32 v5, 15, v5
	v_cmp_eq_u32_e32 vcc, 0, v5
	s_orn2_b64 s[20:21], vcc, exec
.LBB4_4242:                             ;   in Loop: Header=BB4_4175 Depth=1
	s_or_b64 exec, exec, s[56:57]
	s_and_saveexec_b64 s[56:57], s[16:17]
	s_cbranch_execz .LBB4_4244
; %bb.4243:                             ;   in Loop: Header=BB4_4175 Depth=1
	ds_read_b32 v5, v0 offset:784
	s_waitcnt lgkmcnt(0)
	v_and_b32_e32 v5, 15, v5
	v_cmp_eq_u32_e32 vcc, 0, v5
	s_and_b64 s[58:59], s[20:21], vcc
	s_andn2_b64 s[20:21], s[20:21], exec
	s_and_b64 s[58:59], s[58:59], exec
	s_or_b64 s[20:21], s[20:21], s[58:59]
.LBB4_4244:                             ;   in Loop: Header=BB4_4175 Depth=1
	s_or_b64 exec, exec, s[56:57]
	v_cmp_eq_u32_e32 vcc, 0, v4
	s_xor_b64 s[20:21], s[20:21], -1
	v_cndmask_b32_e32 v4, 0, v10, vcc
	v_cndmask_b32_e64 v5, 0, 1, s[20:21]
	s_mov_b64 s[58:59], -1
	v_cmp_ne_u32_e32 vcc, 0, v5
	v_mov_b32_e32 v5, 0
	v_mov_b32_e32 v19, v4
	;; [unrolled: 1-line block ×4, first 2 shown]
	s_cbranch_vccz .LBB4_4247
; %bb.4245:                             ;   in Loop: Header=BB4_4175 Depth=1
	s_and_saveexec_b64 s[20:21], s[58:59]
	s_cbranch_execnz .LBB4_4260
	s_branch .LBB4_4268
.LBB4_4246:                             ;   in Loop: Header=BB4_4175 Depth=1
	s_mov_b64 s[20:21], 0
	s_and_saveexec_b64 s[56:57], s[10:11]
	s_cbranch_execnz .LBB4_4269
	s_branch .LBB4_4287
.LBB4_4247:                             ;   in Loop: Header=BB4_4175 Depth=1
	v_lshrrev_b32_e32 v5, 12, v4
	v_sub_u32_e32 v29, v5, v2
	v_cmp_lt_i32_e32 vcc, 0, v29
	s_and_saveexec_b64 s[20:21], vcc
	s_cbranch_execz .LBB4_4251
; %bb.4248:                             ;   in Loop: Header=BB4_4175 Depth=1
	v_mov_b32_e32 v20, v18
	v_mov_b32_e32 v22, v16
	v_mov_b32_e32 v5, v31
	s_mov_b64 s[56:57], 0
	v_mov_b32_e32 v19, v17
	v_mov_b32_e32 v21, v15
.LBB4_4249:                             ;   Parent Loop BB4_4175 Depth=1
                                        ; =>  This Inner Loop Header: Depth=2
	v_add_co_u32_e32 v30, vcc, v23, v21
	v_addc_co_u32_e32 v31, vcc, v24, v22, vcc
	global_load_dwordx4 v[48:51], v[30:31], off glc slc
	global_load_dwordx4 v[52:55], v[30:31], off offset:1024 glc slc
	global_load_dwordx4 v[40:43], v[30:31], off offset:2048 glc slc
	;; [unrolled: 1-line block ×3, first 2 shown]
	v_add_co_u32_e32 v30, vcc, v23, v19
	v_addc_co_u32_e32 v31, vcc, v24, v20, vcc
	v_add_co_u32_e32 v21, vcc, v21, v25
	v_addc_co_u32_e32 v22, vcc, 0, v22, vcc
	v_add_co_u32_e32 v19, vcc, v19, v25
	v_sub_u32_e32 v29, v29, v0
	v_addc_co_u32_e32 v20, vcc, 0, v20, vcc
	v_cmp_gt_i32_e32 vcc, 1, v29
	s_or_b64 s[56:57], vcc, s[56:57]
	s_waitcnt vmcnt(3)
	global_store_dwordx4 v[30:31], v[48:51], off glc slc
	s_waitcnt vmcnt(3)
	global_store_dwordx4 v[30:31], v[52:55], off offset:1024 glc slc
	s_waitcnt vmcnt(3)
	global_store_dwordx4 v[30:31], v[40:43], off offset:2048 glc slc
	;; [unrolled: 2-line block ×3, first 2 shown]
	s_andn2_b64 exec, exec, s[56:57]
	s_cbranch_execnz .LBB4_4249
; %bb.4250:                             ;   in Loop: Header=BB4_4175 Depth=1
	s_or_b64 exec, exec, s[56:57]
	v_mov_b32_e32 v49, v58
	v_mov_b32_e32 v53, v60
	;; [unrolled: 1-line block ×6, first 2 shown]
.LBB4_4251:                             ;   in Loop: Header=BB4_4175 Depth=1
	s_or_b64 exec, exec, s[20:21]
	v_and_b32_e32 v35, 0x3ffff000, v4
	v_cmp_ne_u32_e32 vcc, v4, v35
	s_mov_b64 s[58:59], 0
	v_mov_b32_e32 v5, 0
                                        ; implicit-def: $vgpr19
                                        ; implicit-def: $vgpr20
                                        ; implicit-def: $vgpr30
	s_and_saveexec_b64 s[56:57], vcc
	s_cbranch_execz .LBB4_4259
; %bb.4252:                             ;   in Loop: Header=BB4_4175 Depth=1
	v_lshlrev_b32_e32 v19, 6, v29
	v_sub_u32_e32 v19, v1, v19
	v_ashrrev_i32_e32 v20, 31, v19
	v_lshrrev_b32_e32 v20, 26, v20
	v_add_u32_e32 v20, v19, v20
	v_ashrrev_i32_e32 v22, 6, v20
	v_and_b32_e32 v20, 0xffffffc0, v20
	v_sub_u32_e32 v21, v19, v20
	v_lshlrev_b32_e32 v19, 4, v21
	v_and_b32_e32 v5, 0xfff, v4
	v_lshl_add_u32 v20, v22, 10, v19
	v_sub_u32_e32 v19, v5, v20
	v_and_b32_e32 v5, 0x3ff, v4
	v_bfe_u32 v29, v4, 10, 2
	v_cmp_lt_u32_e32 vcc, 15, v5
	v_addc_co_u32_e64 v29, s[20:21], 0, v29, vcc
	v_sub_u32_e32 v22, v29, v22
	v_cmp_lt_i32_e64 s[20:21], 15, v19
	s_and_saveexec_b64 s[58:59], s[20:21]
	s_cbranch_execz .LBB4_4256
; %bb.4253:                             ;   in Loop: Header=BB4_4175 Depth=1
	v_add_u32_e32 v20, v20, v35
	v_ashrrev_i32_e32 v29, 31, v20
	s_mov_b64 s[60:61], 0
.LBB4_4254:                             ;   Parent Loop BB4_4175 Depth=1
                                        ; =>  This Inner Loop Header: Depth=2
	v_add_co_u32_e64 v48, s[20:21], v15, v20
	v_addc_co_u32_e64 v49, s[20:21], v16, v29, s[20:21]
	global_load_dwordx4 v[48:51], v[48:49], off glc slc
	v_add_co_u32_e64 v52, s[20:21], v17, v20
	v_addc_co_u32_e64 v53, s[20:21], v18, v29, s[20:21]
	v_add_co_u32_e64 v20, s[20:21], v20, v26
	v_sub_u32_e32 v19, v19, v26
	v_addc_co_u32_e64 v29, s[20:21], 0, v29, s[20:21]
	v_cmp_gt_i32_e64 s[20:21], 16, v19
	v_sub_u32_e32 v22, v22, v0
	s_or_b64 s[60:61], s[20:21], s[60:61]
	s_waitcnt vmcnt(0)
	global_store_dwordx4 v[52:53], v[48:51], off glc slc
	s_andn2_b64 exec, exec, s[60:61]
	s_cbranch_execnz .LBB4_4254
; %bb.4255:                             ;   in Loop: Header=BB4_4175 Depth=1
	s_or_b64 exec, exec, s[60:61]
	v_mov_b32_e32 v49, v58
	v_mov_b32_e32 v53, v60
	v_mov_b32_e32 v48, v57
	v_mov_b32_e32 v50, v59
	v_mov_b32_e32 v54, v61
.LBB4_4256:                             ;   in Loop: Header=BB4_4175 Depth=1
	s_or_b64 exec, exec, s[58:59]
	v_and_b32_e32 v19, 15, v4
	v_cndmask_b32_e32 v19, v5, v19, vcc
	v_mov_b32_e32 v5, 0
	v_cmp_ne_u32_e64 s[20:21], 0, v19
	s_mov_b64 s[58:59], 0
                                        ; implicit-def: $vgpr20
                                        ; implicit-def: $vgpr30
	s_and_saveexec_b64 s[60:61], s[20:21]
	s_cbranch_execz .LBB4_4258
; %bb.4257:                             ;   in Loop: Header=BB4_4175 Depth=1
	v_and_b32_e32 v5, 0x3f0, v4
	v_cndmask_b32_e32 v5, 0, v5, vcc
	v_cmp_lt_i32_e32 vcc, 0, v22
	v_cndmask_b32_e32 v20, 0, v0, vcc
	v_sub_u32_e32 v20, v20, v22
	v_lshl_add_u32 v20, v20, 6, v21
	v_ashrrev_i32_e32 v21, 31, v20
	v_lshrrev_b32_e32 v21, 26, v21
	v_add_u32_e32 v21, v20, v21
	s_mov_b64 s[58:59], exec
	v_and_or_b32 v5, v4, s95, v5
	v_ashrrev_i32_e32 v30, 6, v21
.LBB4_4258:                             ;   in Loop: Header=BB4_4175 Depth=1
	s_or_b64 exec, exec, s[60:61]
	s_and_b64 s[58:59], s[58:59], exec
.LBB4_4259:                             ;   in Loop: Header=BB4_4175 Depth=1
	s_or_b64 exec, exec, s[56:57]
	s_and_saveexec_b64 s[20:21], s[58:59]
	s_cbranch_execz .LBB4_4268
.LBB4_4260:                             ;   in Loop: Header=BB4_4175 Depth=1
	v_lshrrev_b32_e32 v21, 10, v19
	v_sub_u32_e32 v21, v21, v30
	v_ashrrev_i32_e32 v22, 31, v20
	v_cmp_lt_i32_e32 vcc, 0, v21
	v_lshrrev_b32_e32 v22, 26, v22
	s_and_saveexec_b64 s[56:57], vcc
	s_cbranch_execz .LBB4_4264
; %bb.4261:                             ;   in Loop: Header=BB4_4175 Depth=1
	v_add_u32_e32 v29, v20, v22
	v_and_b32_e32 v29, 0xffffffc0, v29
	v_sub_u32_e32 v29, v20, v29
	v_lshlrev_b32_e32 v30, 10, v30
	v_add3_u32 v29, v5, v29, v30
	v_mov_b32_e32 v56, v31
	v_mov_b32_e32 v47, v34
	v_ashrrev_i32_e32 v30, 31, v29
	s_mov_b64 s[58:59], 0
.LBB4_4262:                             ;   Parent Loop BB4_4175 Depth=1
                                        ; =>  This Inner Loop Header: Depth=2
	v_add_co_u32_e32 v34, vcc, v29, v15
	v_addc_co_u32_e32 v35, vcc, v30, v16, vcc
	flat_load_ubyte v31, v[34:35] glc slc
	flat_load_ubyte v48, v[34:35] offset:64 glc slc
	flat_load_ubyte v49, v[34:35] offset:128 glc slc
	;; [unrolled: 1-line block ×15, first 2 shown]
	v_add_co_u32_e32 v34, vcc, v29, v17
	v_addc_co_u32_e32 v35, vcc, v30, v18, vcc
	v_add_co_u32_e32 v15, vcc, v15, v26
	v_addc_co_u32_e32 v16, vcc, 0, v16, vcc
	v_add_co_u32_e32 v17, vcc, v17, v26
	v_sub_u32_e32 v21, v21, v0
	v_addc_co_u32_e32 v18, vcc, 0, v18, vcc
	v_cmp_gt_i32_e32 vcc, 1, v21
	s_or_b64 s[58:59], vcc, s[58:59]
	s_waitcnt vmcnt(0) lgkmcnt(0)
	flat_store_byte v[34:35], v31 glc slc
	flat_store_byte v[34:35], v48 offset:64 glc slc
	flat_store_byte v[34:35], v49 offset:128 glc slc
	;; [unrolled: 1-line block ×15, first 2 shown]
	s_andn2_b64 exec, exec, s[58:59]
	s_cbranch_execnz .LBB4_4262
; %bb.4263:                             ;   in Loop: Header=BB4_4175 Depth=1
	s_or_b64 exec, exec, s[58:59]
	v_mov_b32_e32 v49, v58
	v_mov_b32_e32 v53, v60
	;; [unrolled: 1-line block ×7, first 2 shown]
.LBB4_4264:                             ;   in Loop: Header=BB4_4175 Depth=1
	s_or_b64 exec, exec, s[56:57]
	v_and_b32_e32 v18, 0xfffffc00, v19
	v_cmp_ne_u32_e32 vcc, v19, v18
	s_and_b64 exec, exec, vcc
	s_cbranch_execz .LBB4_4268
; %bb.4265:                             ;   in Loop: Header=BB4_4175 Depth=1
	v_add_u32_e32 v15, v20, v22
	v_and_b32_e32 v15, 0xffffffc0, v15
	v_sub_u32_e32 v15, v20, v15
	v_lshlrev_b32_e32 v16, 6, v21
	v_sub_u32_e32 v20, v15, v16
	v_and_b32_e32 v15, 0x3ff, v19
	v_sub_u32_e32 v17, v15, v20
	v_cmp_lt_i32_e32 vcc, 0, v17
	s_and_b64 exec, exec, vcc
	s_cbranch_execz .LBB4_4268
; %bb.4266:                             ;   in Loop: Header=BB4_4175 Depth=1
	s_trap 2
	ds_read_b64 v[15:16], v0
	v_add3_u32 v5, v18, v5, v20
	v_ashrrev_i32_e32 v18, 31, v5
	s_mov_b64 s[56:57], 0
.LBB4_4267:                             ;   Parent Loop BB4_4175 Depth=1
                                        ; =>  This Inner Loop Header: Depth=2
	s_waitcnt lgkmcnt(0)
	v_add_co_u32_e32 v19, vcc, v15, v5
	v_addc_co_u32_e32 v20, vcc, v16, v18, vcc
	flat_load_ubyte v21, v[19:20] glc slc
	v_add_co_u32_e32 v5, vcc, v5, v27
	v_sub_u32_e32 v17, v17, v27
	v_addc_co_u32_e32 v18, vcc, 0, v18, vcc
	v_cmp_gt_i32_e32 vcc, 1, v17
	s_or_b64 s[56:57], vcc, s[56:57]
	s_waitcnt vmcnt(0) lgkmcnt(0)
	flat_store_byte v[19:20], v21 glc slc
	s_andn2_b64 exec, exec, s[56:57]
	s_cbranch_execnz .LBB4_4267
.LBB4_4268:                             ;   in Loop: Header=BB4_4175 Depth=1
	s_or_b64 exec, exec, s[20:21]
	v_cmp_ne_u32_e64 s[20:21], 0, v4
	s_and_saveexec_b64 s[56:57], s[10:11]
	s_cbranch_execz .LBB4_4287
.LBB4_4269:                             ;   in Loop: Header=BB4_4175 Depth=1
	s_and_saveexec_b64 s[58:59], s[28:29]
	s_xor_b64 s[58:59], exec, s[58:59]
	s_cbranch_execz .LBB4_4284
; %bb.4270:                             ;   in Loop: Header=BB4_4175 Depth=1
	s_and_saveexec_b64 s[60:61], s[12:13]
	s_cbranch_execz .LBB4_4283
; %bb.4271:                             ;   in Loop: Header=BB4_4175 Depth=1
	s_mov_b64 s[72:73], exec
	v_mbcnt_lo_u32_b32 v4, s72, 0
	v_mbcnt_hi_u32_b32 v4, s73, v4
	v_cmp_eq_u32_e32 vcc, 0, v4
	s_waitcnt vmcnt(0) lgkmcnt(0)
	buffer_wbinvl1_vol
	s_and_saveexec_b64 s[62:63], vcc
	s_cbranch_execz .LBB4_4273
; %bb.4272:                             ;   in Loop: Header=BB4_4175 Depth=1
	s_bcnt1_i32_b64 s72, s[72:73]
	v_mov_b32_e32 v4, s72
	v_mov_b32_e32 v5, v11
	ds_add_u64 v0, v[4:5]
	s_trap 2
.LBB4_4273:                             ;   in Loop: Header=BB4_4175 Depth=1
	s_or_b64 exec, exec, s[62:63]
	s_trap 2
	ds_read_b64 v[4:5], v0
	s_waitcnt lgkmcnt(0)
	v_add_co_u32_e32 v36, vcc, v36, v0
	v_addc_co_u32_e32 v37, vcc, 0, v37, vcc
	v_cmp_lt_u64_e32 vcc, v[4:5], v[36:37]
	s_and_saveexec_b64 s[62:63], vcc
	s_cbranch_execz .LBB4_4282
; %bb.4274:                             ;   in Loop: Header=BB4_4175 Depth=1
	s_mov_b32 s92, 0
	s_mov_b64 s[72:73], 0
                                        ; implicit-def: $sgpr74_sgpr75
                                        ; implicit-def: $sgpr76_sgpr77
	s_branch .LBB4_4276
.LBB4_4275:                             ;   in Loop: Header=BB4_4276 Depth=2
	s_or_b64 exec, exec, s[88:89]
	s_and_b64 s[78:79], exec, s[90:91]
	s_or_b64 s[72:73], s[78:79], s[72:73]
	s_andn2_b64 s[74:75], s[74:75], exec
	s_and_b64 s[78:79], s[76:77], exec
	s_or_b64 s[74:75], s[74:75], s[78:79]
	s_andn2_b64 exec, exec, s[72:73]
	s_cbranch_execz .LBB4_4280
.LBB4_4276:                             ;   Parent Loop BB4_4175 Depth=1
                                        ; =>  This Inner Loop Header: Depth=2
	s_add_i32 s92, s92, 1
	s_cmpk_lg_i32 s92, 0x2710
	s_cselect_b64 s[78:79], -1, 0
	s_and_b64 vcc, exec, s[78:79]
	s_cbranch_vccz .LBB4_4278
; %bb.4277:                             ;   in Loop: Header=BB4_4276 Depth=2
	s_mov_b64 s[90:91], -1
	s_or_b64 s[76:77], s[76:77], exec
	s_and_saveexec_b64 s[88:89], s[78:79]
	s_cbranch_execz .LBB4_4275
	s_branch .LBB4_4279
.LBB4_4278:                             ;   in Loop: Header=BB4_4276 Depth=2
	s_trap 2
	ds_read_b64 v[4:5], v0
	s_andn2_b64 s[78:79], s[78:79], exec
	s_mov_b32 s92, 0
	s_waitcnt lgkmcnt(0)
	flat_load_dword v4, v[4:5] glc
	s_waitcnt vmcnt(0) lgkmcnt(0)
	buffer_wbinvl1_vol
	v_cmp_eq_u32_e32 vcc, 0, v4
	s_and_b64 s[88:89], vcc, exec
	s_or_b64 s[78:79], s[78:79], s[88:89]
	s_mov_b64 s[90:91], -1
	s_or_b64 s[76:77], s[76:77], exec
	s_and_saveexec_b64 s[88:89], s[78:79]
	s_cbranch_execz .LBB4_4275
.LBB4_4279:                             ;   in Loop: Header=BB4_4276 Depth=2
	s_sleep 1
	s_trap 2
	ds_read_b64 v[4:5], v0
	s_waitcnt lgkmcnt(0)
	s_andn2_b64 s[76:77], s[76:77], exec
	v_cmp_ge_u64_e32 vcc, v[4:5], v[36:37]
	s_orn2_b64 s[90:91], vcc, exec
	s_branch .LBB4_4275
.LBB4_4280:                             ;   in Loop: Header=BB4_4175 Depth=1
	s_or_b64 exec, exec, s[72:73]
	s_and_saveexec_b64 s[72:73], s[74:75]
	s_xor_b64 s[72:73], exec, s[72:73]
	s_cbranch_execz .LBB4_4282
; %bb.4281:                             ;   in Loop: Header=BB4_4175 Depth=1
	ds_write_b32 v0, v28
	s_trap 2
.LBB4_4282:                             ;   in Loop: Header=BB4_4175 Depth=1
	s_or_b64 exec, exec, s[62:63]
	;;#ASMSTART
	s_wakeup
	;;#ASMEND
.LBB4_4283:                             ;   in Loop: Header=BB4_4175 Depth=1
	s_or_b64 exec, exec, s[60:61]
.LBB4_4284:                             ;   in Loop: Header=BB4_4175 Depth=1
	s_andn2_saveexec_b64 s[58:59], s[58:59]
	s_cbranch_execz .LBB4_4286
; %bb.4285:                             ;   in Loop: Header=BB4_4175 Depth=1
	s_waitcnt vmcnt(0) lgkmcnt(0)
	buffer_wbinvl1_vol
	s_barrier
.LBB4_4286:                             ;   in Loop: Header=BB4_4175 Depth=1
	s_or_b64 exec, exec, s[58:59]
.LBB4_4287:                             ;   in Loop: Header=BB4_4175 Depth=1
	s_or_b64 exec, exec, s[56:57]
	v_and_b32_e32 v4, 16, v3
	v_cmp_ne_u32_e32 vcc, 0, v4
	s_and_b64 s[56:57], vcc, s[20:21]
	s_and_saveexec_b64 s[20:21], s[56:57]
	s_cbranch_execz .LBB4_4289
; %bb.4288:                             ;   in Loop: Header=BB4_4175 Depth=1
	s_waitcnt vmcnt(0) lgkmcnt(0)
	buffer_wbinvl1_vol
.LBB4_4289:                             ;   in Loop: Header=BB4_4175 Depth=1
	s_or_b64 exec, exec, s[20:21]
	v_cmp_ne_u32_e32 vcc, 0, v4
	s_and_saveexec_b64 s[20:21], vcc
	s_cbranch_execz .LBB4_4293
; %bb.4290:                             ;   in Loop: Header=BB4_4175 Depth=1
	s_and_saveexec_b64 s[56:57], s[18:19]
	s_cbranch_execz .LBB4_4292
; %bb.4291:                             ;   in Loop: Header=BB4_4175 Depth=1
	buffer_load_dword v4, off, s[0:3], s33 offset:120 ; 4-byte Folded Reload
	buffer_load_dword v5, off, s[0:3], s33 offset:124 ; 4-byte Folded Reload
	s_waitcnt vmcnt(0)
	flat_store_dword v[4:5], v28
.LBB4_4292:                             ;   in Loop: Header=BB4_4175 Depth=1
	s_or_b64 exec, exec, s[56:57]
	v_add_co_u32_e32 v8, vcc, 1, v8
	v_addc_co_u32_e32 v9, vcc, 0, v9, vcc
	flat_store_dwordx2 v[32:33], v[8:9]
.LBB4_4293:                             ;   in Loop: Header=BB4_4175 Depth=1
	s_or_b64 exec, exec, s[20:21]
	v_mov_b32_e32 v4, v10
.LBB4_4294:                             ;   in Loop: Header=BB4_4175 Depth=1
	s_or_b64 exec, exec, s[46:47]
	s_and_saveexec_b64 s[46:47], s[44:45]
	s_cbranch_execz .LBB4_4174
; %bb.4295:                             ;   in Loop: Header=BB4_4175 Depth=1
	v_sub_u32_e32 v4, v14, v4
	v_min_i32_e32 v14, v10, v4
	v_and_b32_e32 v4, 8, v3
	v_cmp_ne_u32_e32 vcc, 0, v4
	s_and_saveexec_b64 s[44:45], vcc
	s_cbranch_execz .LBB4_4317
; %bb.4296:                             ;   in Loop: Header=BB4_4175 Depth=1
	v_add_co_u32_e32 v4, vcc, 8, v38
	v_addc_co_u32_e32 v5, vcc, 0, v39, vcc
	s_waitcnt lgkmcnt(0)
	v_add_co_u32_e32 v16, vcc, 1, v8
	v_addc_co_u32_e32 v17, vcc, 0, v9, vcc
	v_cmp_lt_u64_e32 vcc, v[4:5], v[16:17]
	s_and_saveexec_b64 s[56:57], vcc
	s_cbranch_execz .LBB4_4308
; %bb.4297:                             ;   in Loop: Header=BB4_4175 Depth=1
	v_and_b32_e32 v4, 64, v3
	s_mov_b32 s92, 0
	v_cmp_eq_u32_e32 vcc, 0, v4
	s_mov_b64 s[58:59], 0
                                        ; implicit-def: $sgpr60_sgpr61
                                        ; implicit-def: $sgpr62_sgpr63
                                        ; implicit-def: $sgpr72_sgpr73
	s_branch .LBB4_4301
.LBB4_4298:                             ;   in Loop: Header=BB4_4301 Depth=2
	s_waitcnt vmcnt(0) lgkmcnt(0)
	v_add_co_u32_e64 v9, s[20:21], 8, v38
	v_addc_co_u32_e64 v10, s[20:21], 0, v39, s[20:21]
	v_cmp_ge_u64_e64 s[20:21], v[9:10], v[16:17]
	s_or_b64 s[78:79], s[78:79], exec
	s_orn2_b64 s[76:77], s[20:21], exec
.LBB4_4299:                             ;   in Loop: Header=BB4_4301 Depth=2
	s_or_b64 exec, exec, s[90:91]
	s_andn2_b64 s[20:21], s[72:73], exec
	s_and_b64 s[72:73], s[78:79], exec
	s_or_b64 s[72:73], s[20:21], s[72:73]
	s_andn2_b64 s[20:21], s[62:63], exec
	s_and_b64 s[62:63], s[76:77], exec
	s_or_b64 s[62:63], s[20:21], s[62:63]
.LBB4_4300:                             ;   in Loop: Header=BB4_4301 Depth=2
	s_or_b64 exec, exec, s[74:75]
	s_and_b64 s[20:21], exec, s[62:63]
	s_or_b64 s[58:59], s[20:21], s[58:59]
	s_andn2_b64 s[20:21], s[60:61], exec
	s_and_b64 s[60:61], s[72:73], exec
	s_or_b64 s[60:61], s[20:21], s[60:61]
	s_andn2_b64 exec, exec, s[58:59]
	s_cbranch_execz .LBB4_4305
.LBB4_4301:                             ;   Parent Loop BB4_4175 Depth=1
                                        ; =>  This Inner Loop Header: Depth=2
	s_sleep 1
	s_waitcnt vmcnt(0) lgkmcnt(0)
	flat_load_dwordx2 v[38:39], v[32:33] glc
	s_or_b64 s[72:73], s[72:73], exec
	s_or_b64 s[62:63], s[62:63], exec
                                        ; implicit-def: $vgpr4
	s_and_saveexec_b64 s[74:75], vcc
	s_cbranch_execz .LBB4_4300
; %bb.4302:                             ;   in Loop: Header=BB4_4301 Depth=2
	s_cmpk_lt_i32 s92, 0x270f
	s_cselect_b64 s[88:89], -1, 0
	s_cmpk_gt_i32 s92, 0x270e
	s_mov_b64 s[76:77], -1
	s_cbranch_scc0 .LBB4_4304
; %bb.4303:                             ;   in Loop: Header=BB4_4301 Depth=2
	s_trap 2
	ds_read_b64 v[4:5], v0
	s_andn2_b64 s[88:89], s[88:89], exec
	s_mov_b32 s92, 0
	s_mov_b64 s[78:79], 0
	s_waitcnt vmcnt(0) lgkmcnt(0)
	flat_load_dword v4, v[4:5] glc
	s_waitcnt vmcnt(0) lgkmcnt(0)
	buffer_wbinvl1_vol
	v_cmp_eq_u32_e64 s[20:21], 0, v4
	s_and_b64 s[20:21], s[20:21], exec
	s_or_b64 s[88:89], s[88:89], s[20:21]
	s_and_saveexec_b64 s[90:91], s[88:89]
	s_cbranch_execz .LBB4_4299
	s_branch .LBB4_4298
.LBB4_4304:                             ;   in Loop: Header=BB4_4301 Depth=2
	s_add_i32 s92, s92, 1
	s_mov_b64 s[78:79], -1
                                        ; implicit-def: $vgpr4
	s_and_saveexec_b64 s[90:91], s[88:89]
	s_cbranch_execz .LBB4_4299
	s_branch .LBB4_4298
.LBB4_4305:                             ;   in Loop: Header=BB4_4175 Depth=1
	s_or_b64 exec, exec, s[58:59]
	s_xor_b64 s[20:21], s[60:61], -1
	s_and_saveexec_b64 s[58:59], s[20:21]
	s_xor_b64 s[20:21], exec, s[58:59]
	s_cbranch_execz .LBB4_4307
; %bb.4306:                             ;   in Loop: Header=BB4_4175 Depth=1
	v_or_b32_e32 v3, 64, v3
	s_waitcnt lgkmcnt(0)
	ds_write_b32 v0, v4
	s_trap 2
.LBB4_4307:                             ;   in Loop: Header=BB4_4175 Depth=1
	s_or_b64 exec, exec, s[20:21]
.LBB4_4308:                             ;   in Loop: Header=BB4_4175 Depth=1
	s_or_b64 exec, exec, s[56:57]
	v_and_b32_e32 v4, 0x100, v3
	v_cmp_ne_u32_e32 vcc, 0, v4
	v_and_b32_e32 v4, 7, v8
	s_mov_b64 s[20:21], -1
	;;#ASMSTART
	s_wakeup
	;;#ASMEND
                                        ; implicit-def: $vgpr8_vgpr9
	s_and_saveexec_b64 s[56:57], vcc
	s_cbranch_execz .LBB4_4312
; %bb.4309:                             ;   in Loop: Header=BB4_4175 Depth=1
	v_mad_u64_u32 v[18:19], s[20:21], v4, 24, v[6:7]
	v_ashrrev_i32_e32 v15, 31, v14
                                        ; implicit-def: $vgpr8_vgpr9
	flat_load_dword v5, v[18:19]
	s_nop 0
	flat_store_dwordx2 v[18:19], v[14:15] offset:8
	s_waitcnt vmcnt(0) lgkmcnt(0)
	v_cmp_ne_u32_e32 vcc, 1, v5
	v_cmp_eq_u32_e64 s[20:21], 1, v5
	s_and_saveexec_b64 s[58:59], s[20:21]
	s_cbranch_execz .LBB4_4311
; %bb.4310:                             ;   in Loop: Header=BB4_4175 Depth=1
	flat_load_dword v8, v[18:19] offset:4 glc
	s_waitcnt vmcnt(0) lgkmcnt(0)
	v_ashrrev_i32_e32 v9, 31, v8
.LBB4_4311:                             ;   in Loop: Header=BB4_4175 Depth=1
	s_or_b64 exec, exec, s[58:59]
	s_orn2_b64 s[20:21], vcc, exec
.LBB4_4312:                             ;   in Loop: Header=BB4_4175 Depth=1
	s_or_b64 exec, exec, s[56:57]
	s_and_saveexec_b64 s[56:57], s[20:21]
	s_cbranch_execz .LBB4_4314
; %bb.4313:                             ;   in Loop: Header=BB4_4175 Depth=1
	buffer_load_dword v5, off, s[0:3], s33 offset:128 ; 4-byte Folded Reload
	s_waitcnt vmcnt(0)
	v_mad_i64_i32 v[8:9], s[20:21], v4, v5, 0
.LBB4_4314:                             ;   in Loop: Header=BB4_4175 Depth=1
	s_or_b64 exec, exec, s[56:57]
	buffer_load_dword v4, off, s[0:3], s33 offset:80 ; 4-byte Folded Reload
	buffer_load_dword v5, off, s[0:3], s33 offset:84 ; 4-byte Folded Reload
	s_waitcnt vmcnt(0)
	v_add_co_u32_e32 v4, vcc, v4, v8
	v_addc_co_u32_e32 v5, vcc, v5, v9, vcc
	ds_write_b64 v0, v[4:5] offset:784
	v_and_b32_e32 v4, 0x2000, v3
	v_cmp_ne_u32_e32 vcc, 0, v4
	s_and_saveexec_b64 s[20:21], vcc
	s_cbranch_execz .LBB4_4316
; %bb.4315:                             ;   in Loop: Header=BB4_4175 Depth=1
	ds_read_b64 v[4:5], v0 offset:872
	s_waitcnt lgkmcnt(0)
	v_add_co_u32_e32 v4, vcc, 1, v4
	v_addc_co_u32_e32 v5, vcc, 0, v5, vcc
	ds_write_b64 v0, v[4:5] offset:872
.LBB4_4316:                             ;   in Loop: Header=BB4_4175 Depth=1
	s_or_b64 exec, exec, s[20:21]
	v_mov_b32_e32 v8, v16
	v_mov_b32_e32 v9, v17
.LBB4_4317:                             ;   in Loop: Header=BB4_4175 Depth=1
	s_or_b64 exec, exec, s[44:45]
	s_and_saveexec_b64 s[20:21], s[10:11]
	s_cbranch_execz .LBB4_4336
; %bb.4318:                             ;   in Loop: Header=BB4_4175 Depth=1
	s_and_saveexec_b64 s[44:45], s[28:29]
	s_xor_b64 s[44:45], exec, s[44:45]
	s_cbranch_execz .LBB4_4333
; %bb.4319:                             ;   in Loop: Header=BB4_4175 Depth=1
	s_and_saveexec_b64 s[56:57], s[12:13]
	s_cbranch_execz .LBB4_4332
; %bb.4320:                             ;   in Loop: Header=BB4_4175 Depth=1
	s_mov_b64 s[60:61], exec
	v_mbcnt_lo_u32_b32 v4, s60, 0
	v_mbcnt_hi_u32_b32 v4, s61, v4
	v_cmp_eq_u32_e32 vcc, 0, v4
	s_waitcnt vmcnt(0) lgkmcnt(0)
	buffer_wbinvl1_vol
	s_and_saveexec_b64 s[58:59], vcc
	s_cbranch_execz .LBB4_4322
; %bb.4321:                             ;   in Loop: Header=BB4_4175 Depth=1
	s_bcnt1_i32_b64 s60, s[60:61]
	v_mov_b32_e32 v10, s60
	ds_add_u64 v0, v[10:11]
	s_trap 2
.LBB4_4322:                             ;   in Loop: Header=BB4_4175 Depth=1
	s_or_b64 exec, exec, s[58:59]
	s_trap 2
	ds_read_b64 v[4:5], v0
	s_waitcnt lgkmcnt(0)
	v_add_co_u32_e32 v36, vcc, v36, v0
	v_addc_co_u32_e32 v37, vcc, 0, v37, vcc
	v_cmp_lt_u64_e32 vcc, v[4:5], v[36:37]
	s_and_saveexec_b64 s[58:59], vcc
	s_cbranch_execz .LBB4_4331
; %bb.4323:                             ;   in Loop: Header=BB4_4175 Depth=1
	s_mov_b32 s88, 0
	s_mov_b64 s[60:61], 0
                                        ; implicit-def: $sgpr62_sgpr63
                                        ; implicit-def: $sgpr72_sgpr73
	s_branch .LBB4_4325
.LBB4_4324:                             ;   in Loop: Header=BB4_4325 Depth=2
	s_or_b64 exec, exec, s[76:77]
	s_and_b64 s[74:75], exec, s[78:79]
	s_or_b64 s[60:61], s[74:75], s[60:61]
	s_andn2_b64 s[62:63], s[62:63], exec
	s_and_b64 s[74:75], s[72:73], exec
	s_or_b64 s[62:63], s[62:63], s[74:75]
	s_andn2_b64 exec, exec, s[60:61]
	s_cbranch_execz .LBB4_4329
.LBB4_4325:                             ;   Parent Loop BB4_4175 Depth=1
                                        ; =>  This Inner Loop Header: Depth=2
	s_add_i32 s88, s88, 1
	s_cmpk_lg_i32 s88, 0x2710
	s_cselect_b64 s[74:75], -1, 0
	s_and_b64 vcc, exec, s[74:75]
	s_cbranch_vccz .LBB4_4327
; %bb.4326:                             ;   in Loop: Header=BB4_4325 Depth=2
	s_mov_b64 s[78:79], -1
	s_or_b64 s[72:73], s[72:73], exec
	s_and_saveexec_b64 s[76:77], s[74:75]
	s_cbranch_execz .LBB4_4324
	s_branch .LBB4_4328
.LBB4_4327:                             ;   in Loop: Header=BB4_4325 Depth=2
	s_trap 2
	ds_read_b64 v[4:5], v0
	s_andn2_b64 s[74:75], s[74:75], exec
	s_mov_b32 s88, 0
	s_waitcnt lgkmcnt(0)
	flat_load_dword v4, v[4:5] glc
	s_waitcnt vmcnt(0) lgkmcnt(0)
	buffer_wbinvl1_vol
	v_cmp_eq_u32_e32 vcc, 0, v4
	s_and_b64 s[76:77], vcc, exec
	s_or_b64 s[74:75], s[74:75], s[76:77]
	s_mov_b64 s[78:79], -1
	s_or_b64 s[72:73], s[72:73], exec
	s_and_saveexec_b64 s[76:77], s[74:75]
	s_cbranch_execz .LBB4_4324
.LBB4_4328:                             ;   in Loop: Header=BB4_4325 Depth=2
	s_sleep 1
	s_trap 2
	ds_read_b64 v[4:5], v0
	s_waitcnt lgkmcnt(0)
	s_andn2_b64 s[72:73], s[72:73], exec
	v_cmp_ge_u64_e32 vcc, v[4:5], v[36:37]
	s_orn2_b64 s[78:79], vcc, exec
	s_branch .LBB4_4324
.LBB4_4329:                             ;   in Loop: Header=BB4_4175 Depth=1
	s_or_b64 exec, exec, s[60:61]
	s_and_saveexec_b64 s[60:61], s[62:63]
	s_xor_b64 s[60:61], exec, s[60:61]
	s_cbranch_execz .LBB4_4331
; %bb.4330:                             ;   in Loop: Header=BB4_4175 Depth=1
	ds_write_b32 v0, v28
	s_trap 2
.LBB4_4331:                             ;   in Loop: Header=BB4_4175 Depth=1
	s_or_b64 exec, exec, s[58:59]
	;;#ASMSTART
	s_wakeup
	;;#ASMEND
.LBB4_4332:                             ;   in Loop: Header=BB4_4175 Depth=1
	s_or_b64 exec, exec, s[56:57]
.LBB4_4333:                             ;   in Loop: Header=BB4_4175 Depth=1
	s_andn2_saveexec_b64 s[44:45], s[44:45]
	s_cbranch_execz .LBB4_4335
; %bb.4334:                             ;   in Loop: Header=BB4_4175 Depth=1
	s_waitcnt vmcnt(0) lgkmcnt(0)
	buffer_wbinvl1_vol
	s_barrier
.LBB4_4335:                             ;   in Loop: Header=BB4_4175 Depth=1
	s_or_b64 exec, exec, s[44:45]
.LBB4_4336:                             ;   in Loop: Header=BB4_4175 Depth=1
	s_or_b64 exec, exec, s[20:21]
	s_trap 2
	ds_read_b32 v5, v0
	v_cmp_lt_i32_e32 vcc, 0, v14
	v_and_b32_e32 v4, 16, v3
	s_waitcnt lgkmcnt(0)
	v_readfirstlane_b32 s20, v5
	s_cmp_eq_u32 s20, 0
	s_cselect_b64 s[20:21], -1, 0
	s_and_b64 s[20:21], vcc, s[20:21]
	v_cmp_ne_u32_e32 vcc, 0, v4
	s_and_b64 s[44:45], vcc, s[20:21]
	s_and_saveexec_b64 s[20:21], s[44:45]
	s_cbranch_execz .LBB4_4338
; %bb.4337:                             ;   in Loop: Header=BB4_4175 Depth=1
	s_waitcnt vmcnt(0)
	buffer_wbinvl1_vol
.LBB4_4338:                             ;   in Loop: Header=BB4_4175 Depth=1
	s_or_b64 exec, exec, s[20:21]
	v_cmp_ne_u32_e32 vcc, 0, v4
	s_and_saveexec_b64 s[20:21], vcc
	s_cbranch_execz .LBB4_4173
; %bb.4339:                             ;   in Loop: Header=BB4_4175 Depth=1
	s_and_saveexec_b64 s[44:45], s[18:19]
	s_cbranch_execz .LBB4_4172
; %bb.4340:                             ;   in Loop: Header=BB4_4175 Depth=1
	buffer_load_dword v4, off, s[0:3], s33 offset:120 ; 4-byte Folded Reload
	buffer_load_dword v5, off, s[0:3], s33 offset:124 ; 4-byte Folded Reload
	s_waitcnt vmcnt(0)
	flat_store_dword v[4:5], v28
	s_branch .LBB4_4172
.LBB4_4341:
	s_or_b64 exec, exec, s[40:41]
.LBB4_4342:
	s_or_b64 exec, exec, s[26:27]
.LBB4_4343:
	s_or_b64 exec, exec, s[22:23]
	v_and_b32_e32 v0, 0x800, v3
	v_cmp_eq_u32_e32 vcc, 0, v0
	s_and_saveexec_b64 s[6:7], vcc
	s_cbranch_execz .LBB4_4376
; %bb.4344:
	v_and_b32_e32 v0, 48, v3
	v_cmp_ne_u32_e32 vcc, 0, v0
	s_and_saveexec_b64 s[4:5], vcc
	s_cbranch_execz .LBB4_4346
; %bb.4345:
	buffer_load_dword v0, off, s[0:3], s33 offset:132 ; 4-byte Folded Reload
	buffer_load_dword v1, off, s[0:3], s33 offset:136 ; 4-byte Folded Reload
	s_waitcnt vmcnt(0) lgkmcnt(0)
	flat_store_dwordx2 v[0:1], v[8:9] offset:104
.LBB4_4346:
	s_or_b64 exec, exec, s[4:5]
	s_movk_i32 s4, 0x88
	v_and_b32_e32 v0, 0x88, v3
	v_cmp_eq_u32_e32 vcc, s4, v0
	s_and_saveexec_b64 s[10:11], vcc
	s_cbranch_execz .LBB4_4356
; %bb.4347:
	s_waitcnt vmcnt(0) lgkmcnt(0)
	v_add_u32_e32 v0, -1, v8
	v_and_b32_e32 v0, 7, v0
	v_mad_u64_u32 v[4:5], s[4:5], v0, 24, v[6:7]
	v_and_b32_e32 v2, 64, v3
	v_cmp_eq_u32_e64 s[4:5], 0, v2
	flat_load_dwordx2 v[0:1], v[4:5] offset:8 glc
	s_waitcnt vmcnt(0)
	s_mov_b32 s22, 0
	s_waitcnt lgkmcnt(0)
	v_cmp_ne_u64_e32 vcc, -1, v[0:1]
	s_and_b64 s[4:5], vcc, s[4:5]
	s_and_b64 exec, exec, s[4:5]
	s_cbranch_execz .LBB4_4356
; %bb.4348:
	s_mov_b64 s[4:5], 0
                                        ; implicit-def: $sgpr12_sgpr13
                                        ; implicit-def: $sgpr14_sgpr15
	s_branch .LBB4_4351
.LBB4_4349:                             ;   in Loop: Header=BB4_4351 Depth=1
	flat_load_dwordx2 v[1:2], v[4:5] offset:8 glc
	s_waitcnt vmcnt(0)
	s_andn2_b64 s[14:15], s[14:15], exec
	s_waitcnt lgkmcnt(0)
	v_cmp_eq_u64_e32 vcc, -1, v[1:2]
	s_orn2_b64 s[18:19], vcc, exec
.LBB4_4350:                             ;   in Loop: Header=BB4_4351 Depth=1
	s_or_b64 exec, exec, s[20:21]
	s_and_b64 s[16:17], exec, s[18:19]
	s_or_b64 s[4:5], s[16:17], s[4:5]
	s_andn2_b64 s[12:13], s[12:13], exec
	s_and_b64 s[16:17], s[14:15], exec
	s_or_b64 s[12:13], s[12:13], s[16:17]
	s_andn2_b64 exec, exec, s[4:5]
	s_cbranch_execz .LBB4_4354
.LBB4_4351:                             ; =>This Inner Loop Header: Depth=1
	s_cmpk_lt_i32 s22, 0x270f
	s_cselect_b64 s[16:17], -1, 0
	s_and_b64 vcc, exec, s[16:17]
	s_cbranch_vccnz .LBB4_4353
; %bb.4352:                             ;   in Loop: Header=BB4_4351 Depth=1
	s_trap 2
	ds_read_b64 v[0:1], v0
	s_andn2_b64 s[16:17], s[16:17], exec
	s_mov_b32 s22, 0
	s_waitcnt lgkmcnt(0)
	flat_load_dword v0, v[0:1] glc
	s_waitcnt vmcnt(0) lgkmcnt(0)
	buffer_wbinvl1_vol
	v_cmp_eq_u32_e32 vcc, 0, v0
	s_and_b64 s[18:19], vcc, exec
	s_or_b64 s[16:17], s[16:17], s[18:19]
	s_mov_b64 s[18:19], -1
	s_or_b64 s[14:15], s[14:15], exec
	s_and_saveexec_b64 s[20:21], s[16:17]
	s_cbranch_execz .LBB4_4350
	s_branch .LBB4_4349
.LBB4_4353:                             ;   in Loop: Header=BB4_4351 Depth=1
	s_add_i32 s22, s22, 1
                                        ; implicit-def: $vgpr0
	s_mov_b64 s[18:19], -1
	s_or_b64 s[14:15], s[14:15], exec
	s_and_saveexec_b64 s[20:21], s[16:17]
	s_cbranch_execz .LBB4_4350
	s_branch .LBB4_4349
.LBB4_4354:
	s_or_b64 exec, exec, s[4:5]
	s_and_saveexec_b64 s[4:5], s[12:13]
	s_xor_b64 s[4:5], exec, s[4:5]
	s_cbranch_execz .LBB4_4356
; %bb.4355:
	ds_write_b32 v0, v0
	s_trap 2
.LBB4_4356:
	s_or_b64 exec, exec, s[10:11]
	v_and_b32_e32 v0, 0x2000, v3
	v_cmp_ne_u32_e32 vcc, 0, v0
	s_and_saveexec_b64 s[4:5], vcc
	s_cbranch_execz .LBB4_4358
; %bb.4357:
	s_trap 2
	ds_read_b64 v[0:1], v0
	buffer_load_dword v2, off, s[0:3], s33 offset:204 ; 4-byte Folded Reload
	buffer_load_dword v3, off, s[0:3], s33 offset:208 ; 4-byte Folded Reload
	s_waitcnt vmcnt(0) lgkmcnt(0)
	flat_store_dwordx2 v[2:3], v[0:1] offset:16
.LBB4_4358:
	s_or_b64 exec, exec, s[4:5]
	s_waitcnt vmcnt(0)
	v_cmp_ne_u32_e32 vcc, 64, v34
	s_and_b64 exec, exec, vcc
	s_cbranch_execz .LBB4_4376
; %bb.4359:
	buffer_load_dword v0, off, s[0:3], s33 offset:160 ; 4-byte Folded Reload
	s_waitcnt vmcnt(0)
	v_cmp_ne_u32_sdwa s[4:5], v34, v0 src0_sel:DWORD src1_sel:WORD_0
	s_and_saveexec_b64 s[10:11], s[4:5]
	s_xor_b64 s[4:5], exec, s[10:11]
	s_cbranch_execz .LBB4_4374
; %bb.4360:
	v_and_b32_e32 v0, 63, v31
	v_cmp_eq_u32_e32 vcc, 0, v0
	s_and_saveexec_b64 s[10:11], vcc
	s_cbranch_execz .LBB4_4373
; %bb.4361:
	s_mov_b64 s[14:15], exec
	v_mbcnt_lo_u32_b32 v0, s14, 0
	v_mbcnt_hi_u32_b32 v0, s15, v0
	v_cmp_eq_u32_e32 vcc, 0, v0
	s_waitcnt lgkmcnt(0)
	buffer_wbinvl1_vol
	s_and_saveexec_b64 s[12:13], vcc
	s_cbranch_execz .LBB4_4363
; %bb.4362:
	s_bcnt1_i32_b64 s14, s[14:15]
	v_mov_b32_e32 v0, s14
	v_mov_b32_e32 v1, 0
	ds_add_u64 v0, v[0:1]
	s_trap 2
.LBB4_4363:
	s_or_b64 exec, exec, s[12:13]
	v_lshrrev_b32_e32 v0, 6, v34
	s_trap 2
	ds_read_b64 v[2:3], v0
	s_waitcnt lgkmcnt(0)
	v_add_co_u32_e32 v0, vcc, v36, v0
	v_addc_co_u32_e32 v1, vcc, 0, v37, vcc
	v_cmp_lt_u64_e32 vcc, v[2:3], v[0:1]
	s_and_saveexec_b64 s[12:13], vcc
	s_cbranch_execz .LBB4_4372
; %bb.4364:
	s_mov_b32 s28, 0
	s_mov_b64 s[14:15], 0
                                        ; implicit-def: $sgpr16_sgpr17
                                        ; implicit-def: $sgpr18_sgpr19
	s_branch .LBB4_4366
.LBB4_4365:                             ;   in Loop: Header=BB4_4366 Depth=1
	s_or_b64 exec, exec, s[22:23]
	s_and_b64 s[20:21], exec, s[26:27]
	s_or_b64 s[14:15], s[20:21], s[14:15]
	s_andn2_b64 s[16:17], s[16:17], exec
	s_and_b64 s[20:21], s[18:19], exec
	s_or_b64 s[16:17], s[16:17], s[20:21]
	s_andn2_b64 exec, exec, s[14:15]
	s_cbranch_execz .LBB4_4370
.LBB4_4366:                             ; =>This Inner Loop Header: Depth=1
	s_add_i32 s28, s28, 1
	s_cmpk_lg_i32 s28, 0x2710
	s_cselect_b64 s[20:21], -1, 0
	s_and_b64 vcc, exec, s[20:21]
	s_cbranch_vccz .LBB4_4368
; %bb.4367:                             ;   in Loop: Header=BB4_4366 Depth=1
	s_mov_b64 s[26:27], -1
	s_or_b64 s[18:19], s[18:19], exec
	s_and_saveexec_b64 s[22:23], s[20:21]
	s_cbranch_execz .LBB4_4365
	s_branch .LBB4_4369
.LBB4_4368:                             ;   in Loop: Header=BB4_4366 Depth=1
	s_trap 2
	ds_read_b64 v[2:3], v0
	s_andn2_b64 s[20:21], s[20:21], exec
	s_mov_b32 s28, 0
	s_waitcnt lgkmcnt(0)
	flat_load_dword v2, v[2:3] glc
	s_waitcnt vmcnt(0) lgkmcnt(0)
	buffer_wbinvl1_vol
	v_cmp_eq_u32_e32 vcc, 0, v2
	s_and_b64 s[22:23], vcc, exec
	s_or_b64 s[20:21], s[20:21], s[22:23]
	s_mov_b64 s[26:27], -1
	s_or_b64 s[18:19], s[18:19], exec
	s_and_saveexec_b64 s[22:23], s[20:21]
	s_cbranch_execz .LBB4_4365
.LBB4_4369:                             ;   in Loop: Header=BB4_4366 Depth=1
	s_sleep 1
	s_trap 2
	ds_read_b64 v[2:3], v0
	s_waitcnt lgkmcnt(0)
	s_andn2_b64 s[18:19], s[18:19], exec
	v_cmp_ge_u64_e32 vcc, v[2:3], v[0:1]
	s_orn2_b64 s[26:27], vcc, exec
	s_branch .LBB4_4365
.LBB4_4370:
	s_or_b64 exec, exec, s[14:15]
	s_and_saveexec_b64 s[14:15], s[16:17]
	s_xor_b64 s[14:15], exec, s[14:15]
	s_cbranch_execz .LBB4_4372
; %bb.4371:
	v_mov_b32_e32 v0, 1
	ds_write_b32 v0, v0
	s_trap 2
.LBB4_4372:
	s_or_b64 exec, exec, s[12:13]
	;;#ASMSTART
	s_wakeup
	;;#ASMEND
.LBB4_4373:
	s_or_b64 exec, exec, s[10:11]
.LBB4_4374:
	s_andn2_saveexec_b64 s[4:5], s[4:5]
	s_cbranch_execz .LBB4_4376
; %bb.4375:
	s_waitcnt lgkmcnt(0)
	buffer_wbinvl1_vol
	s_barrier
.LBB4_4376:
	s_or_b64 exec, exec, s[6:7]
.LBB4_4377:
	s_andn2_saveexec_b64 s[26:27], s[24:25]
	s_cbranch_execz .LBB4_4379
; %bb.4378:
	s_getpc_b64 s[4:5]
	s_add_u32 s4, s4, __PRETTY_FUNCTION__._ZN10PrimitivesI14__hip_fp8_e4m37FuncSumIS0_E12FanSymmetricILi1EELi0E11ProtoSimpleILi1ELi1ELi0ELi2ELi0ELi0EELi0ELb0ELi0ELi0ELi0EEC2EiiPKiS9_PKvPvmhhhP15ncclDevWorkCollP14ncclDevWorkP2pii@rel32@lo+4
	s_addc_u32 s5, s5, __PRETTY_FUNCTION__._ZN10PrimitivesI14__hip_fp8_e4m37FuncSumIS0_E12FanSymmetricILi1EELi0E11ProtoSimpleILi1ELi1ELi0ELi2ELi0ELi0EELi0ELb0ELi0ELi0ELi0EEC2EiiPKiS9_PKvPvmhhhP15ncclDevWorkCollP14ncclDevWorkP2pii@rel32@hi+12
	s_getpc_b64 s[6:7]
	s_add_u32 s6, s6, __assert_fail@rel32@lo+4
	s_addc_u32 s7, s7, __assert_fail@rel32@hi+12
	v_mov_b32_e32 v0, s4
	v_mov_b32_e32 v1, s5
	s_swappc_b64 s[30:31], s[6:7]
	; divergent unreachable
.LBB4_4379:
	s_or_b64 exec, exec, s[26:27]
	buffer_load_dword v62, off, s[0:3], s33 ; 4-byte Folded Reload
	buffer_load_dword v61, off, s[0:3], s33 offset:4 ; 4-byte Folded Reload
	buffer_load_dword v60, off, s[0:3], s33 offset:8 ; 4-byte Folded Reload
	;; [unrolled: 1-line block ×14, first 2 shown]
	v_readlane_b32 s30, v63, 15
	v_readlane_b32 s31, v63, 16
	v_readlane_b32 s64, v63, 14
	v_readlane_b32 s55, v63, 13
	v_readlane_b32 s54, v63, 12
	v_readlane_b32 s53, v63, 11
	v_readlane_b32 s52, v63, 10
	v_readlane_b32 s51, v63, 9
	v_readlane_b32 s50, v63, 8
	v_readlane_b32 s49, v63, 7
	v_readlane_b32 s48, v63, 6
	v_readlane_b32 s39, v63, 5
	v_readlane_b32 s38, v63, 4
	v_readlane_b32 s37, v63, 3
	v_readlane_b32 s36, v63, 2
	v_readlane_b32 s35, v63, 1
	v_readlane_b32 s34, v63, 0
	s_mov_b32 s32, s33
	v_readlane_b32 s4, v63, 17
	s_or_saveexec_b64 s[6:7], -1
	buffer_load_dword v63, off, s[0:3], s33 offset:232 ; 4-byte Folded Reload
	s_mov_b64 exec, s[6:7]
	s_mov_b32 s33, s4
	s_waitcnt vmcnt(0) lgkmcnt(0)
	s_setpc_b64 s[30:31]
.Lfunc_end4:
	.size	_ZN12_GLOBAL__N_17runRingI14__hip_fp8_e4m37FuncSumIS1_E11ProtoSimpleILi1ELi1ELi0ELi2ELi0ELi0EELi0ELi2ELi0EEEviiP15ncclDevWorkColl, .Lfunc_end4-_ZN12_GLOBAL__N_17runRingI14__hip_fp8_e4m37FuncSumIS1_E11ProtoSimpleILi1ELi1ELi0ELi2ELi0ELi0EELi0ELi2ELi0EEEviiP15ncclDevWorkColl
                                        ; -- End function
	.set .L_ZN12_GLOBAL__N_17runRingI14__hip_fp8_e4m37FuncSumIS1_E11ProtoSimpleILi1ELi1ELi0ELi2ELi0ELi0EELi0ELi2ELi0EEEviiP15ncclDevWorkColl.num_vgpr, max(64, .L__assert_fail.num_vgpr)
	.set .L_ZN12_GLOBAL__N_17runRingI14__hip_fp8_e4m37FuncSumIS1_E11ProtoSimpleILi1ELi1ELi0ELi2ELi0ELi0EELi0ELi2ELi0EEEviiP15ncclDevWorkColl.num_agpr, max(0, .L__assert_fail.num_agpr)
	.set .L_ZN12_GLOBAL__N_17runRingI14__hip_fp8_e4m37FuncSumIS1_E11ProtoSimpleILi1ELi1ELi0ELi2ELi0ELi0EELi0ELi2ELi0EEEviiP15ncclDevWorkColl.numbered_sgpr, max(96, .L__assert_fail.numbered_sgpr)
	.set .L_ZN12_GLOBAL__N_17runRingI14__hip_fp8_e4m37FuncSumIS1_E11ProtoSimpleILi1ELi1ELi0ELi2ELi0ELi0EELi0ELi2ELi0EEEviiP15ncclDevWorkColl.num_named_barrier, max(0, .L__assert_fail.num_named_barrier)
	.set .L_ZN12_GLOBAL__N_17runRingI14__hip_fp8_e4m37FuncSumIS1_E11ProtoSimpleILi1ELi1ELi0ELi2ELi0ELi0EELi0ELi2ELi0EEEviiP15ncclDevWorkColl.private_seg_size, 240+max(.L__assert_fail.private_seg_size)
	.set .L_ZN12_GLOBAL__N_17runRingI14__hip_fp8_e4m37FuncSumIS1_E11ProtoSimpleILi1ELi1ELi0ELi2ELi0ELi0EELi0ELi2ELi0EEEviiP15ncclDevWorkColl.uses_vcc, or(1, .L__assert_fail.uses_vcc)
	.set .L_ZN12_GLOBAL__N_17runRingI14__hip_fp8_e4m37FuncSumIS1_E11ProtoSimpleILi1ELi1ELi0ELi2ELi0ELi0EELi0ELi2ELi0EEEviiP15ncclDevWorkColl.uses_flat_scratch, or(0, .L__assert_fail.uses_flat_scratch)
	.set .L_ZN12_GLOBAL__N_17runRingI14__hip_fp8_e4m37FuncSumIS1_E11ProtoSimpleILi1ELi1ELi0ELi2ELi0ELi0EELi0ELi2ELi0EEEviiP15ncclDevWorkColl.has_dyn_sized_stack, or(0, .L__assert_fail.has_dyn_sized_stack)
	.set .L_ZN12_GLOBAL__N_17runRingI14__hip_fp8_e4m37FuncSumIS1_E11ProtoSimpleILi1ELi1ELi0ELi2ELi0ELi0EELi0ELi2ELi0EEEviiP15ncclDevWorkColl.has_recursion, or(1, .L__assert_fail.has_recursion)
	.set .L_ZN12_GLOBAL__N_17runRingI14__hip_fp8_e4m37FuncSumIS1_E11ProtoSimpleILi1ELi1ELi0ELi2ELi0ELi0EELi0ELi2ELi0EEEviiP15ncclDevWorkColl.has_indirect_call, or(0, .L__assert_fail.has_indirect_call)
	.section	.AMDGPU.csdata,"",@progbits
; Function info:
; codeLenInByte = 128028
; TotalNumSgprs: 100
; NumVgprs: 64
; ScratchSize: 304
; MemoryBound: 1
	.text
	.p2align	2                               ; -- Begin function _Z47ncclDevFunc_Reduce_RING_SIMPLE_Sum_f8e4m3_0_0_2v
	.type	_Z47ncclDevFunc_Reduce_RING_SIMPLE_Sum_f8e4m3_0_0_2v,@function
_Z47ncclDevFunc_Reduce_RING_SIMPLE_Sum_f8e4m3_0_0_2v: ; @_Z47ncclDevFunc_Reduce_RING_SIMPLE_Sum_f8e4m3_0_0_2v
; %bb.0:
	s_waitcnt vmcnt(0) expcnt(0) lgkmcnt(0)
	s_mov_b32 s4, s33
	s_mov_b32 s33, s32
	s_or_saveexec_b64 s[6:7], -1
	buffer_store_dword v43, off, s[0:3], s33 offset:16 ; 4-byte Folded Spill
	s_mov_b64 exec, s[6:7]
	v_writelane_b32 v43, s4, 23
	s_addk_i32 s32, 0x800
	buffer_store_dword v40, off, s[0:3], s33 offset:12 ; 4-byte Folded Spill
	buffer_store_dword v41, off, s[0:3], s33 offset:8 ; 4-byte Folded Spill
	;; [unrolled: 1-line block ×3, first 2 shown]
	buffer_store_dword v63, off, s[0:3], s33 ; 4-byte Folded Spill
	v_writelane_b32 v43, s34, 0
	v_writelane_b32 v43, s35, 1
	;; [unrolled: 1-line block ×23, first 2 shown]
	s_trap 2
	ds_read_b32 v0, v0
	v_mov_b32_e32 v40, v31
	s_mov_b32 s65, s12
	s_mov_b64 s[66:67], s[8:9]
	s_waitcnt lgkmcnt(0)
	v_cmp_gt_i32_e32 vcc, 1, v0
	s_cbranch_vccnz .LBB5_8
; %bb.1:
	s_mov_b32 s70, 0
	v_and_b32_e32 v41, 0x3ff, v40
	v_mov_b32_e32 v42, 6
	s_branch .LBB5_3
.LBB5_2:                                ;   in Loop: Header=BB5_3 Depth=1
	s_or_b64 exec, exec, s[68:69]
	s_trap 2
	ds_read_b32 v0, v0
	s_add_i32 s70, s70, 1
	s_waitcnt lgkmcnt(0)
	v_cmp_lt_i32_e32 vcc, s70, v0
	s_cbranch_vccz .LBB5_8
.LBB5_3:                                ; =>This Inner Loop Header: Depth=1
	s_trap 2
	ds_read_b32 v0, v0
	s_cmp_eq_u32 s70, 0
	s_cbranch_scc1 .LBB5_6
; %bb.4:                                ;   in Loop: Header=BB5_3 Depth=1
	s_trap 2
	s_waitcnt lgkmcnt(0)
	ds_read_b32 v1, v0
	s_waitcnt lgkmcnt(0)
	v_xor_b32_e32 v1, v1, v0
	v_and_b32_e32 v1, 0xff0000, v1
	v_cmp_eq_u32_e32 vcc, 0, v1
	s_cbranch_vccnz .LBB5_6
; %bb.5:                                ;   in Loop: Header=BB5_3 Depth=1
	s_waitcnt vmcnt(0)
	s_barrier
	ds_read_b32 v0, v0
.LBB5_6:                                ;   in Loop: Header=BB5_3 Depth=1
	s_waitcnt lgkmcnt(0)
	v_lshlrev_b32_sdwa v1, v42, v0 dst_sel:DWORD dst_unused:UNUSED_PAD src0_sel:DWORD src1_sel:BYTE_2
	v_cmp_lt_u32_e32 vcc, v41, v1
	s_and_saveexec_b64 s[68:69], vcc
	s_cbranch_execz .LBB5_2
; %bb.7:                                ;   in Loop: Header=BB5_3 Depth=1
	s_mov_b64 s[4:5], src_shared_base
	s_getpc_b64 s[6:7]
	s_add_u32 s6, s6, _ZN12_GLOBAL__N_17runRingI14__hip_fp8_e4m37FuncSumIS1_E11ProtoSimpleILi1ELi1ELi0ELi2ELi0ELi0EELi0ELi2ELi0EEEviiP15ncclDevWorkColl@rel32@lo+4
	s_addc_u32 s7, s7, _ZN12_GLOBAL__N_17runRingI14__hip_fp8_e4m37FuncSumIS1_E11ProtoSimpleILi1ELi1ELi0ELi2ELi0ELi0EELi0ELi2ELi0EEEviiP15ncclDevWorkColl@rel32@hi+12
	s_mov_b64 s[8:9], s[66:67]
	s_mov_b32 s12, s65
	v_mov_b32_e32 v31, v40
	v_mov_b32_e32 v0, v41
	;; [unrolled: 1-line block ×3, first 2 shown]
	s_swappc_b64 s[30:31], s[6:7]
	s_branch .LBB5_2
.LBB5_8:
	buffer_load_dword v63, off, s[0:3], s33 ; 4-byte Folded Reload
	buffer_load_dword v42, off, s[0:3], s33 offset:4 ; 4-byte Folded Reload
	buffer_load_dword v41, off, s[0:3], s33 offset:8 ; 4-byte Folded Reload
	;; [unrolled: 1-line block ×3, first 2 shown]
	v_readlane_b32 s30, v43, 21
	v_readlane_b32 s31, v43, 22
	;; [unrolled: 1-line block ×23, first 2 shown]
	s_mov_b32 s32, s33
	v_readlane_b32 s4, v43, 23
	s_or_saveexec_b64 s[6:7], -1
	buffer_load_dword v43, off, s[0:3], s33 offset:16 ; 4-byte Folded Reload
	s_mov_b64 exec, s[6:7]
	s_mov_b32 s33, s4
	s_waitcnt vmcnt(0)
	s_setpc_b64 s[30:31]
.Lfunc_end5:
	.size	_Z47ncclDevFunc_Reduce_RING_SIMPLE_Sum_f8e4m3_0_0_2v, .Lfunc_end5-_Z47ncclDevFunc_Reduce_RING_SIMPLE_Sum_f8e4m3_0_0_2v
                                        ; -- End function
	.set .L_Z47ncclDevFunc_Reduce_RING_SIMPLE_Sum_f8e4m3_0_0_2v.num_vgpr, max(64, .L_ZN12_GLOBAL__N_17runRingI14__hip_fp8_e4m37FuncSumIS1_E11ProtoSimpleILi1ELi1ELi0ELi2ELi0ELi0EELi0ELi2ELi0EEEviiP15ncclDevWorkColl.num_vgpr)
	.set .L_Z47ncclDevFunc_Reduce_RING_SIMPLE_Sum_f8e4m3_0_0_2v.num_agpr, max(0, .L_ZN12_GLOBAL__N_17runRingI14__hip_fp8_e4m37FuncSumIS1_E11ProtoSimpleILi1ELi1ELi0ELi2ELi0ELi0EELi0ELi2ELi0EEEviiP15ncclDevWorkColl.num_agpr)
	.set .L_Z47ncclDevFunc_Reduce_RING_SIMPLE_Sum_f8e4m3_0_0_2v.numbered_sgpr, max(71, .L_ZN12_GLOBAL__N_17runRingI14__hip_fp8_e4m37FuncSumIS1_E11ProtoSimpleILi1ELi1ELi0ELi2ELi0ELi0EELi0ELi2ELi0EEEviiP15ncclDevWorkColl.numbered_sgpr)
	.set .L_Z47ncclDevFunc_Reduce_RING_SIMPLE_Sum_f8e4m3_0_0_2v.num_named_barrier, max(0, .L_ZN12_GLOBAL__N_17runRingI14__hip_fp8_e4m37FuncSumIS1_E11ProtoSimpleILi1ELi1ELi0ELi2ELi0ELi0EELi0ELi2ELi0EEEviiP15ncclDevWorkColl.num_named_barrier)
	.set .L_Z47ncclDevFunc_Reduce_RING_SIMPLE_Sum_f8e4m3_0_0_2v.private_seg_size, 32+max(.L_ZN12_GLOBAL__N_17runRingI14__hip_fp8_e4m37FuncSumIS1_E11ProtoSimpleILi1ELi1ELi0ELi2ELi0ELi0EELi0ELi2ELi0EEEviiP15ncclDevWorkColl.private_seg_size)
	.set .L_Z47ncclDevFunc_Reduce_RING_SIMPLE_Sum_f8e4m3_0_0_2v.uses_vcc, or(1, .L_ZN12_GLOBAL__N_17runRingI14__hip_fp8_e4m37FuncSumIS1_E11ProtoSimpleILi1ELi1ELi0ELi2ELi0ELi0EELi0ELi2ELi0EEEviiP15ncclDevWorkColl.uses_vcc)
	.set .L_Z47ncclDevFunc_Reduce_RING_SIMPLE_Sum_f8e4m3_0_0_2v.uses_flat_scratch, or(0, .L_ZN12_GLOBAL__N_17runRingI14__hip_fp8_e4m37FuncSumIS1_E11ProtoSimpleILi1ELi1ELi0ELi2ELi0ELi0EELi0ELi2ELi0EEEviiP15ncclDevWorkColl.uses_flat_scratch)
	.set .L_Z47ncclDevFunc_Reduce_RING_SIMPLE_Sum_f8e4m3_0_0_2v.has_dyn_sized_stack, or(0, .L_ZN12_GLOBAL__N_17runRingI14__hip_fp8_e4m37FuncSumIS1_E11ProtoSimpleILi1ELi1ELi0ELi2ELi0ELi0EELi0ELi2ELi0EEEviiP15ncclDevWorkColl.has_dyn_sized_stack)
	.set .L_Z47ncclDevFunc_Reduce_RING_SIMPLE_Sum_f8e4m3_0_0_2v.has_recursion, or(1, .L_ZN12_GLOBAL__N_17runRingI14__hip_fp8_e4m37FuncSumIS1_E11ProtoSimpleILi1ELi1ELi0ELi2ELi0ELi0EELi0ELi2ELi0EEEviiP15ncclDevWorkColl.has_recursion)
	.set .L_Z47ncclDevFunc_Reduce_RING_SIMPLE_Sum_f8e4m3_0_0_2v.has_indirect_call, or(0, .L_ZN12_GLOBAL__N_17runRingI14__hip_fp8_e4m37FuncSumIS1_E11ProtoSimpleILi1ELi1ELi0ELi2ELi0ELi0EELi0ELi2ELi0EEEviiP15ncclDevWorkColl.has_indirect_call)
	.section	.AMDGPU.csdata,"",@progbits
; Function info:
; codeLenInByte = 752
; TotalNumSgprs: 100
; NumVgprs: 64
; ScratchSize: 336
; MemoryBound: 0
	.text
	.p2align	2                               ; -- Begin function _ZN12_GLOBAL__N_17runRingI14__hip_fp8_e4m37FuncSumIS1_E11ProtoSimpleILi1ELi1ELi0ELi4ELi0ELi0EELi0ELi4ELi0EEEviiP15ncclDevWorkColl
	.type	_ZN12_GLOBAL__N_17runRingI14__hip_fp8_e4m37FuncSumIS1_E11ProtoSimpleILi1ELi1ELi0ELi4ELi0ELi0EELi0ELi4ELi0EEEviiP15ncclDevWorkColl,@function
_ZN12_GLOBAL__N_17runRingI14__hip_fp8_e4m37FuncSumIS1_E11ProtoSimpleILi1ELi1ELi0ELi4ELi0ELi0EELi0ELi4ELi0EEEviiP15ncclDevWorkColl: ; @_ZN12_GLOBAL__N_17runRingI14__hip_fp8_e4m37FuncSumIS1_E11ProtoSimpleILi1ELi1ELi0ELi4ELi0ELi0EELi0ELi4ELi0EEEviiP15ncclDevWorkColl
; %bb.0:
	s_waitcnt vmcnt(0) expcnt(0) lgkmcnt(0)
	s_mov_b32 s4, s33
	s_mov_b32 s33, s32
	s_or_saveexec_b64 s[6:7], -1
	buffer_store_dword v63, off, s[0:3], s33 offset:376 ; 4-byte Folded Spill
	s_mov_b64 exec, s[6:7]
	v_writelane_b32 v63, s4, 17
	s_addk_i32 s32, 0x6000
	buffer_store_dword v40, off, s[0:3], s33 offset:56 ; 4-byte Folded Spill
	buffer_store_dword v41, off, s[0:3], s33 offset:52 ; 4-byte Folded Spill
	;; [unrolled: 1-line block ×14, first 2 shown]
	buffer_store_dword v62, off, s[0:3], s33 ; 4-byte Folded Spill
	v_writelane_b32 v63, s34, 0
	v_writelane_b32 v63, s35, 1
	;; [unrolled: 1-line block ×17, first 2 shown]
	v_mov_b32_e32 v45, v1
	v_mov_b32_e32 v48, v0
	s_trap 2
	ds_read_b64 v[0:1], v0
	v_mov_b32_e32 v38, v31
                                        ; implicit-def: $vgpr16_vgpr17
                                        ; implicit-def: $vgpr18_vgpr19
	s_waitcnt lgkmcnt(0)
	v_ashrrev_i32_e32 v7, 31, v1
	v_mov_b32_e32 v6, v1
	v_lshlrev_b64 v[6:7], 2, v[6:7]
	ds_read_b32 v5, v0
	v_add_co_u32_e32 v4, vcc, v0, v6
	v_addc_co_u32_e32 v1, vcc, v1, v7, vcc
	v_add_co_u32_e32 v6, vcc, -4, v4
	flat_load_ushort v15, v[2:3] offset:8
	flat_load_dwordx2 v[8:9], v[2:3]
	v_addc_co_u32_e32 v7, vcc, -1, v1, vcc
	flat_load_dword v4, v[6:7]
                                        ; implicit-def: $vgpr6_vgpr7
                                        ; kill: killed $vgpr6_vgpr7
	s_waitcnt vmcnt(0) lgkmcnt(0)
	v_mov_b32_e32 v14, v9
	v_cmp_ne_u32_sdwa s[4:5], v5, v8 src0_sel:DWORD src1_sel:BYTE_0
	s_and_saveexec_b64 s[6:7], s[4:5]
	s_xor_b64 s[4:5], exec, s[6:7]
	s_cbranch_execz .LBB6_6
; %bb.1:
	v_not_b32_sdwa v1, v8 dst_sel:DWORD dst_unused:UNUSED_PAD src0_sel:BYTE_0
	v_cmp_ne_u32_sdwa s[6:7], v5, v8 src0_sel:DWORD src1_sel:BYTE_1
                                        ; implicit-def: $vgpr16_vgpr17
                                        ; implicit-def: $vgpr18_vgpr19
                                        ; implicit-def: $vgpr6_vgpr7
                                        ; kill: killed $vgpr6_vgpr7
	s_and_saveexec_b64 s[10:11], s[6:7]
	s_xor_b64 s[6:7], exec, s[10:11]
	s_cbranch_execz .LBB6_3
; %bb.2:
	flat_load_dwordx4 v[6:9], v[2:3] offset:72
	flat_load_dwordx2 v[10:11], v[2:3] offset:96
	v_add_u32_e32 v1, v5, v1
	v_ashrrev_i32_e32 v5, 31, v1
	s_waitcnt vmcnt(0) lgkmcnt(0)
	v_mul_lo_u32 v5, v8, v5
	v_mad_u64_u32 v[6:7], s[10:11], v8, v1, v[6:7]
	v_mul_lo_u32 v1, v9, v1
	v_mov_b32_e32 v19, v9
	v_lshrrev_b64 v[16:17], 12, v[10:11]
	v_mov_b32_e32 v18, v8
	v_add3_u32 v7, v1, v7, v5
	buffer_store_dword v6, off, s[0:3], s33 offset:224 ; 4-byte Folded Spill
	s_nop 0
	buffer_store_dword v7, off, s[0:3], s33 offset:228 ; 4-byte Folded Spill
                                        ; implicit-def: $vgpr8
                                        ; implicit-def: $vgpr1
.LBB6_3:
	s_andn2_saveexec_b64 s[6:7], s[6:7]
	s_cbranch_execz .LBB6_5
; %bb.4:
	flat_load_dwordx4 v[9:12], v[2:3] offset:72
	flat_load_dwordx4 v[18:21], v[2:3] offset:88
	v_add_u32_sdwa v1, v8, v1 dst_sel:DWORD dst_unused:UNUSED_PAD src0_sel:BYTE_1 src1_sel:DWORD
	v_ashrrev_i32_e32 v5, 31, v1
	s_waitcnt vmcnt(0) lgkmcnt(0)
	v_mul_lo_u32 v5, v11, v5
	v_mad_u64_u32 v[6:7], s[10:11], v11, v1, v[9:10]
	v_mul_lo_u32 v1, v12, v1
	v_lshrrev_b32_e32 v16, 1, v21
	v_add3_u32 v7, v1, v7, v5
	buffer_store_dword v6, off, s[0:3], s33 offset:224 ; 4-byte Folded Spill
	s_nop 0
	buffer_store_dword v7, off, s[0:3], s33 offset:228 ; 4-byte Folded Spill
.LBB6_5:
	s_or_b64 exec, exec, s[6:7]
.LBB6_6:
	s_andn2_saveexec_b64 s[4:5], s[4:5]
	s_cbranch_execz .LBB6_8
; %bb.7:
	flat_load_dwordx2 v[5:6], v[2:3] offset:96
	flat_load_dwordx2 v[18:19], v[2:3] offset:72
	s_waitcnt vmcnt(0) lgkmcnt(0)
	v_lshlrev_b64 v[16:17], 9, v[5:6]
	v_mov_b32_e32 v5, 0
	v_mov_b32_e32 v6, 0
	buffer_store_dword v5, off, s[0:3], s33 offset:224 ; 4-byte Folded Spill
	s_nop 0
	buffer_store_dword v6, off, s[0:3], s33 offset:228 ; 4-byte Folded Spill
.LBB6_8:
	s_or_b64 exec, exec, s[4:5]
	s_trap 2
	ds_read_b64 v[6:7], v0
	s_waitcnt lgkmcnt(0)
	v_cmp_ne_u32_e32 vcc, -1, v6
	v_cndmask_b32_e64 v6, 0, 1, vcc
	v_cmp_ne_u32_e32 vcc, -1, v7
	v_addc_co_u32_e64 v1, s[4:5], 0, v6, vcc
	v_lshlrev_b32_e32 v5, 1, v1
	v_cmp_le_u32_e64 s[4:5], v5, v45
	s_and_saveexec_b64 s[6:7], s[4:5]
	s_xor_b64 s[24:25], exec, s[6:7]
	s_cbranch_execnz .LBB6_9
; %bb.7196:
	s_getpc_b64 s[66:67]
.Lpost_getpc0:
	s_add_u32 s66, s66, (.LBB6_7193-.Lpost_getpc0)&4294967295
	s_addc_u32 s67, s67, (.LBB6_7193-.Lpost_getpc0)>>32
	s_setpc_b64 s[66:67]
.LBB6_9:
	buffer_store_dword v18, off, s[0:3], s33 offset:156 ; 4-byte Folded Spill
	s_nop 0
	buffer_store_dword v19, off, s[0:3], s33 offset:160 ; 4-byte Folded Spill
	buffer_store_dword v20, off, s[0:3], s33 offset:164 ; 4-byte Folded Spill
	;; [unrolled: 1-line block ×3, first 2 shown]
	flat_load_dwordx4 v[10:13], v[2:3] offset:16
	s_nop 0
	flat_load_dwordx2 v[17:18], v[2:3] offset:104
	s_trap 2
	s_load_dword s4, s[8:9], 0x0
	v_mov_b32_e32 v2, 0
	s_waitcnt lgkmcnt(0)
	s_cmp_lt_u32 s12, s4
	s_cselect_b32 s4, 12, 18
	s_add_u32 s4, s8, s4
	s_addc_u32 s5, s9, 0
	global_load_ushort v39, v2, s[4:5]
	ds_read_b32 v2, v0
	v_cmp_ge_i32_e64 s[4:5], v48, v6
	s_waitcnt lgkmcnt(0)
	v_readfirstlane_b32 s48, v2
	v_mov_b32_e32 v2, 4
	s_and_saveexec_b64 s[6:7], s[4:5]
	s_cbranch_execz .LBB6_19
; %bb.10:
	v_cmp_ge_u32_e64 s[4:5], v48, v1
                                        ; implicit-def: $vgpr2
	s_and_saveexec_b64 s[10:11], s[4:5]
	s_xor_b64 s[4:5], exec, s[10:11]
	s_cbranch_execz .LBB6_16
; %bb.11:
	v_cndmask_b32_e64 v2, 0, 1, vcc
	v_sub_u32_e32 v2, v45, v2
	v_cmp_ge_u32_e32 vcc, v48, v2
	s_and_saveexec_b64 s[10:11], vcc
	s_xor_b64 s[10:11], exec, s[10:11]
; %bb.12:
                                        ; implicit-def: $vgpr1
; %bb.13:
	s_or_saveexec_b64 s[10:11], s[10:11]
	v_mov_b32_e32 v2, 16
	s_xor_b64 exec, exec, s[10:11]
; %bb.14:
	v_sub_u32_e32 v1, v45, v1
	v_cmp_lt_i32_e32 vcc, v48, v1
	v_cndmask_b32_e64 v2, 32, 0, vcc
; %bb.15:
	s_or_b64 exec, exec, s[10:11]
.LBB6_16:
	s_andn2_saveexec_b64 s[4:5], s[4:5]
; %bb.17:
	v_mov_b32_e32 v2, 8
; %bb.18:
	s_or_b64 exec, exec, s[4:5]
.LBB6_19:
	s_or_b64 exec, exec, s[6:7]
	v_and_b32_e32 v1, 36, v2
	v_mov_b32_e32 v9, v2
	v_cmp_ne_u32_e32 vcc, 0, v1
	v_mov_b32_e32 v1, -1
	s_and_saveexec_b64 s[4:5], vcc
	s_cbranch_execz .LBB6_21
; %bb.20:
	s_trap 2
	ds_read_b32 v1, v0
.LBB6_21:
	s_or_b64 exec, exec, s[4:5]
	v_and_b32_e32 v2, 24, v9
	v_cmp_ne_u32_e64 s[4:5], 0, v2
	s_and_saveexec_b64 s[6:7], s[4:5]
	s_cbranch_execz .LBB6_23
; %bb.22:
	s_trap 2
	s_waitcnt lgkmcnt(0)
	ds_read_b32 v1, v0
.LBB6_23:
	s_or_b64 exec, exec, s[6:7]
	v_mov_b32_e32 v7, 0
	v_mov_b32_e32 v8, 0
	buffer_store_dword v7, off, s[0:3], s33 offset:260 ; 4-byte Folded Spill
	s_nop 0
	buffer_store_dword v8, off, s[0:3], s33 offset:264 ; 4-byte Folded Spill
	v_lshrrev_b64 v[2:3], 31, v[14:15]
                                        ; implicit-def: $vgpr7_vgpr8
	v_mov_b32_e32 v21, 0
                                        ; kill: killed $vgpr7_vgpr8
                                        ; implicit-def: $vgpr7_vgpr8
	v_and_b32_e32 v3, 3, v2
	v_mov_b32_e32 v22, 0
	s_waitcnt lgkmcnt(0)
	v_ashrrev_i32_e32 v2, 31, v1
                                        ; kill: killed $vgpr7_vgpr8
                                        ; implicit-def: $vgpr7_vgpr8
                                        ; implicit-def: $vgpr5
                                        ; kill: killed $vgpr5
                                        ; kill: killed $vgpr7_vgpr8
                                        ; implicit-def: $vgpr7_vgpr8
                                        ; kill: killed $vgpr7_vgpr8
	s_and_saveexec_b64 s[4:5], vcc
	s_cbranch_execz .LBB6_33
; %bb.24:
	s_trap 2
	ds_read_b64 v[7:8], v0
	v_lshlrev_b64 v[19:20], 3, v[1:2]
	v_and_b32_e32 v5, 0xffff, v3
	s_movk_i32 s6, 0xa8
	s_waitcnt lgkmcnt(0)
	v_add_co_u32_e32 v7, vcc, v7, v19
	v_addc_co_u32_e32 v8, vcc, v8, v20, vcc
	flat_load_dwordx2 v[7:8], v[7:8]
	s_waitcnt vmcnt(0) lgkmcnt(0)
	v_mad_u64_u32 v[19:20], s[6:7], v5, s6, v[7:8]
                                        ; implicit-def: $vgpr7_vgpr8
                                        ; kill: killed $vgpr7_vgpr8
	flat_load_dword v5, v[19:20] offset:640
	s_waitcnt vmcnt(0) lgkmcnt(0)
	v_cmp_eq_u32_e32 vcc, 1, v5
	s_and_saveexec_b64 s[6:7], vcc
	s_cbranch_execz .LBB6_26
; %bb.25:
	flat_load_dwordx2 v[21:22], v[19:20] offset:648
	v_or_b32_e32 v9, 0x2000, v9
	s_waitcnt vmcnt(0) lgkmcnt(0)
	flat_load_dwordx2 v[7:8], v[21:22]
	s_trap 2
	s_waitcnt vmcnt(0) lgkmcnt(0)
	ds_write_b64 v0, v[7:8]
	flat_load_dwordx2 v[7:8], v[21:22] offset:8
	s_waitcnt vmcnt(0) lgkmcnt(0)
	ds_write_b64 v0, v[7:8]
	buffer_store_dword v21, off, s[0:3], s33 offset:316 ; 4-byte Folded Spill
	s_nop 0
	buffer_store_dword v22, off, s[0:3], s33 offset:320 ; 4-byte Folded Spill
	flat_load_dwordx2 v[7:8], v[21:22] offset:16
	s_waitcnt vmcnt(0) lgkmcnt(0)
	ds_write_b64 v0, v[7:8]
.LBB6_26:
	s_or_b64 exec, exec, s[6:7]
	flat_load_dwordx2 v[23:24], v[19:20] offset:608
	v_and_b32_e32 v5, 32, v9
	v_cmp_ne_u32_e32 vcc, 0, v5
                                        ; implicit-def: $vgpr7_vgpr8
                                        ; kill: killed $vgpr7_vgpr8
	s_and_saveexec_b64 s[6:7], vcc
	s_cbranch_execz .LBB6_28
; %bb.27:
	flat_load_dwordx2 v[7:8], v[19:20] offset:560
	s_waitcnt vmcnt(0) lgkmcnt(0)
	buffer_store_dword v7, off, s[0:3], s33 offset:60 ; 4-byte Folded Spill
	s_nop 0
	buffer_store_dword v8, off, s[0:3], s33 offset:64 ; 4-byte Folded Spill
	flat_store_dwordx2 v[7:8], v[23:24]
.LBB6_28:
	s_or_b64 exec, exec, s[6:7]
	v_add_co_u32_e32 v7, vcc, 0x1f8, v19
	v_addc_co_u32_e32 v8, vcc, 0, v20, vcc
	buffer_store_dword v7, off, s[0:3], s33 offset:260 ; 4-byte Folded Spill
	s_nop 0
	buffer_store_dword v8, off, s[0:3], s33 offset:264 ; 4-byte Folded Spill
	v_and_b32_e32 v5, 4, v9
	v_mov_b32_e32 v21, 0
	v_mov_b32_e32 v22, 0
	v_cmp_ne_u32_e32 vcc, 0, v5
                                        ; implicit-def: $vgpr7_vgpr8
                                        ; implicit-def: $vgpr5
                                        ; kill: killed $vgpr5
                                        ; kill: killed $vgpr7_vgpr8
                                        ; implicit-def: $vgpr7_vgpr8
                                        ; kill: killed $vgpr7_vgpr8
	s_and_saveexec_b64 s[6:7], vcc
	s_cbranch_execz .LBB6_32
; %bb.29:
	v_and_b32_e32 v5, 0x800, v9
	v_cmp_eq_u32_e32 vcc, 0, v5
	s_and_saveexec_b64 s[10:11], vcc
	s_cbranch_execz .LBB6_31
; %bb.30:
	s_trap 2
	buffer_load_dword v7, off, s[0:3], s33 offset:260 ; 4-byte Folded Reload
	buffer_load_dword v8, off, s[0:3], s33 offset:264 ; 4-byte Folded Reload
	s_waitcnt vmcnt(0)
	ds_write_b64 v0, v[7:8]
.LBB6_31:
	s_or_b64 exec, exec, s[10:11]
	flat_load_dwordx2 v[7:8], v[19:20] offset:552
	s_waitcnt vmcnt(0) lgkmcnt(0)
	v_mov_b32_e32 v28, v24
	v_mov_b32_e32 v27, v23
	buffer_store_dword v7, off, s[0:3], s33 offset:60 ; 4-byte Folded Spill
	s_nop 0
	buffer_store_dword v8, off, s[0:3], s33 offset:64 ; 4-byte Folded Spill
	flat_load_dwordx2 v[7:8], v[7:8] glc
	s_waitcnt vmcnt(0) lgkmcnt(0)
	buffer_store_dword v7, off, s[0:3], s33 offset:68 ; 4-byte Folded Spill
	s_nop 0
	buffer_store_dword v8, off, s[0:3], s33 offset:72 ; 4-byte Folded Spill
	flat_load_dwordx2 v[25:26], v[19:20] offset:600
	flat_load_dword v5, v[19:20] offset:576
	s_nop 0
	flat_load_dwordx2 v[7:8], v[19:20] offset:520
	s_waitcnt vmcnt(0) lgkmcnt(0)
	v_cmp_eq_u64_e32 vcc, 0, v[25:26]
	buffer_store_dword v5, off, s[0:3], s33 offset:236 ; 4-byte Folded Spill
	v_or_b32_e32 v5, 0x100, v9
	v_mov_b32_e32 v21, v25
	v_mov_b32_e32 v22, v26
	;; [unrolled: 1-line block ×4, first 2 shown]
	v_cndmask_b32_e32 v9, v5, v9, vcc
	buffer_store_dword v7, off, s[0:3], s33 offset:200 ; 4-byte Folded Spill
	s_nop 0
	buffer_store_dword v8, off, s[0:3], s33 offset:204 ; 4-byte Folded Spill
.LBB6_32:
	s_or_b64 exec, exec, s[6:7]
.LBB6_33:
	s_or_b64 exec, exec, s[4:5]
	v_and_b32_e32 v5, 24, v9
	v_cmp_ne_u32_e32 vcc, 0, v5
                                        ; implicit-def: $vgpr36_vgpr37
	s_and_saveexec_b64 s[4:5], vcc
	s_cbranch_execz .LBB6_41
; %bb.34:
	s_trap 2
	ds_read_b64 v[7:8], v0
	v_lshlrev_b64 v[1:2], 3, v[1:2]
	v_and_b32_e32 v3, 0xffff, v3
	s_movk_i32 s6, 0xa8
                                        ; implicit-def: $vgpr36_vgpr37
	s_waitcnt lgkmcnt(0)
	v_add_co_u32_e32 v1, vcc, v7, v1
	v_addc_co_u32_e32 v2, vcc, v8, v2, vcc
	flat_load_dwordx2 v[1:2], v[1:2]
	s_waitcnt vmcnt(0) lgkmcnt(0)
	v_mad_u64_u32 v[1:2], s[6:7], v3, s6, v[1:2]
	buffer_store_dword v1, off, s[0:3], s33 offset:260 ; 4-byte Folded Spill
	s_nop 0
	buffer_store_dword v2, off, s[0:3], s33 offset:264 ; 4-byte Folded Spill
	flat_load_dwordx4 v[19:22], v[1:2] offset:96
	v_mov_b32_e32 v2, v9
	v_or_b32_e32 v1, 0x100, v2
	s_waitcnt vmcnt(0) lgkmcnt(0)
	v_cmp_eq_u64_e32 vcc, 0, v[19:20]
	v_mov_b32_e32 v24, v22
	v_cndmask_b32_e32 v2, v1, v2, vcc
	v_and_b32_e32 v1, 16, v2
	v_mov_b32_e32 v23, v21
	v_mov_b32_e32 v22, v20
	;; [unrolled: 1-line block ×4, first 2 shown]
	v_cmp_ne_u32_e32 vcc, 0, v1
	s_and_saveexec_b64 s[6:7], vcc
	s_cbranch_execz .LBB6_36
; %bb.35:
	buffer_load_dword v1, off, s[0:3], s33 offset:260 ; 4-byte Folded Reload
	buffer_load_dword v2, off, s[0:3], s33 offset:264 ; 4-byte Folded Reload
	s_waitcnt vmcnt(0)
	flat_load_dwordx2 v[7:8], v[1:2] offset:48
	s_waitcnt vmcnt(0) lgkmcnt(0)
	buffer_store_dword v7, off, s[0:3], s33 offset:60 ; 4-byte Folded Spill
	s_nop 0
	buffer_store_dword v8, off, s[0:3], s33 offset:64 ; 4-byte Folded Spill
	flat_load_dwordx2 v[36:37], v[1:2] offset:120
	s_nop 0
	flat_load_dwordx2 v[1:2], v[1:2] offset:16
	s_waitcnt vmcnt(0) lgkmcnt(0)
	buffer_store_dword v1, off, s[0:3], s33 offset:200 ; 4-byte Folded Spill
	s_nop 0
	buffer_store_dword v2, off, s[0:3], s33 offset:204 ; 4-byte Folded Spill
.LBB6_36:
	s_or_b64 exec, exec, s[6:7]
	v_and_b32_e32 v1, 8, v9
	v_cmp_ne_u32_e32 vcc, 0, v1
	s_and_saveexec_b64 s[6:7], vcc
	s_cbranch_execz .LBB6_40
; %bb.37:
	v_and_b32_e32 v1, 0x800, v9
	v_cmp_eq_u32_e32 vcc, 0, v1
	s_and_saveexec_b64 s[10:11], vcc
	s_cbranch_execz .LBB6_39
; %bb.38:
	s_trap 2
	buffer_load_dword v1, off, s[0:3], s33 offset:260 ; 4-byte Folded Reload
	buffer_load_dword v2, off, s[0:3], s33 offset:264 ; 4-byte Folded Reload
	s_waitcnt vmcnt(0)
	ds_write_b64 v0, v[1:2]
.LBB6_39:
	s_or_b64 exec, exec, s[10:11]
	buffer_load_dword v1, off, s[0:3], s33 offset:260 ; 4-byte Folded Reload
	buffer_load_dword v2, off, s[0:3], s33 offset:264 ; 4-byte Folded Reload
	s_waitcnt vmcnt(0)
	flat_load_dwordx2 v[7:8], v[1:2] offset:56
	s_waitcnt vmcnt(0) lgkmcnt(0)
	buffer_store_dword v7, off, s[0:3], s33 offset:60 ; 4-byte Folded Spill
	s_nop 0
	buffer_store_dword v8, off, s[0:3], s33 offset:64 ; 4-byte Folded Spill
	flat_load_dwordx2 v[7:8], v[7:8] glc
	s_waitcnt vmcnt(0) lgkmcnt(0)
	buffer_store_dword v7, off, s[0:3], s33 offset:68 ; 4-byte Folded Spill
	s_nop 0
	buffer_store_dword v8, off, s[0:3], s33 offset:72 ; 4-byte Folded Spill
	flat_load_dword v3, v[1:2] offset:72
	s_nop 0
	flat_load_dwordx2 v[1:2], v[1:2] offset:16
	s_waitcnt vmcnt(0) lgkmcnt(0)
	buffer_store_dword v3, off, s[0:3], s33 offset:236 ; 4-byte Folded Spill
	buffer_store_dword v1, off, s[0:3], s33 offset:200 ; 4-byte Folded Spill
	s_nop 0
	buffer_store_dword v2, off, s[0:3], s33 offset:204 ; 4-byte Folded Spill
.LBB6_40:
	s_or_b64 exec, exec, s[6:7]
.LBB6_41:
	s_or_b64 exec, exec, s[4:5]
	v_cmp_eq_u32_e64 s[4:5], 0, v48
	s_and_saveexec_b64 s[6:7], s[4:5]
	s_cbranch_execz .LBB6_43
; %bb.42:
	s_waitcnt vmcnt(0)
	v_mov_b32_e32 v1, v12
	v_mov_b32_e32 v2, v13
	;; [unrolled: 1-line block ×4, first 2 shown]
	ds_write2_b64 v0, v[1:2], v[7:8] offset1:1
	v_mov_b32_e32 v1, 0
	v_mov_b32_e32 v2, v1
	s_trap 2
	ds_write_b64 v0, v[1:2]
	ds_write_b64 v0, v[17:18]
.LBB6_43:
	s_or_b64 exec, exec, s[6:7]
	v_and_b32_e32 v49, 0x3ffffe00, v16
	v_mov_b32_e32 v50, 0
	v_bfe_u32 v1, v14, 1, 30
	v_cmp_ne_u32_e32 vcc, v4, v1
                                        ; implicit-def: $vgpr2_vgpr3
                                        ; kill: killed $vgpr2_vgpr3
	s_mov_b64 s[6:7], exec
	buffer_load_dword v2, off, s[0:3], s33 offset:156 ; 4-byte Folded Reload
	buffer_load_dword v3, off, s[0:3], s33 offset:160 ; 4-byte Folded Reload
	;; [unrolled: 1-line block ×4, first 2 shown]
	s_and_b64 s[10:11], s[6:7], vcc
	s_xor_b64 s[26:27], s[10:11], s[6:7]
	v_mov_b32_e32 v16, v9
	s_waitcnt vmcnt(0)
	v_mov_b32_e32 v15, v3
	v_mov_b32_e32 v14, v2
	s_mov_b64 exec, s[10:11]
	s_cbranch_execnz .LBB6_44
; %bb.7198:
	s_getpc_b64 s[66:67]
.Lpost_getpc1:
	s_add_u32 s66, s66, (.LBB6_6985-.Lpost_getpc1)&4294967295
	s_addc_u32 s67, s67, (.LBB6_6985-.Lpost_getpc1)>>32
	s_setpc_b64 s[66:67]
.LBB6_44:
	v_cmp_ne_u32_e32 vcc, v0, v1
                                        ; implicit-def: $vgpr0_vgpr1
                                        ; kill: killed $vgpr0_vgpr1
	s_and_saveexec_b64 s[6:7], vcc
	s_xor_b64 s[28:29], exec, s[6:7]
	s_cbranch_execz .LBB6_3518
; %bb.45:
	v_mov_b32_e32 v0, 0
	v_cmp_ne_u64_e32 vcc, 0, v[14:15]
	v_mov_b32_e32 v1, 0
	buffer_store_dword v0, off, s[0:3], s33 offset:76 ; 4-byte Folded Spill
	s_nop 0
	buffer_store_dword v1, off, s[0:3], s33 offset:80 ; 4-byte Folded Spill
	s_and_saveexec_b64 s[40:41], vcc
	s_cbranch_execz .LBB6_3517
; %bb.46:
	s_trap 2
	buffer_load_dword v0, off, s[0:3], s33 offset:236 ; 4-byte Folded Reload
	v_lshrrev_b32_e32 v3, 6, v45
	buffer_store_dword v38, off, s[0:3], s33 offset:280 ; 4-byte Folded Spill
	s_ashr_i32 s6, s48, 31
	s_lshr_b32 s6, s6, 24
	s_add_i32 s6, s48, s6
	v_cmp_eq_u32_e32 vcc, 64, v45
	buffer_store_dword v39, off, s[0:3], s33 offset:284 ; 4-byte Folded Spill
	buffer_store_dword v48, off, s[0:3], s33 offset:240 ; 4-byte Folded Spill
	buffer_store_dword v3, off, s[0:3], s33 offset:84 ; 4-byte Folded Spill
	v_cmp_eq_u64_e64 s[18:19], 0, v[36:37]
	v_mov_b32_e32 v52, 0
	s_mov_b32 s62, -1
	s_ashr_i32 s49, s6, 8
	v_cmp_ge_i32_e64 s[6:7], v48, v45
	v_cmp_ne_u32_e64 s[10:11], 64, v45
	v_cmp_ne_u32_sdwa s[42:43], v45, v39 src0_sel:DWORD src1_sel:WORD_0
	v_mov_b32_e32 v61, 0
	s_movk_i32 s50, 0xffc0
	v_lshlrev_b32_e32 v39, 10, v3
	s_mov_b64 s[44:45], 0
	v_mov_b32_e32 v53, 0
	s_movk_i32 s51, 0x108
	v_mov_b32_e32 v54, 1
	s_xor_b64 s[46:47], vcc, -1
	s_movk_i32 s52, 0x80
	s_movk_i32 s53, 0x7f
	s_mov_b64 s[56:57], 0x7f800000
	s_mov_b64 s[58:59], 0x43e00001
	s_movk_i32 s54, 0x7a
	s_mov_b64 s[60:61], 0xffffff
	s_mov_b32 s63, 0xffffff
	s_mov_b32 s55, 0x3ffffc00
	v_mov_b32_e32 v55, 0xc8
	v_mov_b32_e32 v40, 0x90
	v_bfrev_b32_e32 v62, 60
	v_mov_b32_e32 v41, 0x7f800001
	v_bfrev_b32_e32 v42, 1
	s_waitcnt vmcnt(0)
	v_ashrrev_i32_e32 v51, 31, v0
	v_and_b32_e32 v0, 63, v38
	v_cmp_eq_u32_e64 s[12:13], 0, v0
	v_ashrrev_i32_e32 v0, 31, v48
	v_lshrrev_b32_e32 v0, 26, v0
	v_add_u32_e32 v0, v48, v0
	v_and_b32_e32 v1, 0xffffffc0, v0
	v_ashrrev_i32_e32 v38, 6, v0
	v_sub_u32_e32 v1, v48, v1
	v_lshlrev_b32_e32 v0, 12, v38
	v_lshl_add_u32 v0, v1, 4, v0
	buffer_store_dword v0, off, s[0:3], s33 offset:364 ; 4-byte Folded Spill
	v_ashrrev_i32_e32 v0, 31, v0
	buffer_store_dword v0, off, s[0:3], s33 offset:368 ; 4-byte Folded Spill
	v_lshlrev_b32_e32 v0, 12, v3
	buffer_store_dword v0, off, s[0:3], s33 offset:232 ; 4-byte Folded Spill
	v_lshlrev_b32_e32 v0, 11, v3
	v_cmp_le_i32_e64 s[14:15], v1, v6
	v_cmp_lt_i32_e64 s[16:17], v1, v6
	buffer_store_dword v1, off, s[0:3], s33 offset:372 ; 4-byte Folded Spill
	buffer_store_dword v0, off, s[0:3], s33 offset:216 ; 4-byte Folded Spill
	;; [unrolled: 1-line block ×3, first 2 shown]
	v_mov_b32_e32 v0, 0
	v_and_b32_e32 v48, 0x3fc0, v45
	v_mov_b32_e32 v1, 0
	buffer_store_dword v0, off, s[0:3], s33 offset:76 ; 4-byte Folded Spill
	s_nop 0
	buffer_store_dword v1, off, s[0:3], s33 offset:80 ; 4-byte Folded Spill
	buffer_store_dword v36, off, s[0:3], s33 offset:268 ; 4-byte Folded Spill
	s_nop 0
	buffer_store_dword v37, off, s[0:3], s33 offset:272 ; 4-byte Folded Spill
	buffer_store_dword v51, off, s[0:3], s33 offset:324 ; 4-byte Folded Spill
	;; [unrolled: 1-line block ×6, first 2 shown]
	s_nop 0
	buffer_store_dword v50, off, s[0:3], s33 offset:212 ; 4-byte Folded Spill
	s_branch .LBB6_49
.LBB6_47:                               ;   in Loop: Header=BB6_49 Depth=1
	s_or_b64 exec, exec, s[20:21]
.LBB6_48:                               ;   in Loop: Header=BB6_49 Depth=1
	s_or_b64 exec, exec, s[22:23]
	buffer_load_dword v49, off, s[0:3], s33 offset:208 ; 4-byte Folded Reload
	buffer_load_dword v50, off, s[0:3], s33 offset:212 ; 4-byte Folded Reload
	s_waitcnt vmcnt(0)
	v_add_co_u32_e32 v52, vcc, v52, v49
	v_addc_co_u32_e32 v53, vcc, 0, v53, vcc
	v_cmp_ge_u64_e32 vcc, v[52:53], v[14:15]
	s_or_b64 s[44:45], vcc, s[44:45]
	s_andn2_b64 exec, exec, s[44:45]
	s_cbranch_execz .LBB6_3516
.LBB6_49:                               ; =>This Loop Header: Depth=1
                                        ;     Child Loop BB6_58 Depth 2
                                        ;     Child Loop BB6_84 Depth 2
	;; [unrolled: 1-line block ×10, first 2 shown]
	v_sub_co_u32_e32 v0, vcc, v14, v52
	v_subb_co_u32_e32 v1, vcc, v15, v53, vcc
	v_cmp_lt_u64_e32 vcc, v[49:50], v[0:1]
	v_cndmask_b32_e64 v44, v1, 0, vcc
	v_cndmask_b32_e32 v43, v0, v49, vcc
	v_cmp_eq_u64_e32 vcc, 0, v[43:44]
	v_add_u32_e32 v0, 15, v43
	v_and_b32_e32 v0, 0x7ffffff0, v0
	s_or_b64 s[72:73], s[6:7], vcc
	v_max_i32_e32 v49, s49, v0
	s_xor_b64 s[20:21], s[72:73], -1
	v_mov_b32_e32 v0, v61
	s_and_saveexec_b64 s[74:75], s[20:21]
	s_cbranch_execz .LBB6_3466
; %bb.50:                               ;   in Loop: Header=BB6_49 Depth=1
	s_and_saveexec_b64 s[20:21], s[4:5]
	s_cbranch_execz .LBB6_52
; %bb.51:                               ;   in Loop: Header=BB6_49 Depth=1
	s_trap 2
	ds_read_b64 v[0:1], v0
	buffer_load_dword v2, off, s[0:3], s33 offset:224 ; 4-byte Folded Reload
	buffer_load_dword v3, off, s[0:3], s33 offset:228 ; 4-byte Folded Reload
	v_mov_b32_e32 v60, v61
	s_waitcnt vmcnt(0) lgkmcnt(0)
	v_add_co_u32_e32 v0, vcc, v0, v2
	v_addc_co_u32_e32 v1, vcc, v1, v3, vcc
	v_add_co_u32_e32 v0, vcc, v0, v52
	v_addc_co_u32_e32 v1, vcc, v1, v53, vcc
	ds_write_b64 v0, v[0:1]
	ds_write_b64 v0, v[60:61]
.LBB6_52:                               ;   in Loop: Header=BB6_49 Depth=1
	s_or_b64 exec, exec, s[20:21]
	v_and_b32_e32 v0, 12, v16
	v_min_u32_e32 v49, v49, v43
	v_cmp_ne_u32_e32 vcc, 0, v0
	s_and_saveexec_b64 s[22:23], vcc
	s_cbranch_execz .LBB6_76
; %bb.53:                               ;   in Loop: Header=BB6_49 Depth=1
	buffer_load_dword v0, off, s[0:3], s33 offset:68 ; 4-byte Folded Reload
	buffer_load_dword v1, off, s[0:3], s33 offset:72 ; 4-byte Folded Reload
	v_and_b32_e32 v2, 8, v16
	s_waitcnt vmcnt(0)
	v_add_co_u32_e32 v3, vcc, v0, v2
	v_addc_co_u32_e32 v4, vcc, 0, v1, vcc
	s_waitcnt lgkmcnt(0)
	v_add_co_u32_e32 v0, vcc, 1, v23
	v_addc_co_u32_e32 v1, vcc, 0, v24, vcc
	v_cmp_lt_u64_e32 vcc, v[3:4], v[0:1]
	s_and_saveexec_b64 s[76:77], vcc
	s_cbranch_execz .LBB6_65
; %bb.54:                               ;   in Loop: Header=BB6_49 Depth=1
	v_and_b32_e32 v3, 64, v16
	s_mov_b32 s64, 0
	v_cmp_eq_u32_e32 vcc, 0, v3
	s_mov_b64 s[78:79], 0
                                        ; implicit-def: $sgpr88_sgpr89
                                        ; implicit-def: $sgpr90_sgpr91
                                        ; implicit-def: $sgpr92_sgpr93
	s_branch .LBB6_58
.LBB6_55:                               ;   in Loop: Header=BB6_58 Depth=2
	buffer_load_dword v4, off, s[0:3], s33 offset:68 ; 4-byte Folded Reload
	buffer_load_dword v5, off, s[0:3], s33 offset:72 ; 4-byte Folded Reload
	s_or_b64 s[34:35], s[34:35], exec
	s_waitcnt vmcnt(1)
	v_add_co_u32_e64 v4, s[20:21], v4, v2
	s_waitcnt vmcnt(0)
	v_addc_co_u32_e64 v5, s[20:21], 0, v5, s[20:21]
	v_cmp_ge_u64_e64 s[20:21], v[4:5], v[0:1]
	s_orn2_b64 s[30:31], s[20:21], exec
.LBB6_56:                               ;   in Loop: Header=BB6_58 Depth=2
	s_or_b64 exec, exec, s[38:39]
	s_andn2_b64 s[20:21], s[92:93], exec
	s_and_b64 s[92:93], s[34:35], exec
	s_or_b64 s[92:93], s[20:21], s[92:93]
	s_andn2_b64 s[20:21], s[90:91], exec
	s_and_b64 s[90:91], s[30:31], exec
	s_or_b64 s[90:91], s[20:21], s[90:91]
.LBB6_57:                               ;   in Loop: Header=BB6_58 Depth=2
	s_or_b64 exec, exec, s[94:95]
	s_and_b64 s[20:21], exec, s[90:91]
	s_or_b64 s[78:79], s[20:21], s[78:79]
	s_andn2_b64 s[20:21], s[88:89], exec
	s_and_b64 s[88:89], s[92:93], exec
	s_or_b64 s[88:89], s[20:21], s[88:89]
	s_andn2_b64 exec, exec, s[78:79]
	s_cbranch_execz .LBB6_62
.LBB6_58:                               ;   Parent Loop BB6_49 Depth=1
                                        ; =>  This Inner Loop Header: Depth=2
	s_sleep 1
	buffer_load_dword v3, off, s[0:3], s33 offset:60 ; 4-byte Folded Reload
	buffer_load_dword v4, off, s[0:3], s33 offset:64 ; 4-byte Folded Reload
	s_or_b64 s[92:93], s[92:93], exec
	s_or_b64 s[90:91], s[90:91], exec
	s_waitcnt vmcnt(0)
	flat_load_dwordx2 v[3:4], v[3:4] glc
	s_waitcnt vmcnt(0) lgkmcnt(0)
	buffer_store_dword v3, off, s[0:3], s33 offset:68 ; 4-byte Folded Spill
	s_nop 0
	buffer_store_dword v4, off, s[0:3], s33 offset:72 ; 4-byte Folded Spill
                                        ; implicit-def: $vgpr3
	s_and_saveexec_b64 s[94:95], vcc
	s_cbranch_execz .LBB6_57
; %bb.59:                               ;   in Loop: Header=BB6_58 Depth=2
	s_cmpk_lt_i32 s64, 0x270f
	s_cselect_b64 s[36:37], -1, 0
	s_cmpk_gt_i32 s64, 0x270e
	s_mov_b64 s[30:31], -1
	s_cbranch_scc0 .LBB6_61
; %bb.60:                               ;   in Loop: Header=BB6_58 Depth=2
	s_trap 2
	ds_read_b64 v[3:4], v0
	s_andn2_b64 s[36:37], s[36:37], exec
	s_mov_b32 s64, 0
	s_mov_b64 s[34:35], 0
	s_waitcnt vmcnt(0) lgkmcnt(0)
	flat_load_dword v3, v[3:4] glc
	s_waitcnt vmcnt(0) lgkmcnt(0)
	buffer_wbinvl1_vol
	v_cmp_eq_u32_e64 s[20:21], 0, v3
	s_and_b64 s[20:21], s[20:21], exec
	s_or_b64 s[36:37], s[36:37], s[20:21]
	s_and_saveexec_b64 s[38:39], s[36:37]
	s_cbranch_execz .LBB6_56
	s_branch .LBB6_55
.LBB6_61:                               ;   in Loop: Header=BB6_58 Depth=2
	s_add_i32 s64, s64, 1
	s_mov_b64 s[34:35], -1
                                        ; implicit-def: $vgpr3
	s_and_saveexec_b64 s[38:39], s[36:37]
	s_cbranch_execz .LBB6_56
	s_branch .LBB6_55
.LBB6_62:                               ;   in Loop: Header=BB6_49 Depth=1
	s_or_b64 exec, exec, s[78:79]
	s_xor_b64 s[20:21], s[88:89], -1
	s_and_saveexec_b64 s[78:79], s[20:21]
	s_xor_b64 s[20:21], exec, s[78:79]
	s_cbranch_execz .LBB6_64
; %bb.63:                               ;   in Loop: Header=BB6_49 Depth=1
	v_or_b32_e32 v16, 64, v16
	ds_write_b32 v0, v3
	s_trap 2
.LBB6_64:                               ;   in Loop: Header=BB6_49 Depth=1
	s_or_b64 exec, exec, s[20:21]
.LBB6_65:                               ;   in Loop: Header=BB6_49 Depth=1
	s_or_b64 exec, exec, s[76:77]
	v_and_b32_e32 v3, 0x108, v16
	v_cmp_ne_u32_e32 vcc, s51, v3
	v_and_b32_e32 v3, 7, v23
	;;#ASMSTART
	s_wakeup
	;;#ASMEND
	s_and_saveexec_b64 s[20:21], vcc
	s_xor_b64 s[20:21], exec, s[20:21]
	s_andn2_saveexec_b64 s[20:21], s[20:21]
	s_cbranch_execz .LBB6_67
; %bb.66:                               ;   in Loop: Header=BB6_49 Depth=1
	v_mad_u64_u32 v[4:5], s[76:77], v3, 24, v[21:22]
	v_mov_b32_e32 v50, v61
	flat_store_dwordx2 v[4:5], v[49:50] offset:8
.LBB6_67:                               ;   in Loop: Header=BB6_49 Depth=1
	s_or_b64 exec, exec, s[20:21]
	v_and_b32_e32 v4, 0x100, v16
	v_cmp_ne_u32_e32 vcc, 0, v4
	s_mov_b64 s[20:21], -1
                                        ; implicit-def: $vgpr8_vgpr9
	s_and_saveexec_b64 s[76:77], vcc
	s_cbranch_execz .LBB6_71
; %bb.68:                               ;   in Loop: Header=BB6_49 Depth=1
	v_mad_u64_u32 v[10:11], s[20:21], v3, 24, v[21:22]
                                        ; implicit-def: $vgpr8_vgpr9
	v_mov_b32_e32 v4, v11
	v_mad_u64_u32 v[4:5], s[20:21], v61, 24, v[4:5]
	v_mov_b32_e32 v11, v4
	flat_load_dword v4, v[10:11]
	s_waitcnt vmcnt(0) lgkmcnt(0)
	v_cmp_ne_u32_e32 vcc, 1, v4
	v_cmp_eq_u32_e64 s[20:21], 1, v4
	s_and_saveexec_b64 s[78:79], s[20:21]
	s_cbranch_execz .LBB6_70
; %bb.69:                               ;   in Loop: Header=BB6_49 Depth=1
	flat_load_dword v8, v[10:11] offset:4 glc
	s_waitcnt vmcnt(0) lgkmcnt(0)
	v_ashrrev_i32_e32 v9, 31, v8
.LBB6_70:                               ;   in Loop: Header=BB6_49 Depth=1
	s_or_b64 exec, exec, s[78:79]
	s_orn2_b64 s[20:21], vcc, exec
.LBB6_71:                               ;   in Loop: Header=BB6_49 Depth=1
	s_or_b64 exec, exec, s[76:77]
	s_and_saveexec_b64 s[76:77], s[20:21]
	s_cbranch_execz .LBB6_73
; %bb.72:                               ;   in Loop: Header=BB6_49 Depth=1
	buffer_load_dword v6, off, s[0:3], s33 offset:236 ; 4-byte Folded Reload
	v_mul_lo_u32 v5, v3, v51
	s_waitcnt vmcnt(0)
	v_mul_lo_u32 v4, v61, v6
	v_mad_u64_u32 v[8:9], s[20:21], v3, v6, 0
	v_add3_u32 v9, v9, v5, v4
.LBB6_73:                               ;   in Loop: Header=BB6_49 Depth=1
	s_or_b64 exec, exec, s[76:77]
	v_cmp_eq_u32_e32 vcc, 0, v2
	buffer_load_dword v2, off, s[0:3], s33 offset:200 ; 4-byte Folded Reload
	buffer_load_dword v3, off, s[0:3], s33 offset:204 ; 4-byte Folded Reload
	v_cndmask_b32_e32 v4, v55, v40, vcc
	v_add_u32_e32 v4, v0, v4
	s_waitcnt vmcnt(0)
	v_add_co_u32_e32 v2, vcc, v2, v8
	v_addc_co_u32_e32 v3, vcc, v3, v9, vcc
	ds_write_b64 v4, v[2:3] offset:584
	v_and_b32_e32 v2, 0x2000, v16
	v_cmp_ne_u32_e32 vcc, 0, v2
	s_and_saveexec_b64 s[20:21], vcc
	s_cbranch_execz .LBB6_75
; %bb.74:                               ;   in Loop: Header=BB6_49 Depth=1
	ds_read_b64 v[2:3], v0 offset:872
	s_waitcnt lgkmcnt(0)
	v_add_co_u32_e32 v2, vcc, 1, v2
	v_addc_co_u32_e32 v3, vcc, 0, v3, vcc
	ds_write_b64 v0, v[2:3] offset:872
.LBB6_75:                               ;   in Loop: Header=BB6_49 Depth=1
	s_or_b64 exec, exec, s[20:21]
	v_mov_b32_e32 v24, v1
	v_mov_b32_e32 v23, v0
.LBB6_76:                               ;   in Loop: Header=BB6_49 Depth=1
	s_or_b64 exec, exec, s[22:23]
	s_and_saveexec_b64 s[20:21], s[10:11]
	s_cbranch_execz .LBB6_95
; %bb.77:                               ;   in Loop: Header=BB6_49 Depth=1
	s_and_saveexec_b64 s[22:23], s[42:43]
	s_xor_b64 s[22:23], exec, s[22:23]
	s_cbranch_execz .LBB6_92
; %bb.78:                               ;   in Loop: Header=BB6_49 Depth=1
	s_and_saveexec_b64 s[76:77], s[12:13]
	s_cbranch_execz .LBB6_91
; %bb.79:                               ;   in Loop: Header=BB6_49 Depth=1
	s_mov_b64 s[88:89], exec
	v_mbcnt_lo_u32_b32 v0, s88, 0
	v_mbcnt_hi_u32_b32 v0, s89, v0
	v_cmp_eq_u32_e32 vcc, 0, v0
	s_waitcnt vmcnt(0) lgkmcnt(0)
	buffer_wbinvl1_vol
	s_and_saveexec_b64 s[78:79], vcc
	s_cbranch_execz .LBB6_81
; %bb.80:                               ;   in Loop: Header=BB6_49 Depth=1
	s_bcnt1_i32_b64 s88, s[88:89]
	v_mov_b32_e32 v60, s88
	ds_add_u64 v0, v[60:61]
	s_trap 2
.LBB6_81:                               ;   in Loop: Header=BB6_49 Depth=1
	s_or_b64 exec, exec, s[78:79]
	s_trap 2
	ds_read_b64 v[0:1], v0
	s_waitcnt lgkmcnt(0)
	buffer_load_dword v2, off, s[0:3], s33 offset:76 ; 4-byte Folded Reload
	buffer_load_dword v3, off, s[0:3], s33 offset:80 ; 4-byte Folded Reload
	buffer_load_dword v4, off, s[0:3], s33 offset:84 ; 4-byte Folded Reload
	s_waitcnt vmcnt(0)
	v_add_co_u32_e32 v2, vcc, v2, v4
	v_addc_co_u32_e32 v3, vcc, 0, v3, vcc
	buffer_store_dword v2, off, s[0:3], s33 offset:76 ; 4-byte Folded Spill
	s_nop 0
	buffer_store_dword v3, off, s[0:3], s33 offset:80 ; 4-byte Folded Spill
	v_cmp_lt_u64_e32 vcc, v[0:1], v[2:3]
	s_and_saveexec_b64 s[78:79], vcc
	s_cbranch_execz .LBB6_90
; %bb.82:                               ;   in Loop: Header=BB6_49 Depth=1
	s_mov_b32 s34, 0
	s_mov_b64 s[88:89], 0
                                        ; implicit-def: $sgpr90_sgpr91
                                        ; implicit-def: $sgpr92_sgpr93
	s_branch .LBB6_84
.LBB6_83:                               ;   in Loop: Header=BB6_84 Depth=2
	s_or_b64 exec, exec, s[30:31]
	s_and_b64 s[94:95], exec, vcc
	s_or_b64 s[88:89], s[94:95], s[88:89]
	s_andn2_b64 s[90:91], s[90:91], exec
	s_and_b64 s[94:95], s[92:93], exec
	s_or_b64 s[90:91], s[90:91], s[94:95]
	s_andn2_b64 exec, exec, s[88:89]
	s_cbranch_execz .LBB6_88
.LBB6_84:                               ;   Parent Loop BB6_49 Depth=1
                                        ; =>  This Inner Loop Header: Depth=2
	s_add_i32 s34, s34, 1
	s_cmpk_lg_i32 s34, 0x2710
	s_cselect_b64 s[94:95], -1, 0
	s_and_b64 vcc, exec, s[94:95]
	s_cbranch_vccz .LBB6_86
; %bb.85:                               ;   in Loop: Header=BB6_84 Depth=2
	s_mov_b64 vcc, -1
	s_or_b64 s[92:93], s[92:93], exec
	s_and_saveexec_b64 s[30:31], s[94:95]
	s_cbranch_execz .LBB6_83
	s_branch .LBB6_87
.LBB6_86:                               ;   in Loop: Header=BB6_84 Depth=2
	s_trap 2
	ds_read_b64 v[0:1], v0
	s_andn2_b64 s[94:95], s[94:95], exec
	s_mov_b32 s34, 0
	s_waitcnt vmcnt(0) lgkmcnt(0)
	flat_load_dword v0, v[0:1] glc
	s_waitcnt vmcnt(0) lgkmcnt(0)
	buffer_wbinvl1_vol
	v_cmp_eq_u32_e32 vcc, 0, v0
	s_and_b64 vcc, vcc, exec
	s_or_b64 s[94:95], s[94:95], vcc
	s_mov_b64 vcc, -1
	s_or_b64 s[92:93], s[92:93], exec
	s_and_saveexec_b64 s[30:31], s[94:95]
	s_cbranch_execz .LBB6_83
.LBB6_87:                               ;   in Loop: Header=BB6_84 Depth=2
	s_sleep 1
	s_trap 2
	ds_read_b64 v[0:1], v0
	s_waitcnt lgkmcnt(0)
	buffer_load_dword v2, off, s[0:3], s33 offset:76 ; 4-byte Folded Reload
	buffer_load_dword v3, off, s[0:3], s33 offset:80 ; 4-byte Folded Reload
	s_andn2_b64 s[92:93], s[92:93], exec
	s_waitcnt vmcnt(0)
	v_cmp_ge_u64_e32 vcc, v[0:1], v[2:3]
	s_orn2_b64 vcc, vcc, exec
	s_branch .LBB6_83
.LBB6_88:                               ;   in Loop: Header=BB6_49 Depth=1
	s_or_b64 exec, exec, s[88:89]
	s_and_saveexec_b64 s[88:89], s[90:91]
	s_xor_b64 s[88:89], exec, s[88:89]
	s_cbranch_execz .LBB6_90
; %bb.89:                               ;   in Loop: Header=BB6_49 Depth=1
	ds_write_b32 v0, v54
	s_trap 2
.LBB6_90:                               ;   in Loop: Header=BB6_49 Depth=1
	s_or_b64 exec, exec, s[78:79]
	;;#ASMSTART
	s_wakeup
	;;#ASMEND
.LBB6_91:                               ;   in Loop: Header=BB6_49 Depth=1
	s_or_b64 exec, exec, s[76:77]
.LBB6_92:                               ;   in Loop: Header=BB6_49 Depth=1
	s_andn2_saveexec_b64 s[22:23], s[22:23]
	s_cbranch_execz .LBB6_94
; %bb.93:                               ;   in Loop: Header=BB6_49 Depth=1
	s_waitcnt vmcnt(0) lgkmcnt(0)
	buffer_wbinvl1_vol
	s_barrier
.LBB6_94:                               ;   in Loop: Header=BB6_49 Depth=1
	s_or_b64 exec, exec, s[22:23]
.LBB6_95:                               ;   in Loop: Header=BB6_49 Depth=1
	s_or_b64 exec, exec, s[20:21]
	s_trap 2
	ds_read_b32 v0, v0
	v_and_b32_e32 v1, 0x4000, v16
	v_cmp_ne_u32_e32 vcc, 0, v1
	s_and_b64 s[22:23], s[46:47], vcc
	s_and_saveexec_b64 s[20:21], s[22:23]
	s_cbranch_execz .LBB6_114
; %bb.96:                               ;   in Loop: Header=BB6_49 Depth=1
	s_and_saveexec_b64 s[22:23], s[42:43]
	s_xor_b64 s[22:23], exec, s[22:23]
	s_cbranch_execz .LBB6_111
; %bb.97:                               ;   in Loop: Header=BB6_49 Depth=1
	s_and_saveexec_b64 s[76:77], s[12:13]
	s_cbranch_execz .LBB6_110
; %bb.98:                               ;   in Loop: Header=BB6_49 Depth=1
	s_mov_b64 s[88:89], exec
	v_mbcnt_lo_u32_b32 v1, s88, 0
	v_mbcnt_hi_u32_b32 v1, s89, v1
	v_cmp_eq_u32_e32 vcc, 0, v1
	s_waitcnt vmcnt(0) lgkmcnt(0)
	buffer_wbinvl1_vol
	s_and_saveexec_b64 s[78:79], vcc
	s_cbranch_execz .LBB6_100
; %bb.99:                               ;   in Loop: Header=BB6_49 Depth=1
	s_bcnt1_i32_b64 s88, s[88:89]
	v_mov_b32_e32 v60, s88
	ds_add_u64 v0, v[60:61]
	s_trap 2
.LBB6_100:                              ;   in Loop: Header=BB6_49 Depth=1
	s_or_b64 exec, exec, s[78:79]
	s_trap 2
	ds_read_b64 v[1:2], v0
	s_waitcnt lgkmcnt(0)
	buffer_load_dword v3, off, s[0:3], s33 offset:76 ; 4-byte Folded Reload
	buffer_load_dword v4, off, s[0:3], s33 offset:80 ; 4-byte Folded Reload
	;; [unrolled: 1-line block ×3, first 2 shown]
	s_waitcnt vmcnt(0)
	v_add_co_u32_e32 v3, vcc, v3, v5
	v_addc_co_u32_e32 v4, vcc, 0, v4, vcc
	buffer_store_dword v3, off, s[0:3], s33 offset:76 ; 4-byte Folded Spill
	s_nop 0
	buffer_store_dword v4, off, s[0:3], s33 offset:80 ; 4-byte Folded Spill
	v_cmp_lt_u64_e32 vcc, v[1:2], v[3:4]
	s_and_saveexec_b64 s[78:79], vcc
	s_cbranch_execz .LBB6_109
; %bb.101:                              ;   in Loop: Header=BB6_49 Depth=1
	s_mov_b32 s34, 0
	s_mov_b64 s[88:89], 0
                                        ; implicit-def: $sgpr90_sgpr91
                                        ; implicit-def: $sgpr92_sgpr93
	s_branch .LBB6_103
.LBB6_102:                              ;   in Loop: Header=BB6_103 Depth=2
	s_or_b64 exec, exec, s[30:31]
	s_and_b64 s[94:95], exec, vcc
	s_or_b64 s[88:89], s[94:95], s[88:89]
	s_andn2_b64 s[90:91], s[90:91], exec
	s_and_b64 s[94:95], s[92:93], exec
	s_or_b64 s[90:91], s[90:91], s[94:95]
	s_andn2_b64 exec, exec, s[88:89]
	s_cbranch_execz .LBB6_107
.LBB6_103:                              ;   Parent Loop BB6_49 Depth=1
                                        ; =>  This Inner Loop Header: Depth=2
	s_add_i32 s34, s34, 1
	s_cmpk_lg_i32 s34, 0x2710
	s_cselect_b64 s[94:95], -1, 0
	s_and_b64 vcc, exec, s[94:95]
	s_cbranch_vccz .LBB6_105
; %bb.104:                              ;   in Loop: Header=BB6_103 Depth=2
	s_mov_b64 vcc, -1
	s_or_b64 s[92:93], s[92:93], exec
	s_and_saveexec_b64 s[30:31], s[94:95]
	s_cbranch_execz .LBB6_102
	s_branch .LBB6_106
.LBB6_105:                              ;   in Loop: Header=BB6_103 Depth=2
	s_trap 2
	ds_read_b64 v[1:2], v0
	s_andn2_b64 s[94:95], s[94:95], exec
	s_mov_b32 s34, 0
	s_waitcnt vmcnt(0) lgkmcnt(0)
	flat_load_dword v1, v[1:2] glc
	s_waitcnt vmcnt(0) lgkmcnt(0)
	buffer_wbinvl1_vol
	v_cmp_eq_u32_e32 vcc, 0, v1
	s_and_b64 vcc, vcc, exec
	s_or_b64 s[94:95], s[94:95], vcc
	s_mov_b64 vcc, -1
	s_or_b64 s[92:93], s[92:93], exec
	s_and_saveexec_b64 s[30:31], s[94:95]
	s_cbranch_execz .LBB6_102
.LBB6_106:                              ;   in Loop: Header=BB6_103 Depth=2
	s_sleep 1
	s_trap 2
	ds_read_b64 v[1:2], v0
	s_waitcnt lgkmcnt(0)
	buffer_load_dword v3, off, s[0:3], s33 offset:76 ; 4-byte Folded Reload
	buffer_load_dword v4, off, s[0:3], s33 offset:80 ; 4-byte Folded Reload
	s_andn2_b64 s[92:93], s[92:93], exec
	s_waitcnt vmcnt(0)
	v_cmp_ge_u64_e32 vcc, v[1:2], v[3:4]
	s_orn2_b64 vcc, vcc, exec
	s_branch .LBB6_102
.LBB6_107:                              ;   in Loop: Header=BB6_49 Depth=1
	s_or_b64 exec, exec, s[88:89]
	s_and_saveexec_b64 s[88:89], s[90:91]
	s_xor_b64 s[88:89], exec, s[88:89]
	s_cbranch_execz .LBB6_109
; %bb.108:                              ;   in Loop: Header=BB6_49 Depth=1
	ds_write_b32 v0, v54
	s_trap 2
.LBB6_109:                              ;   in Loop: Header=BB6_49 Depth=1
	s_or_b64 exec, exec, s[78:79]
	;;#ASMSTART
	s_wakeup
	;;#ASMEND
.LBB6_110:                              ;   in Loop: Header=BB6_49 Depth=1
	s_or_b64 exec, exec, s[76:77]
.LBB6_111:                              ;   in Loop: Header=BB6_49 Depth=1
	s_andn2_saveexec_b64 s[22:23], s[22:23]
	s_cbranch_execz .LBB6_113
; %bb.112:                              ;   in Loop: Header=BB6_49 Depth=1
	s_waitcnt vmcnt(0) lgkmcnt(0)
	buffer_wbinvl1_vol
	s_barrier
.LBB6_113:                              ;   in Loop: Header=BB6_49 Depth=1
	s_or_b64 exec, exec, s[22:23]
.LBB6_114:                              ;   in Loop: Header=BB6_49 Depth=1
	s_or_b64 exec, exec, s[20:21]
	s_trap 2
	s_waitcnt lgkmcnt(0)
	ds_read_b64 v[58:59], v0
	s_waitcnt lgkmcnt(0)
	v_cmp_eq_u64_e32 vcc, 0, v[58:59]
	s_cbranch_vccnz .LBB6_122
; %bb.115:                              ;   in Loop: Header=BB6_49 Depth=1
	s_trap 2
	ds_read_b64 v[44:45], v0
	s_waitcnt lgkmcnt(0)
	v_cmp_eq_u64_e32 vcc, 0, v[44:45]
	s_cbranch_vccnz .LBB6_122
; %bb.116:                              ;   in Loop: Header=BB6_49 Depth=1
	s_mov_b64 s[22:23], -1
	s_and_saveexec_b64 s[20:21], s[14:15]
	s_cbranch_execz .LBB6_118
; %bb.117:                              ;   in Loop: Header=BB6_49 Depth=1
	ds_read_b32 v1, v0 offset:720
	s_waitcnt lgkmcnt(0)
	v_and_b32_e32 v1, 15, v1
	v_cmp_eq_u32_e32 vcc, 0, v1
	s_orn2_b64 s[22:23], vcc, exec
.LBB6_118:                              ;   in Loop: Header=BB6_49 Depth=1
	s_or_b64 exec, exec, s[20:21]
	s_and_saveexec_b64 s[20:21], s[16:17]
	s_cbranch_execz .LBB6_120
; %bb.119:                              ;   in Loop: Header=BB6_49 Depth=1
	ds_read_b32 v1, v0 offset:784
	s_waitcnt lgkmcnt(0)
	v_and_b32_e32 v1, 15, v1
	v_cmp_eq_u32_e32 vcc, 0, v1
	s_and_b64 s[76:77], s[22:23], vcc
	s_andn2_b64 s[22:23], s[22:23], exec
	s_and_b64 s[76:77], s[76:77], exec
	s_or_b64 s[22:23], s[22:23], s[76:77]
.LBB6_120:                              ;   in Loop: Header=BB6_49 Depth=1
	s_or_b64 exec, exec, s[20:21]
	buffer_store_dword v21, off, s[0:3], s33 offset:244 ; 4-byte Folded Spill
	s_nop 0
	buffer_store_dword v22, off, s[0:3], s33 offset:248 ; 4-byte Folded Spill
	buffer_store_dword v23, off, s[0:3], s33 offset:252 ; 4-byte Folded Spill
	;; [unrolled: 1-line block ×4, first 2 shown]
	buffer_load_dword v2, off, s[0:3], s33 offset:240 ; 4-byte Folded Reload
	v_cmp_eq_u32_e32 vcc, 0, v0
	s_xor_b64 s[22:23], s[22:23], -1
	v_cndmask_b32_e32 v50, 0, v49, vcc
	v_cndmask_b32_e64 v0, 0, 1, s[22:23]
	s_mov_b64 s[20:21], -1
	v_cmp_ne_u32_e32 vcc, 0, v0
	v_mov_b32_e32 v7, 0
	v_mov_b32_e32 v3, v50
	;; [unrolled: 1-line block ×3, first 2 shown]
	s_cbranch_vccz .LBB6_123
; %bb.121:                              ;   in Loop: Header=BB6_49 Depth=1
	s_and_saveexec_b64 s[22:23], s[20:21]
	s_cbranch_execnz .LBB6_2376
	s_branch .LBB6_3440
.LBB6_122:                              ;   in Loop: Header=BB6_49 Depth=1
	s_mov_b64 s[20:21], 0
	s_and_saveexec_b64 s[22:23], s[10:11]
	s_cbranch_execnz .LBB6_3441
	s_branch .LBB6_3459
.LBB6_123:                              ;   in Loop: Header=BB6_49 Depth=1
	v_lshrrev_b32_e32 v0, 12, v50
	v_sub_u32_e32 v57, v0, v38
	v_cmp_lt_i32_e32 vcc, 0, v57
	s_and_saveexec_b64 s[22:23], vcc
	s_cbranch_execz .LBB6_1919
; %bb.124:                              ;   in Loop: Header=BB6_49 Depth=1
	buffer_store_dword v50, off, s[0:3], s33 offset:312 ; 4-byte Folded Spill
	buffer_store_dword v49, off, s[0:3], s33 offset:304 ; 4-byte Folded Spill
	s_nop 0
	buffer_store_dword v50, off, s[0:3], s33 offset:308 ; 4-byte Folded Spill
	buffer_store_dword v43, off, s[0:3], s33 offset:296 ; 4-byte Folded Spill
	s_nop 0
	;; [unrolled: 3-line block ×3, first 2 shown]
	buffer_store_dword v53, off, s[0:3], s33 offset:292 ; 4-byte Folded Spill
	s_trap 2
	buffer_load_dword v4, off, s[0:3], s33 offset:364 ; 4-byte Folded Reload
	buffer_load_dword v5, off, s[0:3], s33 offset:368 ; 4-byte Folded Reload
	s_waitcnt vmcnt(9)
	ds_read_b64 v[2:3], v0
	s_mov_b64 s[76:77], 0
	s_waitcnt vmcnt(1)
	v_add_co_u32_e32 v0, vcc, v58, v4
	buffer_store_dword v58, off, s[0:3], s33 offset:356 ; 4-byte Folded Spill
	s_nop 0
	buffer_store_dword v59, off, s[0:3], s33 offset:360 ; 4-byte Folded Spill
	s_waitcnt vmcnt(2)
	v_addc_co_u32_e32 v1, vcc, v59, v5, vcc
	s_waitcnt lgkmcnt(0)
	v_add_co_u32_e32 v52, vcc, v2, v4
	v_addc_co_u32_e32 v53, vcc, v3, v5, vcc
	v_add_co_u32_e32 v58, vcc, v44, v4
	buffer_store_dword v44, off, s[0:3], s33 offset:348 ; 4-byte Folded Spill
	s_nop 0
	buffer_store_dword v45, off, s[0:3], s33 offset:352 ; 4-byte Folded Spill
	v_addc_co_u32_e32 v59, vcc, v45, v5, vcc
	s_branch .LBB6_126
.LBB6_125:                              ;   in Loop: Header=BB6_126 Depth=2
	s_or_b64 exec, exec, s[20:21]
	v_lshl_or_b32 v6, v7, 8, v6
	v_lshlrev_b32_e32 v7, 24, v9
	v_lshlrev_b32_e32 v8, 16, v8
	v_lshl_or_b32 v12, v34, 8, v31
	v_or3_b32 v34, v6, v8, v7
	buffer_load_dword v6, off, s[0:3], s33 offset:184 ; 4-byte Folded Reload
	buffer_load_dword v7, off, s[0:3], s33 offset:188 ; 4-byte Folded Reload
	v_lshl_or_b32 v11, v45, 8, v44
	v_lshlrev_b32_e32 v13, 16, v26
	v_lshlrev_b32_e32 v15, 24, v27
	;; [unrolled: 1-line block ×4, first 2 shown]
	v_or3_b32 v32, v11, v13, v15
	v_or3_b32 v31, v12, v16, v17
	v_lshl_or_b32 v11, v50, 8, v28
	v_lshlrev_b32_e32 v12, 16, v51
	v_lshlrev_b32_e32 v13, 24, v55
	;; [unrolled: 1-line block ×3, first 2 shown]
	v_or3_b32 v33, v11, v12, v13
	v_lshlrev_b32_e32 v4, 16, v4
	v_lshlrev_b32_e32 v5, 24, v5
	;; [unrolled: 1-line block ×4, first 2 shown]
	s_waitcnt vmcnt(0)
	v_lshl_or_b32 v6, v7, 8, v6
	buffer_load_dword v7, off, s[0:3], s33 offset:192 ; 4-byte Folded Reload
	buffer_load_dword v9, off, s[0:3], s33 offset:152 ; 4-byte Folded Reload
	;; [unrolled: 1-line block ×3, first 2 shown]
	s_waitcnt vmcnt(2)
	v_lshlrev_b32_e32 v7, 16, v7
	v_or3_b32 v7, v6, v7, v8
	buffer_load_dword v6, off, s[0:3], s33 offset:176 ; 4-byte Folded Reload
	buffer_load_dword v8, off, s[0:3], s33 offset:180 ; 4-byte Folded Reload
	s_waitcnt vmcnt(2)
	v_lshl_or_b32 v9, v11, 8, v9
	s_waitcnt vmcnt(1)
	v_lshlrev_b32_e32 v6, 16, v6
	s_waitcnt vmcnt(0)
	v_lshlrev_b32_e32 v8, 24, v8
	v_or3_b32 v6, v9, v6, v8
	buffer_load_dword v8, off, s[0:3], s33 offset:196 ; 4-byte Folded Reload
	v_lshl_or_b32 v9, v38, 8, v42
	s_waitcnt vmcnt(0)
	v_lshl_or_b32 v8, v37, 8, v8
	v_or3_b32 v8, v8, v4, v5
	v_lshlrev_b32_e32 v4, 24, v29
	v_lshlrev_b32_e32 v5, 16, v30
	v_or3_b32 v9, v9, v5, v4
	buffer_load_dword v4, off, s[0:3], s33 offset:104 ; 4-byte Folded Reload
	buffer_load_dword v5, off, s[0:3], s33 offset:108 ; 4-byte Folded Reload
	buffer_load_dword v11, off, s[0:3], s33 offset:116 ; 4-byte Folded Reload
	s_waitcnt vmcnt(1)
	v_lshl_or_b32 v4, v5, 8, v4
	buffer_load_dword v5, off, s[0:3], s33 offset:112 ; 4-byte Folded Reload
	s_waitcnt vmcnt(1)
	v_lshlrev_b32_e32 v11, 24, v11
	s_waitcnt vmcnt(0)
	v_lshlrev_b32_e32 v5, 16, v5
	v_or3_b32 v27, v4, v5, v11
	buffer_load_dword v4, off, s[0:3], s33 offset:88 ; 4-byte Folded Reload
	buffer_load_dword v5, off, s[0:3], s33 offset:92 ; 4-byte Folded Reload
	buffer_load_dword v11, off, s[0:3], s33 offset:100 ; 4-byte Folded Reload
	s_waitcnt vmcnt(1)
	v_lshl_or_b32 v4, v5, 8, v4
	buffer_load_dword v5, off, s[0:3], s33 offset:96 ; 4-byte Folded Reload
	s_waitcnt vmcnt(1)
	v_lshlrev_b32_e32 v11, 24, v11
	s_waitcnt vmcnt(0)
	v_lshlrev_b32_e32 v5, 16, v5
	v_or3_b32 v26, v4, v5, v11
	buffer_load_dword v4, off, s[0:3], s33 offset:120 ; 4-byte Folded Reload
	buffer_load_dword v5, off, s[0:3], s33 offset:124 ; 4-byte Folded Reload
	buffer_load_dword v11, off, s[0:3], s33 offset:132 ; 4-byte Folded Reload
	s_waitcnt vmcnt(1)
	v_lshl_or_b32 v4, v5, 8, v4
	buffer_load_dword v5, off, s[0:3], s33 offset:128 ; 4-byte Folded Reload
	s_waitcnt vmcnt(1)
	v_lshlrev_b32_e32 v11, 24, v11
	s_waitcnt vmcnt(0)
	v_lshlrev_b32_e32 v5, 16, v5
	v_or3_b32 v28, v4, v5, v11
	buffer_load_dword v4, off, s[0:3], s33 offset:148 ; 4-byte Folded Reload
	buffer_load_dword v5, off, s[0:3], s33 offset:144 ; 4-byte Folded Reload
	;; [unrolled: 1-line block ×4, first 2 shown]
	s_waitcnt vmcnt(3)
	v_lshlrev_b32_e32 v4, 24, v4
	s_waitcnt vmcnt(2)
	v_lshlrev_b32_e32 v5, 16, v5
	s_waitcnt vmcnt(0)
	v_lshl_or_b32 v11, v12, 8, v11
	v_or3_b32 v29, v11, v5, v4
	v_lshl_or_b32 v4, v54, 8, v25
	v_lshlrev_b32_e32 v5, 16, v18
	v_lshlrev_b32_e32 v11, 24, v19
	v_or3_b32 v12, v4, v5, v11
	v_lshl_or_b32 v4, v22, 8, v21
	v_lshlrev_b32_e32 v5, 16, v23
	v_lshlrev_b32_e32 v11, 24, v24
	v_or3_b32 v11, v4, v5, v11
	v_lshl_or_b32 v4, v56, 8, v20
	v_or3_b32 v13, v4, v2, v3
	v_lshlrev_b32_e32 v2, 24, v10
	v_lshlrev_b32_e32 v3, 16, v14
	v_lshl_or_b32 v4, v40, 8, v48
	v_or3_b32 v14, v4, v3, v2
	global_store_dwordx4 v[58:59], v[26:29], off glc slc
	global_store_dwordx4 v[58:59], v[6:9], off offset:1024 glc slc
	global_store_dwordx4 v[58:59], v[31:34], off offset:2048 glc slc
	;; [unrolled: 1-line block ×3, first 2 shown]
	buffer_load_dword v2, off, s[0:3], s33 offset:232 ; 4-byte Folded Reload
	buffer_load_dword v3, off, s[0:3], s33 offset:84 ; 4-byte Folded Reload
	s_waitcnt vmcnt(1)
	v_add_co_u32_e32 v0, vcc, v0, v2
	v_addc_co_u32_e32 v1, vcc, 0, v1, vcc
	v_add_co_u32_e32 v52, vcc, v52, v2
	v_addc_co_u32_e32 v53, vcc, 0, v53, vcc
	s_waitcnt vmcnt(0)
	v_sub_u32_e32 v57, v57, v3
	v_cmp_gt_i32_e32 vcc, 1, v57
	s_or_b64 s[76:77], vcc, s[76:77]
	v_add_co_u32_e32 v58, vcc, v58, v2
	v_addc_co_u32_e32 v59, vcc, 0, v59, vcc
	s_andn2_b64 exec, exec, s[76:77]
	s_cbranch_execz .LBB6_1918
.LBB6_126:                              ;   Parent Loop BB6_49 Depth=1
                                        ; =>  This Inner Loop Header: Depth=2
	global_load_dwordx4 v[48:51], v[0:1], off glc slc
	global_load_dwordx4 v[32:35], v[0:1], off offset:1024 glc slc
	global_load_dwordx4 v[22:25], v[0:1], off offset:2048 glc slc
	;; [unrolled: 1-line block ×3, first 2 shown]
	global_load_dwordx4 v[36:39], v[52:53], off glc slc
	global_load_dwordx4 v[26:29], v[52:53], off offset:1024 glc slc
	global_load_dwordx4 v[18:21], v[52:53], off offset:2048 glc slc
	;; [unrolled: 1-line block ×3, first 2 shown]
	v_mov_b32_e32 v2, 0
	v_mov_b32_e32 v3, 0
	s_waitcnt vmcnt(7)
	v_cmp_ne_u16_sdwa s[78:79], v48, v61 src0_sel:BYTE_0 src1_sel:DWORD
	s_and_saveexec_b64 s[20:21], s[78:79]
	s_cbranch_execz .LBB6_132
; %bb.127:                              ;   in Loop: Header=BB6_126 Depth=2
	v_cmp_ne_u16_sdwa s[88:89], v48, s52 src0_sel:BYTE_0 src1_sel:DWORD
	v_bfrev_b32_e32 v3, 1
	s_and_saveexec_b64 s[78:79], s[88:89]
	s_cbranch_execz .LBB6_131
; %bb.128:                              ;   in Loop: Header=BB6_126 Depth=2
	v_and_b32_e32 v4, 0x7f, v48
	v_cmp_ne_u32_e32 vcc, s53, v4
	v_mov_b32_e32 v3, 0x7f800001
	s_and_saveexec_b64 s[88:89], vcc
	s_cbranch_execz .LBB6_130
; %bb.129:                              ;   in Loop: Header=BB6_126 Depth=2
	v_and_b32_e32 v3, 7, v48
	v_ffbh_u32_e32 v3, v3
	v_min_u32_e32 v3, 32, v3
	v_lshrrev_b32_e32 v5, 3, v4
	v_cmp_gt_u32_e32 vcc, 8, v4
	v_subrev_u32_e32 v4, 28, v3
	v_sub_u32_e32 v3, 29, v3
	v_cndmask_b32_e32 v5, v5, v3, vcc
	v_cndmask_b32_e32 v3, 0, v4, vcc
	v_lshlrev_b64 v[3:4], v3, v[48:49]
	v_lshlrev_b32_e32 v4, 24, v48
	v_lshlrev_b32_e32 v3, 20, v3
	v_and_b32_e32 v3, 0x700000, v3
	v_and_b32_e32 v4, 0x80000000, v4
	v_lshl_add_u32 v5, v5, 23, v62
	v_or3_b32 v3, v4, v5, v3
.LBB6_130:                              ;   in Loop: Header=BB6_126 Depth=2
	s_or_b64 exec, exec, s[88:89]
.LBB6_131:                              ;   in Loop: Header=BB6_126 Depth=2
	s_or_b64 exec, exec, s[78:79]
.LBB6_132:                              ;   in Loop: Header=BB6_126 Depth=2
	s_or_b64 exec, exec, s[20:21]
	s_waitcnt vmcnt(3)
	v_cmp_ne_u16_sdwa s[78:79], v36, v61 src0_sel:BYTE_0 src1_sel:DWORD
	s_and_saveexec_b64 s[20:21], s[78:79]
	s_cbranch_execz .LBB6_138
; %bb.133:                              ;   in Loop: Header=BB6_126 Depth=2
	v_cmp_ne_u16_sdwa s[88:89], v36, s52 src0_sel:BYTE_0 src1_sel:DWORD
	v_bfrev_b32_e32 v2, 1
	s_and_saveexec_b64 s[78:79], s[88:89]
	s_cbranch_execz .LBB6_137
; %bb.134:                              ;   in Loop: Header=BB6_126 Depth=2
	v_and_b32_e32 v4, 0x7f, v36
	v_cmp_ne_u32_e32 vcc, s53, v4
	v_mov_b32_e32 v2, 0x7f800001
	s_and_saveexec_b64 s[88:89], vcc
	s_cbranch_execz .LBB6_136
; %bb.135:                              ;   in Loop: Header=BB6_126 Depth=2
	v_and_b32_e32 v2, 7, v36
	v_ffbh_u32_e32 v2, v2
	v_min_u32_e32 v2, 32, v2
	v_lshrrev_b32_e32 v5, 3, v4
	v_cmp_gt_u32_e32 vcc, 8, v4
	v_subrev_u32_e32 v4, 28, v2
	v_sub_u32_e32 v2, 29, v2
	v_cndmask_b32_e32 v4, 0, v4, vcc
	v_cndmask_b32_e32 v2, v5, v2, vcc
	v_lshlrev_b64 v[4:5], v4, v[36:37]
	v_lshlrev_b32_e32 v5, 24, v36
	v_lshlrev_b32_e32 v4, 20, v4
	v_and_b32_e32 v4, 0x700000, v4
	v_and_b32_e32 v5, 0x80000000, v5
	v_lshl_add_u32 v2, v2, 23, v62
	v_or3_b32 v2, v5, v2, v4
.LBB6_136:                              ;   in Loop: Header=BB6_126 Depth=2
	s_or_b64 exec, exec, s[88:89]
.LBB6_137:                              ;   in Loop: Header=BB6_126 Depth=2
	s_or_b64 exec, exec, s[78:79]
.LBB6_138:                              ;   in Loop: Header=BB6_126 Depth=2
	s_or_b64 exec, exec, s[20:21]
	v_add_f32_e32 v3, v3, v2
	v_and_b32_e32 v60, 0x7f800000, v3
	v_cmp_ne_u64_e32 vcc, s[56:57], v[60:61]
                                        ; implicit-def: $vgpr2
                                        ; kill: killed $vgpr2
	s_and_saveexec_b64 s[20:21], vcc
	s_xor_b64 s[78:79], exec, s[20:21]
	s_cbranch_execz .LBB6_152
; %bb.139:                              ;   in Loop: Header=BB6_126 Depth=2
	v_and_b32_e32 v60, 0x7fffffff, v3
	v_cmp_gt_u64_e32 vcc, s[58:59], v[60:61]
	v_and_b32_sdwa v2, v3, s52 dst_sel:DWORD dst_unused:UNUSED_PAD src0_sel:BYTE_3 src1_sel:DWORD
                                        ; implicit-def: $vgpr4
                                        ; kill: killed $vgpr4
	s_and_saveexec_b64 s[20:21], vcc
	s_xor_b64 s[88:89], exec, s[20:21]
	s_cbranch_execz .LBB6_149
; %bb.140:                              ;   in Loop: Header=BB6_126 Depth=2
	v_mov_b32_e32 v4, 0
	v_cmp_ne_u32_e32 vcc, 0, v3
	buffer_store_dword v4, off, s[0:3], s33 offset:88 ; 4-byte Folded Spill
	s_and_saveexec_b64 s[90:91], vcc
	s_cbranch_execz .LBB6_148
; %bb.141:                              ;   in Loop: Header=BB6_126 Depth=2
	v_and_b32_e32 v5, 0x7fffff, v3
	v_bfe_u32 v3, v3, 23, 8
	v_cmp_gt_u32_e64 s[20:21], s54, v3
	v_sub_u32_e32 v4, 0x79, v3
	v_cmp_eq_u32_e32 vcc, 0, v3
	v_cndmask_b32_e64 v4, 0, v4, s[20:21]
	v_mov_b32_e32 v7, 0x78
	v_or_b32_e32 v6, 0x800000, v5
	v_cndmask_b32_e32 v4, v4, v7, vcc
	v_cndmask_b32_e32 v60, v6, v5, vcc
	v_add_u32_e32 v5, 20, v4
	v_lshlrev_b64 v[5:6], v5, -1
	v_add_u32_e32 v7, 19, v4
	v_lshlrev_b64 v[7:8], v7, 1
	v_bfi_b32 v6, v6, 0, 0
	v_bfi_b32 v5, v5, 0, v60
	v_lshrrev_b64 v[42:43], v4, v[60:61]
	v_cmp_eq_u64_e64 s[20:21], v[5:6], v[7:8]
	v_mov_b32_e32 v30, v42
	v_mov_b32_e32 v31, v43
	s_and_saveexec_b64 s[92:93], s[20:21]
; %bb.142:                              ;   in Loop: Header=BB6_126 Depth=2
	v_bfe_u32 v5, v42, 20, 1
	v_add_co_u32_e64 v5, s[20:21], v42, v5
	v_add_co_u32_e64 v30, s[20:21], -1, v5
; %bb.143:                              ;   in Loop: Header=BB6_126 Depth=2
	s_or_b64 exec, exec, s[92:93]
	v_add_u32_e32 v3, 0xffffff81, v3
	v_mov_b32_e32 v5, 0xffffff82
	v_cndmask_b32_e32 v3, v3, v5, vcc
	v_lshrrev_b32_e32 v5, 23, v42
	v_add3_u32 v5, v4, v3, v5
	v_add_u32_e32 v4, 6, v5
	v_and_b32_e32 v3, 0xfffff, v30
	v_add_u32_e32 v60, v3, v42
	v_cmp_ne_u32_e32 vcc, 0, v4
                                        ; implicit-def: $vgpr42_vgpr43
                                        ; implicit-def: $vgpr3
	s_and_saveexec_b64 s[20:21], vcc
	s_xor_b64 s[20:21], exec, s[20:21]
; %bb.144:                              ;   in Loop: Header=BB6_126 Depth=2
	v_cmp_lt_u64_e32 vcc, s[60:61], v[60:61]
	v_add_u32_e32 v3, 7, v5
	v_cndmask_b32_e32 v3, v4, v3, vcc
	v_cndmask_b32_e64 v4, 0, 1, vcc
	v_lshrrev_b64 v[42:43], v4, v[60:61]
; %bb.145:                              ;   in Loop: Header=BB6_126 Depth=2
	s_andn2_saveexec_b64 s[20:21], s[20:21]
; %bb.146:                              ;   in Loop: Header=BB6_126 Depth=2
	v_mov_b32_e32 v42, v60
	v_bfe_u32 v3, v60, 23, 1
	v_mov_b32_e32 v43, v61
; %bb.147:                              ;   in Loop: Header=BB6_126 Depth=2
	s_or_b64 exec, exec, s[20:21]
	v_lshrrev_b64 v[4:5], 20, v[42:43]
	v_cmp_gt_i32_e32 vcc, 16, v3
	v_cndmask_b32_e32 v5, 0, v5, vcc
	v_cndmask_b32_e32 v4, 7, v4, vcc
	v_cmp_eq_u32_e32 vcc, 0, v3
	v_min_i32_e32 v3, 15, v3
	v_cmp_eq_u64_e64 s[20:21], 0, v[4:5]
	v_lshlrev_b32_e32 v3, 3, v3
	v_and_b32_e32 v3, 0xf8, v3
	v_and_or_b32 v3, v4, 7, v3
	s_and_b64 s[20:21], vcc, s[20:21]
	v_cndmask_b32_e64 v3, v3, 0, s[20:21]
	v_or_b32_e32 v2, v3, v2
	buffer_store_dword v2, off, s[0:3], s33 offset:88 ; 4-byte Folded Spill
.LBB6_148:                              ;   in Loop: Header=BB6_126 Depth=2
	s_or_b64 exec, exec, s[90:91]
                                        ; implicit-def: $vgpr2
.LBB6_149:                              ;   in Loop: Header=BB6_126 Depth=2
	s_andn2_saveexec_b64 s[20:21], s[88:89]
	s_cbranch_execz .LBB6_151
; %bb.150:                              ;   in Loop: Header=BB6_126 Depth=2
	v_or_b32_e32 v2, 0x7e, v2
	buffer_store_dword v2, off, s[0:3], s33 offset:88 ; 4-byte Folded Spill
.LBB6_151:                              ;   in Loop: Header=BB6_126 Depth=2
	s_or_b64 exec, exec, s[20:21]
                                        ; implicit-def: $vgpr3
.LBB6_152:                              ;   in Loop: Header=BB6_126 Depth=2
	s_andn2_saveexec_b64 s[20:21], s[78:79]
	s_cbranch_execz .LBB6_154
; %bb.153:                              ;   in Loop: Header=BB6_126 Depth=2
	v_or_b32_sdwa v2, v3, s53 dst_sel:DWORD dst_unused:UNUSED_PAD src0_sel:BYTE_3 src1_sel:DWORD
	buffer_store_dword v2, off, s[0:3], s33 offset:88 ; 4-byte Folded Spill
.LBB6_154:                              ;   in Loop: Header=BB6_126 Depth=2
	s_or_b64 exec, exec, s[20:21]
	v_lshrrev_b16_e32 v31, 8, v48
	v_cmp_ne_u16_e32 vcc, 0, v31
	v_mov_b32_e32 v2, 0
	v_mov_b32_e32 v3, 0
	s_and_saveexec_b64 s[20:21], vcc
	s_cbranch_execz .LBB6_160
; %bb.155:                              ;   in Loop: Header=BB6_126 Depth=2
	v_cmp_ne_u16_e32 vcc, s52, v31
	v_bfrev_b32_e32 v3, 1
	s_and_saveexec_b64 s[78:79], vcc
	s_cbranch_execz .LBB6_159
; %bb.156:                              ;   in Loop: Header=BB6_126 Depth=2
	v_and_b32_e32 v4, 0x7f, v31
	v_cmp_ne_u32_e32 vcc, s53, v4
	v_mov_b32_e32 v3, 0x7f800001
	s_and_saveexec_b64 s[88:89], vcc
	s_cbranch_execz .LBB6_158
; %bb.157:                              ;   in Loop: Header=BB6_126 Depth=2
	v_and_b32_e32 v5, 7, v31
	v_ffbh_u32_e32 v3, v5
	v_min_u32_e32 v7, 32, v3
	v_subrev_u32_e32 v3, 28, v7
	v_lshrrev_b32_e32 v6, 3, v4
	v_cmp_gt_u32_e32 vcc, 8, v4
	v_lshlrev_b64 v[3:4], v3, v[31:32]
	v_sub_u32_e32 v4, 29, v7
	v_and_b32_e32 v3, 7, v3
	v_cndmask_b32_e32 v4, v6, v4, vcc
	v_cndmask_b32_e32 v3, v5, v3, vcc
	v_lshlrev_b32_e32 v5, 16, v48
	v_lshlrev_b32_e32 v3, 20, v3
	v_and_b32_e32 v5, 0x80000000, v5
	v_lshl_add_u32 v4, v4, 23, v62
	v_or3_b32 v3, v5, v4, v3
.LBB6_158:                              ;   in Loop: Header=BB6_126 Depth=2
	s_or_b64 exec, exec, s[88:89]
.LBB6_159:                              ;   in Loop: Header=BB6_126 Depth=2
	s_or_b64 exec, exec, s[78:79]
.LBB6_160:                              ;   in Loop: Header=BB6_126 Depth=2
	s_or_b64 exec, exec, s[20:21]
	v_lshrrev_b16_e32 v31, 8, v36
	v_cmp_ne_u16_e32 vcc, 0, v31
	s_and_saveexec_b64 s[20:21], vcc
	s_cbranch_execz .LBB6_166
; %bb.161:                              ;   in Loop: Header=BB6_126 Depth=2
	v_cmp_ne_u16_e32 vcc, s52, v31
	v_bfrev_b32_e32 v2, 1
	s_and_saveexec_b64 s[78:79], vcc
	s_cbranch_execz .LBB6_165
; %bb.162:                              ;   in Loop: Header=BB6_126 Depth=2
	v_and_b32_e32 v4, 0x7f, v31
	v_cmp_ne_u32_e32 vcc, s53, v4
	v_mov_b32_e32 v2, 0x7f800001
	s_and_saveexec_b64 s[88:89], vcc
	s_cbranch_execz .LBB6_164
; %bb.163:                              ;   in Loop: Header=BB6_126 Depth=2
	v_and_b32_e32 v2, 7, v31
	v_lshrrev_b32_e32 v6, 3, v4
	v_cmp_gt_u32_e32 vcc, 8, v4
	v_ffbh_u32_e32 v4, v2
	v_min_u32_e32 v7, 32, v4
	v_subrev_u32_e32 v4, 28, v7
	v_lshlrev_b64 v[4:5], v4, v[31:32]
	v_sub_u32_e32 v5, 29, v7
	v_and_b32_e32 v4, 7, v4
	v_cndmask_b32_e32 v5, v6, v5, vcc
	v_cndmask_b32_e32 v2, v2, v4, vcc
	v_lshlrev_b32_e32 v4, 16, v36
	v_lshlrev_b32_e32 v2, 20, v2
	v_and_b32_e32 v4, 0x80000000, v4
	v_lshl_add_u32 v5, v5, 23, v62
	v_or3_b32 v2, v4, v5, v2
.LBB6_164:                              ;   in Loop: Header=BB6_126 Depth=2
	s_or_b64 exec, exec, s[88:89]
.LBB6_165:                              ;   in Loop: Header=BB6_126 Depth=2
	s_or_b64 exec, exec, s[78:79]
.LBB6_166:                              ;   in Loop: Header=BB6_126 Depth=2
	s_or_b64 exec, exec, s[20:21]
	v_add_f32_e32 v3, v3, v2
	v_and_b32_e32 v60, 0x7f800000, v3
	v_cmp_ne_u64_e32 vcc, s[56:57], v[60:61]
                                        ; implicit-def: $vgpr2
                                        ; kill: killed $vgpr2
	s_and_saveexec_b64 s[20:21], vcc
	s_xor_b64 s[78:79], exec, s[20:21]
	s_cbranch_execz .LBB6_180
; %bb.167:                              ;   in Loop: Header=BB6_126 Depth=2
	v_and_b32_e32 v60, 0x7fffffff, v3
	v_cmp_gt_u64_e32 vcc, s[58:59], v[60:61]
	v_and_b32_sdwa v2, v3, s52 dst_sel:DWORD dst_unused:UNUSED_PAD src0_sel:BYTE_3 src1_sel:DWORD
                                        ; implicit-def: $vgpr4
                                        ; kill: killed $vgpr4
	s_and_saveexec_b64 s[20:21], vcc
	s_xor_b64 s[88:89], exec, s[20:21]
	s_cbranch_execz .LBB6_177
; %bb.168:                              ;   in Loop: Header=BB6_126 Depth=2
	v_mov_b32_e32 v4, 0
	v_cmp_ne_u32_e32 vcc, 0, v3
	buffer_store_dword v4, off, s[0:3], s33 offset:92 ; 4-byte Folded Spill
	s_and_saveexec_b64 s[90:91], vcc
	s_cbranch_execz .LBB6_176
; %bb.169:                              ;   in Loop: Header=BB6_126 Depth=2
	v_and_b32_e32 v5, 0x7fffff, v3
	v_bfe_u32 v3, v3, 23, 8
	v_cmp_gt_u32_e64 s[20:21], s54, v3
	v_sub_u32_e32 v4, 0x79, v3
	v_cmp_eq_u32_e32 vcc, 0, v3
	v_cndmask_b32_e64 v4, 0, v4, s[20:21]
	v_mov_b32_e32 v7, 0x78
	v_or_b32_e32 v6, 0x800000, v5
	v_cndmask_b32_e32 v4, v4, v7, vcc
	v_cndmask_b32_e32 v60, v6, v5, vcc
	v_add_u32_e32 v5, 20, v4
	v_lshlrev_b64 v[5:6], v5, -1
	v_add_u32_e32 v7, 19, v4
	v_lshlrev_b64 v[7:8], v7, 1
	v_bfi_b32 v6, v6, 0, 0
	v_bfi_b32 v5, v5, 0, v60
	v_lshrrev_b64 v[42:43], v4, v[60:61]
	v_cmp_eq_u64_e64 s[20:21], v[5:6], v[7:8]
	v_mov_b32_e32 v30, v42
	v_mov_b32_e32 v31, v43
	s_and_saveexec_b64 s[92:93], s[20:21]
; %bb.170:                              ;   in Loop: Header=BB6_126 Depth=2
	v_bfe_u32 v5, v42, 20, 1
	v_add_co_u32_e64 v5, s[20:21], v42, v5
	v_add_co_u32_e64 v30, s[20:21], -1, v5
; %bb.171:                              ;   in Loop: Header=BB6_126 Depth=2
	s_or_b64 exec, exec, s[92:93]
	v_add_u32_e32 v3, 0xffffff81, v3
	v_mov_b32_e32 v5, 0xffffff82
	v_cndmask_b32_e32 v3, v3, v5, vcc
	v_lshrrev_b32_e32 v5, 23, v42
	v_add3_u32 v5, v4, v3, v5
	v_add_u32_e32 v4, 6, v5
	v_and_b32_e32 v3, 0xfffff, v30
	v_add_u32_e32 v60, v3, v42
	v_cmp_ne_u32_e32 vcc, 0, v4
                                        ; implicit-def: $vgpr42_vgpr43
                                        ; implicit-def: $vgpr3
	s_and_saveexec_b64 s[20:21], vcc
	s_xor_b64 s[20:21], exec, s[20:21]
; %bb.172:                              ;   in Loop: Header=BB6_126 Depth=2
	v_cmp_lt_u64_e32 vcc, s[60:61], v[60:61]
	v_add_u32_e32 v3, 7, v5
	v_cndmask_b32_e32 v3, v4, v3, vcc
	v_cndmask_b32_e64 v4, 0, 1, vcc
	v_lshrrev_b64 v[42:43], v4, v[60:61]
; %bb.173:                              ;   in Loop: Header=BB6_126 Depth=2
	s_andn2_saveexec_b64 s[20:21], s[20:21]
; %bb.174:                              ;   in Loop: Header=BB6_126 Depth=2
	v_mov_b32_e32 v42, v60
	v_bfe_u32 v3, v60, 23, 1
	v_mov_b32_e32 v43, v61
; %bb.175:                              ;   in Loop: Header=BB6_126 Depth=2
	s_or_b64 exec, exec, s[20:21]
	v_lshrrev_b64 v[4:5], 20, v[42:43]
	v_cmp_gt_i32_e32 vcc, 16, v3
	v_cndmask_b32_e32 v5, 0, v5, vcc
	v_cndmask_b32_e32 v4, 7, v4, vcc
	v_cmp_eq_u32_e32 vcc, 0, v3
	v_min_i32_e32 v3, 15, v3
	v_cmp_eq_u64_e64 s[20:21], 0, v[4:5]
	v_lshlrev_b32_e32 v3, 3, v3
	v_and_b32_e32 v3, 0xf8, v3
	v_and_or_b32 v3, v4, 7, v3
	s_and_b64 s[20:21], vcc, s[20:21]
	v_cndmask_b32_e64 v3, v3, 0, s[20:21]
	v_or_b32_e32 v2, v3, v2
	buffer_store_dword v2, off, s[0:3], s33 offset:92 ; 4-byte Folded Spill
.LBB6_176:                              ;   in Loop: Header=BB6_126 Depth=2
	s_or_b64 exec, exec, s[90:91]
                                        ; implicit-def: $vgpr2
.LBB6_177:                              ;   in Loop: Header=BB6_126 Depth=2
	s_andn2_saveexec_b64 s[20:21], s[88:89]
	s_cbranch_execz .LBB6_179
; %bb.178:                              ;   in Loop: Header=BB6_126 Depth=2
	v_or_b32_e32 v2, 0x7e, v2
	buffer_store_dword v2, off, s[0:3], s33 offset:92 ; 4-byte Folded Spill
.LBB6_179:                              ;   in Loop: Header=BB6_126 Depth=2
	s_or_b64 exec, exec, s[20:21]
                                        ; implicit-def: $vgpr3
.LBB6_180:                              ;   in Loop: Header=BB6_126 Depth=2
	s_andn2_saveexec_b64 s[20:21], s[78:79]
	s_cbranch_execz .LBB6_182
; %bb.181:                              ;   in Loop: Header=BB6_126 Depth=2
	v_or_b32_sdwa v2, v3, s53 dst_sel:DWORD dst_unused:UNUSED_PAD src0_sel:BYTE_3 src1_sel:DWORD
	buffer_store_dword v2, off, s[0:3], s33 offset:92 ; 4-byte Folded Spill
.LBB6_182:                              ;   in Loop: Header=BB6_126 Depth=2
	s_or_b64 exec, exec, s[20:21]
	v_lshrrev_b32_e32 v31, 16, v48
	v_cmp_ne_u16_sdwa s[78:79], v31, v61 src0_sel:BYTE_0 src1_sel:DWORD
	v_mov_b32_e32 v2, 0
	v_mov_b32_e32 v3, 0
	s_and_saveexec_b64 s[20:21], s[78:79]
	s_cbranch_execz .LBB6_188
; %bb.183:                              ;   in Loop: Header=BB6_126 Depth=2
	v_cmp_ne_u16_sdwa s[88:89], v31, s52 src0_sel:BYTE_0 src1_sel:DWORD
	v_bfrev_b32_e32 v3, 1
	s_and_saveexec_b64 s[78:79], s[88:89]
	s_cbranch_execz .LBB6_187
; %bb.184:                              ;   in Loop: Header=BB6_126 Depth=2
	v_bfe_u32 v4, v48, 16, 7
	v_cmp_ne_u32_e32 vcc, s53, v4
	v_mov_b32_e32 v3, 0x7f800001
	s_and_saveexec_b64 s[88:89], vcc
	s_cbranch_execz .LBB6_186
; %bb.185:                              ;   in Loop: Header=BB6_126 Depth=2
	v_and_b32_e32 v5, 7, v31
	v_ffbh_u32_e32 v3, v5
	v_min_u32_e32 v7, 32, v3
	v_subrev_u32_e32 v3, 28, v7
	v_lshrrev_b32_e32 v6, 3, v4
	v_cmp_gt_u32_e32 vcc, 8, v4
	v_lshlrev_b64 v[3:4], v3, v[31:32]
	v_sub_u32_e32 v4, 29, v7
	v_and_b32_e32 v3, 7, v3
	v_cndmask_b32_e32 v4, v6, v4, vcc
	v_cndmask_b32_e32 v3, v5, v3, vcc
	v_lshlrev_b32_e32 v5, 24, v31
	v_lshlrev_b32_e32 v3, 20, v3
	v_and_b32_e32 v5, 0x80000000, v5
	v_lshl_add_u32 v4, v4, 23, v62
	v_or3_b32 v3, v5, v4, v3
.LBB6_186:                              ;   in Loop: Header=BB6_126 Depth=2
	s_or_b64 exec, exec, s[88:89]
.LBB6_187:                              ;   in Loop: Header=BB6_126 Depth=2
	s_or_b64 exec, exec, s[78:79]
.LBB6_188:                              ;   in Loop: Header=BB6_126 Depth=2
	s_or_b64 exec, exec, s[20:21]
	v_lshrrev_b32_e32 v31, 16, v36
	v_cmp_ne_u16_sdwa s[78:79], v31, v61 src0_sel:BYTE_0 src1_sel:DWORD
	s_and_saveexec_b64 s[20:21], s[78:79]
	s_cbranch_execz .LBB6_194
; %bb.189:                              ;   in Loop: Header=BB6_126 Depth=2
	v_cmp_ne_u16_sdwa s[88:89], v31, s52 src0_sel:BYTE_0 src1_sel:DWORD
	v_bfrev_b32_e32 v2, 1
	s_and_saveexec_b64 s[78:79], s[88:89]
	s_cbranch_execz .LBB6_193
; %bb.190:                              ;   in Loop: Header=BB6_126 Depth=2
	v_bfe_u32 v4, v36, 16, 7
	v_cmp_ne_u32_e32 vcc, s53, v4
	v_mov_b32_e32 v2, 0x7f800001
	s_and_saveexec_b64 s[88:89], vcc
	s_cbranch_execz .LBB6_192
; %bb.191:                              ;   in Loop: Header=BB6_126 Depth=2
	v_and_b32_e32 v2, 7, v31
	v_lshrrev_b32_e32 v6, 3, v4
	v_cmp_gt_u32_e32 vcc, 8, v4
	v_ffbh_u32_e32 v4, v2
	v_min_u32_e32 v7, 32, v4
	v_subrev_u32_e32 v4, 28, v7
	v_lshlrev_b64 v[4:5], v4, v[31:32]
	v_sub_u32_e32 v5, 29, v7
	v_and_b32_e32 v4, 7, v4
	v_cndmask_b32_e32 v5, v6, v5, vcc
	v_cndmask_b32_e32 v2, v2, v4, vcc
	v_lshlrev_b32_e32 v4, 8, v36
	v_lshlrev_b32_e32 v2, 20, v2
	v_and_b32_e32 v4, 0x80000000, v4
	v_lshl_add_u32 v5, v5, 23, v62
	v_or3_b32 v2, v4, v5, v2
.LBB6_192:                              ;   in Loop: Header=BB6_126 Depth=2
	s_or_b64 exec, exec, s[88:89]
.LBB6_193:                              ;   in Loop: Header=BB6_126 Depth=2
	s_or_b64 exec, exec, s[78:79]
.LBB6_194:                              ;   in Loop: Header=BB6_126 Depth=2
	s_or_b64 exec, exec, s[20:21]
	v_add_f32_e32 v3, v3, v2
	v_and_b32_e32 v60, 0x7f800000, v3
	v_cmp_ne_u64_e32 vcc, s[56:57], v[60:61]
                                        ; implicit-def: $vgpr2
                                        ; kill: killed $vgpr2
	s_and_saveexec_b64 s[20:21], vcc
	s_xor_b64 s[78:79], exec, s[20:21]
	s_cbranch_execz .LBB6_208
; %bb.195:                              ;   in Loop: Header=BB6_126 Depth=2
	v_and_b32_e32 v60, 0x7fffffff, v3
	v_cmp_gt_u64_e32 vcc, s[58:59], v[60:61]
	v_and_b32_sdwa v2, v3, s52 dst_sel:DWORD dst_unused:UNUSED_PAD src0_sel:BYTE_3 src1_sel:DWORD
                                        ; implicit-def: $vgpr4
                                        ; kill: killed $vgpr4
	s_and_saveexec_b64 s[20:21], vcc
	s_xor_b64 s[88:89], exec, s[20:21]
	s_cbranch_execz .LBB6_205
; %bb.196:                              ;   in Loop: Header=BB6_126 Depth=2
	v_mov_b32_e32 v4, 0
	v_cmp_ne_u32_e32 vcc, 0, v3
	buffer_store_dword v4, off, s[0:3], s33 offset:96 ; 4-byte Folded Spill
	s_and_saveexec_b64 s[90:91], vcc
	s_cbranch_execz .LBB6_204
; %bb.197:                              ;   in Loop: Header=BB6_126 Depth=2
	v_and_b32_e32 v5, 0x7fffff, v3
	v_bfe_u32 v3, v3, 23, 8
	v_cmp_gt_u32_e64 s[20:21], s54, v3
	v_sub_u32_e32 v4, 0x79, v3
	v_cmp_eq_u32_e32 vcc, 0, v3
	v_cndmask_b32_e64 v4, 0, v4, s[20:21]
	v_mov_b32_e32 v7, 0x78
	v_or_b32_e32 v6, 0x800000, v5
	v_cndmask_b32_e32 v4, v4, v7, vcc
	v_cndmask_b32_e32 v60, v6, v5, vcc
	v_add_u32_e32 v5, 20, v4
	v_lshlrev_b64 v[5:6], v5, -1
	v_add_u32_e32 v7, 19, v4
	v_lshlrev_b64 v[7:8], v7, 1
	v_bfi_b32 v6, v6, 0, 0
	v_bfi_b32 v5, v5, 0, v60
	v_lshrrev_b64 v[42:43], v4, v[60:61]
	v_cmp_eq_u64_e64 s[20:21], v[5:6], v[7:8]
	v_mov_b32_e32 v30, v42
	v_mov_b32_e32 v31, v43
	s_and_saveexec_b64 s[92:93], s[20:21]
; %bb.198:                              ;   in Loop: Header=BB6_126 Depth=2
	v_bfe_u32 v5, v42, 20, 1
	v_add_co_u32_e64 v5, s[20:21], v42, v5
	v_add_co_u32_e64 v30, s[20:21], -1, v5
; %bb.199:                              ;   in Loop: Header=BB6_126 Depth=2
	s_or_b64 exec, exec, s[92:93]
	v_add_u32_e32 v3, 0xffffff81, v3
	v_mov_b32_e32 v5, 0xffffff82
	v_cndmask_b32_e32 v3, v3, v5, vcc
	v_lshrrev_b32_e32 v5, 23, v42
	v_add3_u32 v5, v4, v3, v5
	v_add_u32_e32 v4, 6, v5
	v_and_b32_e32 v3, 0xfffff, v30
	v_add_u32_e32 v60, v3, v42
	v_cmp_ne_u32_e32 vcc, 0, v4
                                        ; implicit-def: $vgpr42_vgpr43
                                        ; implicit-def: $vgpr3
	s_and_saveexec_b64 s[20:21], vcc
	s_xor_b64 s[20:21], exec, s[20:21]
; %bb.200:                              ;   in Loop: Header=BB6_126 Depth=2
	v_cmp_lt_u64_e32 vcc, s[60:61], v[60:61]
	v_add_u32_e32 v3, 7, v5
	v_cndmask_b32_e32 v3, v4, v3, vcc
	v_cndmask_b32_e64 v4, 0, 1, vcc
	v_lshrrev_b64 v[42:43], v4, v[60:61]
; %bb.201:                              ;   in Loop: Header=BB6_126 Depth=2
	s_andn2_saveexec_b64 s[20:21], s[20:21]
; %bb.202:                              ;   in Loop: Header=BB6_126 Depth=2
	v_mov_b32_e32 v42, v60
	v_bfe_u32 v3, v60, 23, 1
	v_mov_b32_e32 v43, v61
; %bb.203:                              ;   in Loop: Header=BB6_126 Depth=2
	s_or_b64 exec, exec, s[20:21]
	v_lshrrev_b64 v[4:5], 20, v[42:43]
	v_cmp_gt_i32_e32 vcc, 16, v3
	v_cndmask_b32_e32 v5, 0, v5, vcc
	v_cndmask_b32_e32 v4, 7, v4, vcc
	v_cmp_eq_u32_e32 vcc, 0, v3
	v_min_i32_e32 v3, 15, v3
	v_cmp_eq_u64_e64 s[20:21], 0, v[4:5]
	v_lshlrev_b32_e32 v3, 3, v3
	v_and_b32_e32 v3, 0xf8, v3
	v_and_or_b32 v3, v4, 7, v3
	s_and_b64 s[20:21], vcc, s[20:21]
	v_cndmask_b32_e64 v3, v3, 0, s[20:21]
	v_or_b32_e32 v2, v3, v2
	buffer_store_dword v2, off, s[0:3], s33 offset:96 ; 4-byte Folded Spill
.LBB6_204:                              ;   in Loop: Header=BB6_126 Depth=2
	s_or_b64 exec, exec, s[90:91]
                                        ; implicit-def: $vgpr2
.LBB6_205:                              ;   in Loop: Header=BB6_126 Depth=2
	s_andn2_saveexec_b64 s[20:21], s[88:89]
	s_cbranch_execz .LBB6_207
; %bb.206:                              ;   in Loop: Header=BB6_126 Depth=2
	v_or_b32_e32 v2, 0x7e, v2
	buffer_store_dword v2, off, s[0:3], s33 offset:96 ; 4-byte Folded Spill
.LBB6_207:                              ;   in Loop: Header=BB6_126 Depth=2
	s_or_b64 exec, exec, s[20:21]
                                        ; implicit-def: $vgpr3
.LBB6_208:                              ;   in Loop: Header=BB6_126 Depth=2
	s_andn2_saveexec_b64 s[20:21], s[78:79]
	s_cbranch_execz .LBB6_210
; %bb.209:                              ;   in Loop: Header=BB6_126 Depth=2
	v_or_b32_sdwa v2, v3, s53 dst_sel:DWORD dst_unused:UNUSED_PAD src0_sel:BYTE_3 src1_sel:DWORD
	buffer_store_dword v2, off, s[0:3], s33 offset:96 ; 4-byte Folded Spill
.LBB6_210:                              ;   in Loop: Header=BB6_126 Depth=2
	s_or_b64 exec, exec, s[20:21]
	v_cmp_lt_u32_e32 vcc, s63, v48
	v_mov_b32_e32 v2, 0
	v_mov_b32_e32 v3, 0
	s_and_saveexec_b64 s[20:21], vcc
	s_cbranch_execz .LBB6_216
; %bb.211:                              ;   in Loop: Header=BB6_126 Depth=2
	v_lshrrev_b32_e32 v31, 24, v48
	v_cmp_ne_u32_e32 vcc, s52, v31
	v_bfrev_b32_e32 v3, 1
	s_and_saveexec_b64 s[78:79], vcc
	s_cbranch_execz .LBB6_215
; %bb.212:                              ;   in Loop: Header=BB6_126 Depth=2
	v_bfe_u32 v4, v48, 24, 7
	v_cmp_ne_u32_e32 vcc, s53, v4
	v_mov_b32_e32 v3, 0x7f800001
	s_and_saveexec_b64 s[88:89], vcc
	s_cbranch_execz .LBB6_214
; %bb.213:                              ;   in Loop: Header=BB6_126 Depth=2
	v_and_b32_e32 v5, 7, v31
	v_ffbh_u32_e32 v3, v5
	v_min_u32_e32 v7, 32, v3
	v_subrev_u32_e32 v3, 28, v7
	v_lshrrev_b32_e32 v6, 3, v4
	v_cmp_gt_u32_e32 vcc, 8, v4
	v_lshlrev_b64 v[3:4], v3, v[31:32]
	v_sub_u32_e32 v4, 29, v7
	v_and_b32_e32 v3, 7, v3
	v_cndmask_b32_e32 v4, v6, v4, vcc
	v_cndmask_b32_e32 v3, v5, v3, vcc
	v_lshlrev_b32_e32 v5, 24, v31
	v_lshlrev_b32_e32 v3, 20, v3
	v_and_b32_e32 v5, 0x80000000, v5
	v_lshl_add_u32 v4, v4, 23, v62
	v_or3_b32 v3, v5, v4, v3
.LBB6_214:                              ;   in Loop: Header=BB6_126 Depth=2
	s_or_b64 exec, exec, s[88:89]
.LBB6_215:                              ;   in Loop: Header=BB6_126 Depth=2
	s_or_b64 exec, exec, s[78:79]
.LBB6_216:                              ;   in Loop: Header=BB6_126 Depth=2
	s_or_b64 exec, exec, s[20:21]
	v_cmp_lt_u32_e32 vcc, s63, v36
	s_and_saveexec_b64 s[20:21], vcc
	s_cbranch_execz .LBB6_222
; %bb.217:                              ;   in Loop: Header=BB6_126 Depth=2
	v_lshrrev_b32_e32 v31, 24, v36
	v_cmp_ne_u32_e32 vcc, s52, v31
	v_bfrev_b32_e32 v2, 1
	s_and_saveexec_b64 s[78:79], vcc
	s_cbranch_execz .LBB6_221
; %bb.218:                              ;   in Loop: Header=BB6_126 Depth=2
	v_bfe_u32 v4, v36, 24, 7
	v_cmp_ne_u32_e32 vcc, s53, v4
	v_mov_b32_e32 v2, 0x7f800001
	s_and_saveexec_b64 s[88:89], vcc
	s_cbranch_execz .LBB6_220
; %bb.219:                              ;   in Loop: Header=BB6_126 Depth=2
	v_and_b32_e32 v2, 7, v31
	v_lshrrev_b32_e32 v6, 3, v4
	v_cmp_gt_u32_e32 vcc, 8, v4
	v_ffbh_u32_e32 v4, v2
	v_min_u32_e32 v7, 32, v4
	v_subrev_u32_e32 v4, 28, v7
	v_lshlrev_b64 v[4:5], v4, v[31:32]
	v_sub_u32_e32 v5, 29, v7
	v_and_b32_e32 v4, 7, v4
	v_cndmask_b32_e32 v5, v6, v5, vcc
	v_cndmask_b32_e32 v2, v2, v4, vcc
	v_lshlrev_b32_e32 v4, 24, v31
	v_lshlrev_b32_e32 v2, 20, v2
	v_and_b32_e32 v4, 0x80000000, v4
	v_lshl_add_u32 v5, v5, 23, v62
	v_or3_b32 v2, v4, v5, v2
.LBB6_220:                              ;   in Loop: Header=BB6_126 Depth=2
	s_or_b64 exec, exec, s[88:89]
.LBB6_221:                              ;   in Loop: Header=BB6_126 Depth=2
	s_or_b64 exec, exec, s[78:79]
.LBB6_222:                              ;   in Loop: Header=BB6_126 Depth=2
	s_or_b64 exec, exec, s[20:21]
	v_add_f32_e32 v3, v3, v2
	v_and_b32_e32 v60, 0x7f800000, v3
	v_cmp_ne_u64_e32 vcc, s[56:57], v[60:61]
                                        ; implicit-def: $vgpr2
                                        ; kill: killed $vgpr2
	s_and_saveexec_b64 s[20:21], vcc
	s_xor_b64 s[78:79], exec, s[20:21]
	s_cbranch_execz .LBB6_236
; %bb.223:                              ;   in Loop: Header=BB6_126 Depth=2
	v_and_b32_e32 v60, 0x7fffffff, v3
	v_cmp_gt_u64_e32 vcc, s[58:59], v[60:61]
	v_and_b32_sdwa v2, v3, s52 dst_sel:DWORD dst_unused:UNUSED_PAD src0_sel:BYTE_3 src1_sel:DWORD
                                        ; implicit-def: $vgpr4
                                        ; kill: killed $vgpr4
	s_and_saveexec_b64 s[20:21], vcc
	s_xor_b64 s[88:89], exec, s[20:21]
	s_cbranch_execz .LBB6_233
; %bb.224:                              ;   in Loop: Header=BB6_126 Depth=2
	v_mov_b32_e32 v4, 0
	v_cmp_ne_u32_e32 vcc, 0, v3
	buffer_store_dword v4, off, s[0:3], s33 offset:100 ; 4-byte Folded Spill
	s_and_saveexec_b64 s[90:91], vcc
	s_cbranch_execz .LBB6_232
; %bb.225:                              ;   in Loop: Header=BB6_126 Depth=2
	v_and_b32_e32 v5, 0x7fffff, v3
	v_bfe_u32 v3, v3, 23, 8
	v_cmp_gt_u32_e64 s[20:21], s54, v3
	v_sub_u32_e32 v4, 0x79, v3
	v_cmp_eq_u32_e32 vcc, 0, v3
	v_cndmask_b32_e64 v4, 0, v4, s[20:21]
	v_mov_b32_e32 v7, 0x78
	v_or_b32_e32 v6, 0x800000, v5
	v_cndmask_b32_e32 v4, v4, v7, vcc
	v_cndmask_b32_e32 v60, v6, v5, vcc
	v_add_u32_e32 v5, 20, v4
	v_lshlrev_b64 v[5:6], v5, -1
	v_add_u32_e32 v7, 19, v4
	v_lshlrev_b64 v[7:8], v7, 1
	v_bfi_b32 v6, v6, 0, 0
	v_bfi_b32 v5, v5, 0, v60
	v_lshrrev_b64 v[42:43], v4, v[60:61]
	v_cmp_eq_u64_e64 s[20:21], v[5:6], v[7:8]
	v_mov_b32_e32 v30, v42
	v_mov_b32_e32 v31, v43
	s_and_saveexec_b64 s[92:93], s[20:21]
; %bb.226:                              ;   in Loop: Header=BB6_126 Depth=2
	v_bfe_u32 v5, v42, 20, 1
	v_add_co_u32_e64 v5, s[20:21], v42, v5
	v_add_co_u32_e64 v30, s[20:21], -1, v5
; %bb.227:                              ;   in Loop: Header=BB6_126 Depth=2
	s_or_b64 exec, exec, s[92:93]
	v_add_u32_e32 v3, 0xffffff81, v3
	v_mov_b32_e32 v5, 0xffffff82
	v_cndmask_b32_e32 v3, v3, v5, vcc
	v_lshrrev_b32_e32 v5, 23, v42
	v_add3_u32 v5, v4, v3, v5
	v_add_u32_e32 v4, 6, v5
	v_and_b32_e32 v3, 0xfffff, v30
	v_add_u32_e32 v60, v3, v42
	v_cmp_ne_u32_e32 vcc, 0, v4
                                        ; implicit-def: $vgpr42_vgpr43
                                        ; implicit-def: $vgpr3
	s_and_saveexec_b64 s[20:21], vcc
	s_xor_b64 s[20:21], exec, s[20:21]
; %bb.228:                              ;   in Loop: Header=BB6_126 Depth=2
	v_cmp_lt_u64_e32 vcc, s[60:61], v[60:61]
	v_add_u32_e32 v3, 7, v5
	v_cndmask_b32_e32 v3, v4, v3, vcc
	v_cndmask_b32_e64 v4, 0, 1, vcc
	v_lshrrev_b64 v[42:43], v4, v[60:61]
; %bb.229:                              ;   in Loop: Header=BB6_126 Depth=2
	s_andn2_saveexec_b64 s[20:21], s[20:21]
; %bb.230:                              ;   in Loop: Header=BB6_126 Depth=2
	v_mov_b32_e32 v42, v60
	v_bfe_u32 v3, v60, 23, 1
	v_mov_b32_e32 v43, v61
; %bb.231:                              ;   in Loop: Header=BB6_126 Depth=2
	s_or_b64 exec, exec, s[20:21]
	v_lshrrev_b64 v[4:5], 20, v[42:43]
	v_cmp_gt_i32_e32 vcc, 16, v3
	v_cndmask_b32_e32 v5, 0, v5, vcc
	v_cndmask_b32_e32 v4, 7, v4, vcc
	v_cmp_eq_u32_e32 vcc, 0, v3
	v_min_i32_e32 v3, 15, v3
	v_cmp_eq_u64_e64 s[20:21], 0, v[4:5]
	v_lshlrev_b32_e32 v3, 3, v3
	v_and_b32_e32 v3, 0xf8, v3
	v_and_or_b32 v3, v4, 7, v3
	s_and_b64 s[20:21], vcc, s[20:21]
	v_cndmask_b32_e64 v3, v3, 0, s[20:21]
	v_or_b32_e32 v2, v3, v2
	buffer_store_dword v2, off, s[0:3], s33 offset:100 ; 4-byte Folded Spill
.LBB6_232:                              ;   in Loop: Header=BB6_126 Depth=2
	s_or_b64 exec, exec, s[90:91]
                                        ; implicit-def: $vgpr2
.LBB6_233:                              ;   in Loop: Header=BB6_126 Depth=2
	s_andn2_saveexec_b64 s[20:21], s[88:89]
	s_cbranch_execz .LBB6_235
; %bb.234:                              ;   in Loop: Header=BB6_126 Depth=2
	v_or_b32_e32 v2, 0x7e, v2
	buffer_store_dword v2, off, s[0:3], s33 offset:100 ; 4-byte Folded Spill
.LBB6_235:                              ;   in Loop: Header=BB6_126 Depth=2
	s_or_b64 exec, exec, s[20:21]
                                        ; implicit-def: $vgpr3
.LBB6_236:                              ;   in Loop: Header=BB6_126 Depth=2
	s_andn2_saveexec_b64 s[20:21], s[78:79]
	s_cbranch_execz .LBB6_238
; %bb.237:                              ;   in Loop: Header=BB6_126 Depth=2
	v_or_b32_sdwa v2, v3, s53 dst_sel:DWORD dst_unused:UNUSED_PAD src0_sel:BYTE_3 src1_sel:DWORD
	buffer_store_dword v2, off, s[0:3], s33 offset:100 ; 4-byte Folded Spill
.LBB6_238:                              ;   in Loop: Header=BB6_126 Depth=2
	s_or_b64 exec, exec, s[20:21]
	v_mov_b32_e32 v60, v49
	v_cmp_ne_u16_sdwa s[78:79], v49, v61 src0_sel:BYTE_0 src1_sel:DWORD
	v_mov_b32_e32 v3, 0
	v_mov_b32_e32 v2, 0
	s_and_saveexec_b64 s[20:21], s[78:79]
	s_cbranch_execz .LBB6_244
; %bb.239:                              ;   in Loop: Header=BB6_126 Depth=2
	v_cmp_ne_u16_sdwa s[88:89], v49, s52 src0_sel:BYTE_0 src1_sel:DWORD
	v_bfrev_b32_e32 v2, 1
	s_and_saveexec_b64 s[78:79], s[88:89]
	s_cbranch_execz .LBB6_243
; %bb.240:                              ;   in Loop: Header=BB6_126 Depth=2
	v_and_b32_e32 v4, 0x7f, v49
	v_cmp_ne_u32_e32 vcc, s53, v4
	v_mov_b32_e32 v2, 0x7f800001
	s_and_saveexec_b64 s[88:89], vcc
	s_cbranch_execz .LBB6_242
; %bb.241:                              ;   in Loop: Header=BB6_126 Depth=2
	v_and_b32_e32 v2, 7, v49
	v_ffbh_u32_e32 v2, v2
	v_min_u32_e32 v2, 32, v2
	v_lshrrev_b32_e32 v5, 3, v4
	v_cmp_gt_u32_e32 vcc, 8, v4
	v_subrev_u32_e32 v4, 28, v2
	v_sub_u32_e32 v2, 29, v2
	v_cndmask_b32_e32 v4, 0, v4, vcc
	v_cndmask_b32_e32 v2, v5, v2, vcc
	v_lshlrev_b64 v[4:5], v4, v[60:61]
	v_lshlrev_b32_e32 v5, 24, v60
	v_lshlrev_b32_e32 v4, 20, v4
	v_and_b32_e32 v4, 0x700000, v4
	v_and_b32_e32 v5, 0x80000000, v5
	v_lshl_add_u32 v2, v2, 23, v62
	v_or3_b32 v2, v5, v2, v4
.LBB6_242:                              ;   in Loop: Header=BB6_126 Depth=2
	s_or_b64 exec, exec, s[88:89]
.LBB6_243:                              ;   in Loop: Header=BB6_126 Depth=2
	s_or_b64 exec, exec, s[78:79]
.LBB6_244:                              ;   in Loop: Header=BB6_126 Depth=2
	s_or_b64 exec, exec, s[20:21]
	v_cmp_ne_u16_sdwa s[78:79], v37, v61 src0_sel:BYTE_0 src1_sel:DWORD
	s_and_saveexec_b64 s[20:21], s[78:79]
	s_cbranch_execz .LBB6_250
; %bb.245:                              ;   in Loop: Header=BB6_126 Depth=2
	v_cmp_ne_u16_sdwa s[88:89], v37, s52 src0_sel:BYTE_0 src1_sel:DWORD
	v_bfrev_b32_e32 v3, 1
	s_and_saveexec_b64 s[78:79], s[88:89]
	s_cbranch_execz .LBB6_249
; %bb.246:                              ;   in Loop: Header=BB6_126 Depth=2
	v_and_b32_e32 v4, 0x7f, v37
	v_cmp_ne_u32_e32 vcc, s53, v4
	v_mov_b32_e32 v3, 0x7f800001
	s_and_saveexec_b64 s[88:89], vcc
	s_cbranch_execz .LBB6_248
; %bb.247:                              ;   in Loop: Header=BB6_126 Depth=2
	v_and_b32_e32 v3, 7, v37
	v_ffbh_u32_e32 v3, v3
	v_min_u32_e32 v3, 32, v3
	v_lshrrev_b32_e32 v7, 3, v4
	v_cmp_gt_u32_e32 vcc, 8, v4
	v_subrev_u32_e32 v4, 28, v3
	v_sub_u32_e32 v3, 29, v3
	v_mov_b32_e32 v5, v37
	v_mov_b32_e32 v6, v61
	v_cndmask_b32_e32 v7, v7, v3, vcc
	v_cndmask_b32_e32 v3, 0, v4, vcc
	v_lshlrev_b64 v[3:4], v3, v[5:6]
	v_lshlrev_b32_e32 v4, 24, v5
	v_lshlrev_b32_e32 v3, 20, v3
	v_and_b32_e32 v3, 0x700000, v3
	v_and_b32_e32 v4, 0x80000000, v4
	v_lshl_add_u32 v5, v7, 23, v62
	v_or3_b32 v3, v4, v5, v3
.LBB6_248:                              ;   in Loop: Header=BB6_126 Depth=2
	s_or_b64 exec, exec, s[88:89]
.LBB6_249:                              ;   in Loop: Header=BB6_126 Depth=2
	s_or_b64 exec, exec, s[78:79]
.LBB6_250:                              ;   in Loop: Header=BB6_126 Depth=2
	s_or_b64 exec, exec, s[20:21]
	v_add_f32_e32 v3, v2, v3
	v_and_b32_e32 v4, 0x7f800000, v3
	v_mov_b32_e32 v5, v61
	v_cmp_ne_u64_e32 vcc, s[56:57], v[4:5]
                                        ; implicit-def: $vgpr2
                                        ; kill: killed $vgpr2
	s_and_saveexec_b64 s[20:21], vcc
	s_xor_b64 s[78:79], exec, s[20:21]
	s_cbranch_execz .LBB6_264
; %bb.251:                              ;   in Loop: Header=BB6_126 Depth=2
	v_and_b32_e32 v4, 0x7fffffff, v3
	v_mov_b32_e32 v5, v61
	v_cmp_gt_u64_e32 vcc, s[58:59], v[4:5]
	v_and_b32_sdwa v2, v3, s52 dst_sel:DWORD dst_unused:UNUSED_PAD src0_sel:BYTE_3 src1_sel:DWORD
                                        ; implicit-def: $vgpr4
                                        ; kill: killed $vgpr4
	s_and_saveexec_b64 s[20:21], vcc
	s_xor_b64 s[88:89], exec, s[20:21]
	s_cbranch_execz .LBB6_261
; %bb.252:                              ;   in Loop: Header=BB6_126 Depth=2
	v_mov_b32_e32 v4, 0
	v_cmp_ne_u32_e32 vcc, 0, v3
	buffer_store_dword v4, off, s[0:3], s33 offset:104 ; 4-byte Folded Spill
	s_and_saveexec_b64 s[90:91], vcc
	s_cbranch_execz .LBB6_260
; %bb.253:                              ;   in Loop: Header=BB6_126 Depth=2
	v_and_b32_e32 v5, 0x7fffff, v3
	v_bfe_u32 v3, v3, 23, 8
	v_cmp_gt_u32_e64 s[20:21], s54, v3
	v_sub_u32_e32 v4, 0x79, v3
	v_cmp_eq_u32_e32 vcc, 0, v3
	v_cndmask_b32_e64 v4, 0, v4, s[20:21]
	v_mov_b32_e32 v7, 0x78
	v_cndmask_b32_e32 v4, v4, v7, vcc
	v_add_u32_e32 v7, 20, v4
	v_or_b32_e32 v6, 0x800000, v5
	v_lshlrev_b64 v[7:8], v7, -1
	v_add_u32_e32 v9, 19, v4
	v_cndmask_b32_e32 v5, v6, v5, vcc
	v_mov_b32_e32 v6, v61
	v_lshlrev_b64 v[30:31], v9, 1
	v_bfi_b32 v8, v8, 0, 0
	v_bfi_b32 v7, v7, 0, v5
	v_lshrrev_b64 v[42:43], v4, v[5:6]
	v_cmp_eq_u64_e64 s[20:21], v[7:8], v[30:31]
	v_mov_b32_e32 v30, v42
	v_mov_b32_e32 v31, v43
	s_and_saveexec_b64 s[92:93], s[20:21]
; %bb.254:                              ;   in Loop: Header=BB6_126 Depth=2
	v_bfe_u32 v5, v42, 20, 1
	v_add_co_u32_e64 v5, s[20:21], v42, v5
	v_add_co_u32_e64 v30, s[20:21], -1, v5
; %bb.255:                              ;   in Loop: Header=BB6_126 Depth=2
	s_or_b64 exec, exec, s[92:93]
	v_add_u32_e32 v3, 0xffffff81, v3
	v_mov_b32_e32 v5, 0xffffff82
	v_cndmask_b32_e32 v3, v3, v5, vcc
	v_lshrrev_b32_e32 v5, 23, v42
	v_add3_u32 v5, v4, v3, v5
	v_add_u32_e32 v4, 6, v5
	v_and_b32_e32 v3, 0xfffff, v30
	v_add_u32_e32 v42, v3, v42
	v_mov_b32_e32 v43, v61
	v_cmp_ne_u32_e32 vcc, 0, v4
                                        ; implicit-def: $vgpr3
	s_and_saveexec_b64 s[20:21], vcc
	s_xor_b64 s[20:21], exec, s[20:21]
; %bb.256:                              ;   in Loop: Header=BB6_126 Depth=2
	v_cmp_lt_u64_e32 vcc, s[60:61], v[42:43]
	v_add_u32_e32 v3, 7, v5
	v_cndmask_b32_e32 v3, v4, v3, vcc
	v_cndmask_b32_e64 v4, 0, 1, vcc
	v_lshrrev_b64 v[42:43], v4, v[42:43]
; %bb.257:                              ;   in Loop: Header=BB6_126 Depth=2
	s_andn2_saveexec_b64 s[20:21], s[20:21]
; %bb.258:                              ;   in Loop: Header=BB6_126 Depth=2
	v_bfe_u32 v3, v42, 23, 1
; %bb.259:                              ;   in Loop: Header=BB6_126 Depth=2
	s_or_b64 exec, exec, s[20:21]
	v_lshrrev_b64 v[4:5], 20, v[42:43]
	v_cmp_gt_i32_e32 vcc, 16, v3
	v_cndmask_b32_e32 v5, 0, v5, vcc
	v_cndmask_b32_e32 v4, 7, v4, vcc
	v_cmp_eq_u32_e32 vcc, 0, v3
	v_min_i32_e32 v3, 15, v3
	v_cmp_eq_u64_e64 s[20:21], 0, v[4:5]
	v_lshlrev_b32_e32 v3, 3, v3
	v_and_b32_e32 v3, 0xf8, v3
	v_and_or_b32 v3, v4, 7, v3
	s_and_b64 s[20:21], vcc, s[20:21]
	v_cndmask_b32_e64 v3, v3, 0, s[20:21]
	v_or_b32_e32 v2, v3, v2
	buffer_store_dword v2, off, s[0:3], s33 offset:104 ; 4-byte Folded Spill
.LBB6_260:                              ;   in Loop: Header=BB6_126 Depth=2
	s_or_b64 exec, exec, s[90:91]
                                        ; implicit-def: $vgpr2
.LBB6_261:                              ;   in Loop: Header=BB6_126 Depth=2
	s_andn2_saveexec_b64 s[20:21], s[88:89]
	s_cbranch_execz .LBB6_263
; %bb.262:                              ;   in Loop: Header=BB6_126 Depth=2
	v_or_b32_e32 v2, 0x7e, v2
	buffer_store_dword v2, off, s[0:3], s33 offset:104 ; 4-byte Folded Spill
.LBB6_263:                              ;   in Loop: Header=BB6_126 Depth=2
	s_or_b64 exec, exec, s[20:21]
                                        ; implicit-def: $vgpr3
.LBB6_264:                              ;   in Loop: Header=BB6_126 Depth=2
	s_andn2_saveexec_b64 s[20:21], s[78:79]
	s_cbranch_execz .LBB6_266
; %bb.265:                              ;   in Loop: Header=BB6_126 Depth=2
	v_or_b32_sdwa v2, v3, s53 dst_sel:DWORD dst_unused:UNUSED_PAD src0_sel:BYTE_3 src1_sel:DWORD
	buffer_store_dword v2, off, s[0:3], s33 offset:104 ; 4-byte Folded Spill
.LBB6_266:                              ;   in Loop: Header=BB6_126 Depth=2
	s_or_b64 exec, exec, s[20:21]
	v_lshrrev_b16_e32 v31, 8, v60
	v_cmp_ne_u16_e32 vcc, 0, v31
	v_mov_b32_e32 v2, 0
	v_mov_b32_e32 v3, 0
	s_and_saveexec_b64 s[20:21], vcc
	s_cbranch_execz .LBB6_272
; %bb.267:                              ;   in Loop: Header=BB6_126 Depth=2
	v_cmp_ne_u16_e32 vcc, s52, v31
	v_bfrev_b32_e32 v3, 1
	s_and_saveexec_b64 s[78:79], vcc
	s_cbranch_execz .LBB6_271
; %bb.268:                              ;   in Loop: Header=BB6_126 Depth=2
	v_and_b32_e32 v4, 0x7f, v31
	v_cmp_ne_u32_e32 vcc, s53, v4
	v_mov_b32_e32 v3, 0x7f800001
	s_and_saveexec_b64 s[88:89], vcc
	s_cbranch_execz .LBB6_270
; %bb.269:                              ;   in Loop: Header=BB6_126 Depth=2
	v_and_b32_e32 v5, 7, v31
	v_ffbh_u32_e32 v3, v5
	v_min_u32_e32 v7, 32, v3
	v_subrev_u32_e32 v3, 28, v7
	v_lshrrev_b32_e32 v6, 3, v4
	v_cmp_gt_u32_e32 vcc, 8, v4
	v_lshlrev_b64 v[3:4], v3, v[31:32]
	v_sub_u32_e32 v4, 29, v7
	v_and_b32_e32 v3, 7, v3
	v_cndmask_b32_e32 v4, v6, v4, vcc
	v_cndmask_b32_e32 v3, v5, v3, vcc
	v_lshlrev_b32_e32 v5, 16, v60
	v_lshlrev_b32_e32 v3, 20, v3
	v_and_b32_e32 v5, 0x80000000, v5
	v_lshl_add_u32 v4, v4, 23, v62
	v_or3_b32 v3, v5, v4, v3
.LBB6_270:                              ;   in Loop: Header=BB6_126 Depth=2
	s_or_b64 exec, exec, s[88:89]
.LBB6_271:                              ;   in Loop: Header=BB6_126 Depth=2
	s_or_b64 exec, exec, s[78:79]
.LBB6_272:                              ;   in Loop: Header=BB6_126 Depth=2
	s_or_b64 exec, exec, s[20:21]
	v_lshrrev_b16_e32 v31, 8, v37
	v_cmp_ne_u16_e32 vcc, 0, v31
	s_and_saveexec_b64 s[20:21], vcc
	s_cbranch_execz .LBB6_278
; %bb.273:                              ;   in Loop: Header=BB6_126 Depth=2
	v_cmp_ne_u16_e32 vcc, s52, v31
	v_bfrev_b32_e32 v2, 1
	s_and_saveexec_b64 s[78:79], vcc
	s_cbranch_execz .LBB6_277
; %bb.274:                              ;   in Loop: Header=BB6_126 Depth=2
	v_and_b32_e32 v4, 0x7f, v31
	v_cmp_ne_u32_e32 vcc, s53, v4
	v_mov_b32_e32 v2, 0x7f800001
	s_and_saveexec_b64 s[88:89], vcc
	s_cbranch_execz .LBB6_276
; %bb.275:                              ;   in Loop: Header=BB6_126 Depth=2
	v_and_b32_e32 v2, 7, v31
	v_lshrrev_b32_e32 v6, 3, v4
	v_cmp_gt_u32_e32 vcc, 8, v4
	v_ffbh_u32_e32 v4, v2
	v_min_u32_e32 v7, 32, v4
	v_subrev_u32_e32 v4, 28, v7
	v_lshlrev_b64 v[4:5], v4, v[31:32]
	v_sub_u32_e32 v5, 29, v7
	v_and_b32_e32 v4, 7, v4
	v_cndmask_b32_e32 v5, v6, v5, vcc
	v_cndmask_b32_e32 v2, v2, v4, vcc
	v_lshlrev_b32_e32 v4, 16, v37
	v_lshlrev_b32_e32 v2, 20, v2
	v_and_b32_e32 v4, 0x80000000, v4
	v_lshl_add_u32 v5, v5, 23, v62
	v_or3_b32 v2, v4, v5, v2
.LBB6_276:                              ;   in Loop: Header=BB6_126 Depth=2
	s_or_b64 exec, exec, s[88:89]
.LBB6_277:                              ;   in Loop: Header=BB6_126 Depth=2
	s_or_b64 exec, exec, s[78:79]
.LBB6_278:                              ;   in Loop: Header=BB6_126 Depth=2
	s_or_b64 exec, exec, s[20:21]
	v_add_f32_e32 v3, v3, v2
	v_and_b32_e32 v60, 0x7f800000, v3
	v_cmp_ne_u64_e32 vcc, s[56:57], v[60:61]
                                        ; implicit-def: $vgpr2
                                        ; kill: killed $vgpr2
	s_and_saveexec_b64 s[20:21], vcc
	s_xor_b64 s[78:79], exec, s[20:21]
	s_cbranch_execz .LBB6_292
; %bb.279:                              ;   in Loop: Header=BB6_126 Depth=2
	v_and_b32_e32 v60, 0x7fffffff, v3
	v_cmp_gt_u64_e32 vcc, s[58:59], v[60:61]
	v_and_b32_sdwa v2, v3, s52 dst_sel:DWORD dst_unused:UNUSED_PAD src0_sel:BYTE_3 src1_sel:DWORD
                                        ; implicit-def: $vgpr4
                                        ; kill: killed $vgpr4
	s_and_saveexec_b64 s[20:21], vcc
	s_xor_b64 s[88:89], exec, s[20:21]
	s_cbranch_execz .LBB6_289
; %bb.280:                              ;   in Loop: Header=BB6_126 Depth=2
	v_mov_b32_e32 v4, 0
	v_cmp_ne_u32_e32 vcc, 0, v3
	buffer_store_dword v4, off, s[0:3], s33 offset:108 ; 4-byte Folded Spill
	s_and_saveexec_b64 s[90:91], vcc
	s_cbranch_execz .LBB6_288
; %bb.281:                              ;   in Loop: Header=BB6_126 Depth=2
	v_and_b32_e32 v5, 0x7fffff, v3
	v_bfe_u32 v3, v3, 23, 8
	v_cmp_gt_u32_e64 s[20:21], s54, v3
	v_sub_u32_e32 v4, 0x79, v3
	v_cmp_eq_u32_e32 vcc, 0, v3
	v_cndmask_b32_e64 v4, 0, v4, s[20:21]
	v_mov_b32_e32 v7, 0x78
	v_or_b32_e32 v6, 0x800000, v5
	v_cndmask_b32_e32 v4, v4, v7, vcc
	v_cndmask_b32_e32 v60, v6, v5, vcc
	v_add_u32_e32 v5, 20, v4
	v_lshlrev_b64 v[5:6], v5, -1
	v_add_u32_e32 v7, 19, v4
	v_lshlrev_b64 v[7:8], v7, 1
	v_bfi_b32 v6, v6, 0, 0
	v_bfi_b32 v5, v5, 0, v60
	v_lshrrev_b64 v[42:43], v4, v[60:61]
	v_cmp_eq_u64_e64 s[20:21], v[5:6], v[7:8]
	v_mov_b32_e32 v30, v42
	v_mov_b32_e32 v31, v43
	s_and_saveexec_b64 s[92:93], s[20:21]
; %bb.282:                              ;   in Loop: Header=BB6_126 Depth=2
	v_bfe_u32 v5, v42, 20, 1
	v_add_co_u32_e64 v5, s[20:21], v42, v5
	v_add_co_u32_e64 v30, s[20:21], -1, v5
; %bb.283:                              ;   in Loop: Header=BB6_126 Depth=2
	s_or_b64 exec, exec, s[92:93]
	v_add_u32_e32 v3, 0xffffff81, v3
	v_mov_b32_e32 v5, 0xffffff82
	v_cndmask_b32_e32 v3, v3, v5, vcc
	v_lshrrev_b32_e32 v5, 23, v42
	v_add3_u32 v5, v4, v3, v5
	v_add_u32_e32 v4, 6, v5
	v_and_b32_e32 v3, 0xfffff, v30
	v_add_u32_e32 v60, v3, v42
	v_cmp_ne_u32_e32 vcc, 0, v4
                                        ; implicit-def: $vgpr42_vgpr43
                                        ; implicit-def: $vgpr3
	s_and_saveexec_b64 s[20:21], vcc
	s_xor_b64 s[20:21], exec, s[20:21]
; %bb.284:                              ;   in Loop: Header=BB6_126 Depth=2
	v_cmp_lt_u64_e32 vcc, s[60:61], v[60:61]
	v_add_u32_e32 v3, 7, v5
	v_cndmask_b32_e32 v3, v4, v3, vcc
	v_cndmask_b32_e64 v4, 0, 1, vcc
	v_lshrrev_b64 v[42:43], v4, v[60:61]
; %bb.285:                              ;   in Loop: Header=BB6_126 Depth=2
	s_andn2_saveexec_b64 s[20:21], s[20:21]
; %bb.286:                              ;   in Loop: Header=BB6_126 Depth=2
	v_mov_b32_e32 v42, v60
	v_bfe_u32 v3, v60, 23, 1
	v_mov_b32_e32 v43, v61
; %bb.287:                              ;   in Loop: Header=BB6_126 Depth=2
	s_or_b64 exec, exec, s[20:21]
	v_lshrrev_b64 v[4:5], 20, v[42:43]
	v_cmp_gt_i32_e32 vcc, 16, v3
	v_cndmask_b32_e32 v5, 0, v5, vcc
	v_cndmask_b32_e32 v4, 7, v4, vcc
	v_cmp_eq_u32_e32 vcc, 0, v3
	v_min_i32_e32 v3, 15, v3
	v_cmp_eq_u64_e64 s[20:21], 0, v[4:5]
	v_lshlrev_b32_e32 v3, 3, v3
	v_and_b32_e32 v3, 0xf8, v3
	v_and_or_b32 v3, v4, 7, v3
	s_and_b64 s[20:21], vcc, s[20:21]
	v_cndmask_b32_e64 v3, v3, 0, s[20:21]
	v_or_b32_e32 v2, v3, v2
	buffer_store_dword v2, off, s[0:3], s33 offset:108 ; 4-byte Folded Spill
.LBB6_288:                              ;   in Loop: Header=BB6_126 Depth=2
	s_or_b64 exec, exec, s[90:91]
                                        ; implicit-def: $vgpr2
.LBB6_289:                              ;   in Loop: Header=BB6_126 Depth=2
	s_andn2_saveexec_b64 s[20:21], s[88:89]
	s_cbranch_execz .LBB6_291
; %bb.290:                              ;   in Loop: Header=BB6_126 Depth=2
	v_or_b32_e32 v2, 0x7e, v2
	buffer_store_dword v2, off, s[0:3], s33 offset:108 ; 4-byte Folded Spill
.LBB6_291:                              ;   in Loop: Header=BB6_126 Depth=2
	s_or_b64 exec, exec, s[20:21]
                                        ; implicit-def: $vgpr3
.LBB6_292:                              ;   in Loop: Header=BB6_126 Depth=2
	s_andn2_saveexec_b64 s[20:21], s[78:79]
	s_cbranch_execz .LBB6_294
; %bb.293:                              ;   in Loop: Header=BB6_126 Depth=2
	v_or_b32_sdwa v2, v3, s53 dst_sel:DWORD dst_unused:UNUSED_PAD src0_sel:BYTE_3 src1_sel:DWORD
	buffer_store_dword v2, off, s[0:3], s33 offset:108 ; 4-byte Folded Spill
.LBB6_294:                              ;   in Loop: Header=BB6_126 Depth=2
	s_or_b64 exec, exec, s[20:21]
	v_lshrrev_b32_e32 v31, 16, v49
	v_cmp_ne_u16_sdwa s[78:79], v31, v61 src0_sel:BYTE_0 src1_sel:DWORD
	v_mov_b32_e32 v2, 0
	v_mov_b32_e32 v3, 0
	s_and_saveexec_b64 s[20:21], s[78:79]
	s_cbranch_execz .LBB6_300
; %bb.295:                              ;   in Loop: Header=BB6_126 Depth=2
	v_cmp_ne_u16_sdwa s[88:89], v31, s52 src0_sel:BYTE_0 src1_sel:DWORD
	v_bfrev_b32_e32 v3, 1
	s_and_saveexec_b64 s[78:79], s[88:89]
	s_cbranch_execz .LBB6_299
; %bb.296:                              ;   in Loop: Header=BB6_126 Depth=2
	v_bfe_u32 v4, v49, 16, 7
	v_cmp_ne_u32_e32 vcc, s53, v4
	v_mov_b32_e32 v3, 0x7f800001
	s_and_saveexec_b64 s[88:89], vcc
	s_cbranch_execz .LBB6_298
; %bb.297:                              ;   in Loop: Header=BB6_126 Depth=2
	v_and_b32_e32 v5, 7, v31
	v_ffbh_u32_e32 v3, v5
	v_min_u32_e32 v7, 32, v3
	v_subrev_u32_e32 v3, 28, v7
	v_lshrrev_b32_e32 v6, 3, v4
	v_cmp_gt_u32_e32 vcc, 8, v4
	v_lshlrev_b64 v[3:4], v3, v[31:32]
	v_sub_u32_e32 v4, 29, v7
	v_and_b32_e32 v3, 7, v3
	v_cndmask_b32_e32 v4, v6, v4, vcc
	v_cndmask_b32_e32 v3, v5, v3, vcc
	v_lshlrev_b32_e32 v5, 24, v31
	v_lshlrev_b32_e32 v3, 20, v3
	v_and_b32_e32 v5, 0x80000000, v5
	v_lshl_add_u32 v4, v4, 23, v62
	v_or3_b32 v3, v5, v4, v3
.LBB6_298:                              ;   in Loop: Header=BB6_126 Depth=2
	s_or_b64 exec, exec, s[88:89]
.LBB6_299:                              ;   in Loop: Header=BB6_126 Depth=2
	s_or_b64 exec, exec, s[78:79]
.LBB6_300:                              ;   in Loop: Header=BB6_126 Depth=2
	s_or_b64 exec, exec, s[20:21]
	v_lshrrev_b32_e32 v31, 16, v37
	v_cmp_ne_u16_sdwa s[78:79], v31, v61 src0_sel:BYTE_0 src1_sel:DWORD
	s_and_saveexec_b64 s[20:21], s[78:79]
	s_cbranch_execz .LBB6_306
; %bb.301:                              ;   in Loop: Header=BB6_126 Depth=2
	v_cmp_ne_u16_sdwa s[88:89], v31, s52 src0_sel:BYTE_0 src1_sel:DWORD
	v_bfrev_b32_e32 v2, 1
	s_and_saveexec_b64 s[78:79], s[88:89]
	s_cbranch_execz .LBB6_305
; %bb.302:                              ;   in Loop: Header=BB6_126 Depth=2
	v_bfe_u32 v4, v37, 16, 7
	v_cmp_ne_u32_e32 vcc, s53, v4
	v_mov_b32_e32 v2, 0x7f800001
	s_and_saveexec_b64 s[88:89], vcc
	s_cbranch_execz .LBB6_304
; %bb.303:                              ;   in Loop: Header=BB6_126 Depth=2
	v_and_b32_e32 v2, 7, v31
	v_lshrrev_b32_e32 v6, 3, v4
	v_cmp_gt_u32_e32 vcc, 8, v4
	v_ffbh_u32_e32 v4, v2
	v_min_u32_e32 v7, 32, v4
	v_subrev_u32_e32 v4, 28, v7
	v_lshlrev_b64 v[4:5], v4, v[31:32]
	v_sub_u32_e32 v5, 29, v7
	v_and_b32_e32 v4, 7, v4
	v_cndmask_b32_e32 v5, v6, v5, vcc
	v_cndmask_b32_e32 v2, v2, v4, vcc
	v_lshlrev_b32_e32 v4, 8, v37
	v_lshlrev_b32_e32 v2, 20, v2
	v_and_b32_e32 v4, 0x80000000, v4
	v_lshl_add_u32 v5, v5, 23, v62
	v_or3_b32 v2, v4, v5, v2
.LBB6_304:                              ;   in Loop: Header=BB6_126 Depth=2
	s_or_b64 exec, exec, s[88:89]
.LBB6_305:                              ;   in Loop: Header=BB6_126 Depth=2
	s_or_b64 exec, exec, s[78:79]
.LBB6_306:                              ;   in Loop: Header=BB6_126 Depth=2
	s_or_b64 exec, exec, s[20:21]
	v_add_f32_e32 v3, v3, v2
	v_and_b32_e32 v60, 0x7f800000, v3
	v_cmp_ne_u64_e32 vcc, s[56:57], v[60:61]
                                        ; implicit-def: $vgpr2
                                        ; kill: killed $vgpr2
	s_and_saveexec_b64 s[20:21], vcc
	s_xor_b64 s[78:79], exec, s[20:21]
	s_cbranch_execz .LBB6_320
; %bb.307:                              ;   in Loop: Header=BB6_126 Depth=2
	v_and_b32_e32 v60, 0x7fffffff, v3
	v_cmp_gt_u64_e32 vcc, s[58:59], v[60:61]
	v_and_b32_sdwa v2, v3, s52 dst_sel:DWORD dst_unused:UNUSED_PAD src0_sel:BYTE_3 src1_sel:DWORD
                                        ; implicit-def: $vgpr4
                                        ; kill: killed $vgpr4
	s_and_saveexec_b64 s[20:21], vcc
	s_xor_b64 s[88:89], exec, s[20:21]
	s_cbranch_execz .LBB6_317
; %bb.308:                              ;   in Loop: Header=BB6_126 Depth=2
	v_mov_b32_e32 v4, 0
	v_cmp_ne_u32_e32 vcc, 0, v3
	buffer_store_dword v4, off, s[0:3], s33 offset:112 ; 4-byte Folded Spill
	s_and_saveexec_b64 s[90:91], vcc
	s_cbranch_execz .LBB6_316
; %bb.309:                              ;   in Loop: Header=BB6_126 Depth=2
	v_and_b32_e32 v5, 0x7fffff, v3
	v_bfe_u32 v3, v3, 23, 8
	v_cmp_gt_u32_e64 s[20:21], s54, v3
	v_sub_u32_e32 v4, 0x79, v3
	v_cmp_eq_u32_e32 vcc, 0, v3
	v_cndmask_b32_e64 v4, 0, v4, s[20:21]
	v_mov_b32_e32 v7, 0x78
	v_or_b32_e32 v6, 0x800000, v5
	v_cndmask_b32_e32 v4, v4, v7, vcc
	v_cndmask_b32_e32 v60, v6, v5, vcc
	v_add_u32_e32 v5, 20, v4
	v_lshlrev_b64 v[5:6], v5, -1
	v_add_u32_e32 v7, 19, v4
	v_lshlrev_b64 v[7:8], v7, 1
	v_bfi_b32 v6, v6, 0, 0
	v_bfi_b32 v5, v5, 0, v60
	v_lshrrev_b64 v[42:43], v4, v[60:61]
	v_cmp_eq_u64_e64 s[20:21], v[5:6], v[7:8]
	v_mov_b32_e32 v30, v42
	v_mov_b32_e32 v31, v43
	s_and_saveexec_b64 s[92:93], s[20:21]
; %bb.310:                              ;   in Loop: Header=BB6_126 Depth=2
	v_bfe_u32 v5, v42, 20, 1
	v_add_co_u32_e64 v5, s[20:21], v42, v5
	v_add_co_u32_e64 v30, s[20:21], -1, v5
; %bb.311:                              ;   in Loop: Header=BB6_126 Depth=2
	s_or_b64 exec, exec, s[92:93]
	v_add_u32_e32 v3, 0xffffff81, v3
	v_mov_b32_e32 v5, 0xffffff82
	v_cndmask_b32_e32 v3, v3, v5, vcc
	v_lshrrev_b32_e32 v5, 23, v42
	v_add3_u32 v5, v4, v3, v5
	v_add_u32_e32 v4, 6, v5
	v_and_b32_e32 v3, 0xfffff, v30
	v_add_u32_e32 v60, v3, v42
	v_cmp_ne_u32_e32 vcc, 0, v4
                                        ; implicit-def: $vgpr42_vgpr43
                                        ; implicit-def: $vgpr3
	s_and_saveexec_b64 s[20:21], vcc
	s_xor_b64 s[20:21], exec, s[20:21]
; %bb.312:                              ;   in Loop: Header=BB6_126 Depth=2
	v_cmp_lt_u64_e32 vcc, s[60:61], v[60:61]
	v_add_u32_e32 v3, 7, v5
	v_cndmask_b32_e32 v3, v4, v3, vcc
	v_cndmask_b32_e64 v4, 0, 1, vcc
	v_lshrrev_b64 v[42:43], v4, v[60:61]
; %bb.313:                              ;   in Loop: Header=BB6_126 Depth=2
	s_andn2_saveexec_b64 s[20:21], s[20:21]
; %bb.314:                              ;   in Loop: Header=BB6_126 Depth=2
	v_mov_b32_e32 v42, v60
	v_bfe_u32 v3, v60, 23, 1
	v_mov_b32_e32 v43, v61
; %bb.315:                              ;   in Loop: Header=BB6_126 Depth=2
	s_or_b64 exec, exec, s[20:21]
	v_lshrrev_b64 v[4:5], 20, v[42:43]
	v_cmp_gt_i32_e32 vcc, 16, v3
	v_cndmask_b32_e32 v5, 0, v5, vcc
	v_cndmask_b32_e32 v4, 7, v4, vcc
	v_cmp_eq_u32_e32 vcc, 0, v3
	v_min_i32_e32 v3, 15, v3
	v_cmp_eq_u64_e64 s[20:21], 0, v[4:5]
	v_lshlrev_b32_e32 v3, 3, v3
	v_and_b32_e32 v3, 0xf8, v3
	v_and_or_b32 v3, v4, 7, v3
	s_and_b64 s[20:21], vcc, s[20:21]
	v_cndmask_b32_e64 v3, v3, 0, s[20:21]
	v_or_b32_e32 v2, v3, v2
	buffer_store_dword v2, off, s[0:3], s33 offset:112 ; 4-byte Folded Spill
.LBB6_316:                              ;   in Loop: Header=BB6_126 Depth=2
	s_or_b64 exec, exec, s[90:91]
                                        ; implicit-def: $vgpr2
.LBB6_317:                              ;   in Loop: Header=BB6_126 Depth=2
	s_andn2_saveexec_b64 s[20:21], s[88:89]
	s_cbranch_execz .LBB6_319
; %bb.318:                              ;   in Loop: Header=BB6_126 Depth=2
	v_or_b32_e32 v2, 0x7e, v2
	buffer_store_dword v2, off, s[0:3], s33 offset:112 ; 4-byte Folded Spill
.LBB6_319:                              ;   in Loop: Header=BB6_126 Depth=2
	s_or_b64 exec, exec, s[20:21]
                                        ; implicit-def: $vgpr3
.LBB6_320:                              ;   in Loop: Header=BB6_126 Depth=2
	s_andn2_saveexec_b64 s[20:21], s[78:79]
	s_cbranch_execz .LBB6_322
; %bb.321:                              ;   in Loop: Header=BB6_126 Depth=2
	v_or_b32_sdwa v2, v3, s53 dst_sel:DWORD dst_unused:UNUSED_PAD src0_sel:BYTE_3 src1_sel:DWORD
	buffer_store_dword v2, off, s[0:3], s33 offset:112 ; 4-byte Folded Spill
.LBB6_322:                              ;   in Loop: Header=BB6_126 Depth=2
	s_or_b64 exec, exec, s[20:21]
	v_cmp_lt_u64_e32 vcc, s[62:63], v[48:49]
	v_mov_b32_e32 v2, 0
	v_mov_b32_e32 v3, 0
	s_and_saveexec_b64 s[20:21], vcc
	s_cbranch_execz .LBB6_328
; %bb.323:                              ;   in Loop: Header=BB6_126 Depth=2
	v_lshrrev_b32_e32 v31, 24, v49
	v_cmp_ne_u32_e32 vcc, s52, v31
	v_bfrev_b32_e32 v3, 1
	s_and_saveexec_b64 s[78:79], vcc
	s_cbranch_execz .LBB6_327
; %bb.324:                              ;   in Loop: Header=BB6_126 Depth=2
	v_bfe_u32 v4, v49, 24, 7
	v_cmp_ne_u32_e32 vcc, s53, v4
	v_mov_b32_e32 v3, 0x7f800001
	s_and_saveexec_b64 s[88:89], vcc
	s_cbranch_execz .LBB6_326
; %bb.325:                              ;   in Loop: Header=BB6_126 Depth=2
	v_and_b32_e32 v5, 7, v31
	v_ffbh_u32_e32 v3, v5
	v_min_u32_e32 v7, 32, v3
	v_subrev_u32_e32 v3, 28, v7
	v_lshrrev_b32_e32 v6, 3, v4
	v_cmp_gt_u32_e32 vcc, 8, v4
	v_lshlrev_b64 v[3:4], v3, v[31:32]
	v_sub_u32_e32 v4, 29, v7
	v_and_b32_e32 v3, 7, v3
	v_cndmask_b32_e32 v4, v6, v4, vcc
	v_cndmask_b32_e32 v3, v5, v3, vcc
	v_lshlrev_b32_e32 v5, 24, v31
	v_lshlrev_b32_e32 v3, 20, v3
	v_and_b32_e32 v5, 0x80000000, v5
	v_lshl_add_u32 v4, v4, 23, v62
	v_or3_b32 v3, v5, v4, v3
.LBB6_326:                              ;   in Loop: Header=BB6_126 Depth=2
	s_or_b64 exec, exec, s[88:89]
.LBB6_327:                              ;   in Loop: Header=BB6_126 Depth=2
	s_or_b64 exec, exec, s[78:79]
.LBB6_328:                              ;   in Loop: Header=BB6_126 Depth=2
	s_or_b64 exec, exec, s[20:21]
	v_cmp_lt_u64_e32 vcc, s[62:63], v[36:37]
	s_and_saveexec_b64 s[20:21], vcc
	s_cbranch_execz .LBB6_334
; %bb.329:                              ;   in Loop: Header=BB6_126 Depth=2
	v_lshrrev_b32_e32 v31, 24, v37
	v_cmp_ne_u32_e32 vcc, s52, v31
	v_bfrev_b32_e32 v2, 1
	s_and_saveexec_b64 s[78:79], vcc
	s_cbranch_execz .LBB6_333
; %bb.330:                              ;   in Loop: Header=BB6_126 Depth=2
	v_bfe_u32 v4, v37, 24, 7
	v_cmp_ne_u32_e32 vcc, s53, v4
	v_mov_b32_e32 v2, 0x7f800001
	s_and_saveexec_b64 s[88:89], vcc
	s_cbranch_execz .LBB6_332
; %bb.331:                              ;   in Loop: Header=BB6_126 Depth=2
	v_and_b32_e32 v2, 7, v31
	v_lshrrev_b32_e32 v6, 3, v4
	v_cmp_gt_u32_e32 vcc, 8, v4
	v_ffbh_u32_e32 v4, v2
	v_min_u32_e32 v7, 32, v4
	v_subrev_u32_e32 v4, 28, v7
	v_lshlrev_b64 v[4:5], v4, v[31:32]
	v_sub_u32_e32 v5, 29, v7
	v_and_b32_e32 v4, 7, v4
	v_cndmask_b32_e32 v5, v6, v5, vcc
	v_cndmask_b32_e32 v2, v2, v4, vcc
	v_lshlrev_b32_e32 v4, 24, v31
	v_lshlrev_b32_e32 v2, 20, v2
	v_and_b32_e32 v4, 0x80000000, v4
	v_lshl_add_u32 v5, v5, 23, v62
	v_or3_b32 v2, v4, v5, v2
.LBB6_332:                              ;   in Loop: Header=BB6_126 Depth=2
	s_or_b64 exec, exec, s[88:89]
.LBB6_333:                              ;   in Loop: Header=BB6_126 Depth=2
	s_or_b64 exec, exec, s[78:79]
.LBB6_334:                              ;   in Loop: Header=BB6_126 Depth=2
	s_or_b64 exec, exec, s[20:21]
	v_add_f32_e32 v3, v3, v2
	v_and_b32_e32 v60, 0x7f800000, v3
	v_cmp_ne_u64_e32 vcc, s[56:57], v[60:61]
                                        ; implicit-def: $vgpr2
                                        ; kill: killed $vgpr2
	s_and_saveexec_b64 s[20:21], vcc
	s_xor_b64 s[78:79], exec, s[20:21]
	s_cbranch_execz .LBB6_348
; %bb.335:                              ;   in Loop: Header=BB6_126 Depth=2
	v_and_b32_e32 v60, 0x7fffffff, v3
	v_cmp_gt_u64_e32 vcc, s[58:59], v[60:61]
	v_and_b32_sdwa v2, v3, s52 dst_sel:DWORD dst_unused:UNUSED_PAD src0_sel:BYTE_3 src1_sel:DWORD
                                        ; implicit-def: $vgpr4
                                        ; kill: killed $vgpr4
	s_and_saveexec_b64 s[20:21], vcc
	s_xor_b64 s[88:89], exec, s[20:21]
	s_cbranch_execz .LBB6_345
; %bb.336:                              ;   in Loop: Header=BB6_126 Depth=2
	v_mov_b32_e32 v4, 0
	v_cmp_ne_u32_e32 vcc, 0, v3
	buffer_store_dword v4, off, s[0:3], s33 offset:116 ; 4-byte Folded Spill
	s_and_saveexec_b64 s[90:91], vcc
	s_cbranch_execz .LBB6_344
; %bb.337:                              ;   in Loop: Header=BB6_126 Depth=2
	v_and_b32_e32 v5, 0x7fffff, v3
	v_bfe_u32 v3, v3, 23, 8
	v_cmp_gt_u32_e64 s[20:21], s54, v3
	v_sub_u32_e32 v4, 0x79, v3
	v_cmp_eq_u32_e32 vcc, 0, v3
	v_cndmask_b32_e64 v4, 0, v4, s[20:21]
	v_mov_b32_e32 v7, 0x78
	v_or_b32_e32 v6, 0x800000, v5
	v_cndmask_b32_e32 v4, v4, v7, vcc
	v_cndmask_b32_e32 v60, v6, v5, vcc
	v_add_u32_e32 v5, 20, v4
	v_lshlrev_b64 v[5:6], v5, -1
	v_add_u32_e32 v7, 19, v4
	v_lshlrev_b64 v[7:8], v7, 1
	v_bfi_b32 v6, v6, 0, 0
	v_bfi_b32 v5, v5, 0, v60
	v_lshrrev_b64 v[36:37], v4, v[60:61]
	v_cmp_eq_u64_e64 s[20:21], v[5:6], v[7:8]
	v_mov_b32_e32 v30, v36
	v_mov_b32_e32 v31, v37
	s_and_saveexec_b64 s[92:93], s[20:21]
; %bb.338:                              ;   in Loop: Header=BB6_126 Depth=2
	v_bfe_u32 v5, v36, 20, 1
	v_add_co_u32_e64 v5, s[20:21], v36, v5
	v_add_co_u32_e64 v30, s[20:21], -1, v5
; %bb.339:                              ;   in Loop: Header=BB6_126 Depth=2
	s_or_b64 exec, exec, s[92:93]
	v_add_u32_e32 v3, 0xffffff81, v3
	v_mov_b32_e32 v5, 0xffffff82
	v_cndmask_b32_e32 v3, v3, v5, vcc
	v_lshrrev_b32_e32 v5, 23, v36
	v_add3_u32 v5, v4, v3, v5
	v_add_u32_e32 v4, 6, v5
	v_and_b32_e32 v3, 0xfffff, v30
	v_add_u32_e32 v60, v3, v36
	v_cmp_ne_u32_e32 vcc, 0, v4
                                        ; implicit-def: $vgpr36_vgpr37
                                        ; implicit-def: $vgpr3
	s_and_saveexec_b64 s[20:21], vcc
	s_xor_b64 s[20:21], exec, s[20:21]
; %bb.340:                              ;   in Loop: Header=BB6_126 Depth=2
	v_cmp_lt_u64_e32 vcc, s[60:61], v[60:61]
	v_add_u32_e32 v3, 7, v5
	v_cndmask_b32_e32 v3, v4, v3, vcc
	v_cndmask_b32_e64 v4, 0, 1, vcc
	v_lshrrev_b64 v[36:37], v4, v[60:61]
; %bb.341:                              ;   in Loop: Header=BB6_126 Depth=2
	s_andn2_saveexec_b64 s[20:21], s[20:21]
; %bb.342:                              ;   in Loop: Header=BB6_126 Depth=2
	v_mov_b32_e32 v36, v60
	v_bfe_u32 v3, v60, 23, 1
	v_mov_b32_e32 v37, v61
; %bb.343:                              ;   in Loop: Header=BB6_126 Depth=2
	s_or_b64 exec, exec, s[20:21]
	v_lshrrev_b64 v[4:5], 20, v[36:37]
	v_cmp_gt_i32_e32 vcc, 16, v3
	v_cndmask_b32_e32 v5, 0, v5, vcc
	v_cndmask_b32_e32 v4, 7, v4, vcc
	v_cmp_eq_u32_e32 vcc, 0, v3
	v_min_i32_e32 v3, 15, v3
	v_cmp_eq_u64_e64 s[20:21], 0, v[4:5]
	v_lshlrev_b32_e32 v3, 3, v3
	v_and_b32_e32 v3, 0xf8, v3
	v_and_or_b32 v3, v4, 7, v3
	s_and_b64 s[20:21], vcc, s[20:21]
	v_cndmask_b32_e64 v3, v3, 0, s[20:21]
	v_or_b32_e32 v2, v3, v2
	buffer_store_dword v2, off, s[0:3], s33 offset:116 ; 4-byte Folded Spill
.LBB6_344:                              ;   in Loop: Header=BB6_126 Depth=2
	s_or_b64 exec, exec, s[90:91]
                                        ; implicit-def: $vgpr2
.LBB6_345:                              ;   in Loop: Header=BB6_126 Depth=2
	s_andn2_saveexec_b64 s[20:21], s[88:89]
	s_cbranch_execz .LBB6_347
; %bb.346:                              ;   in Loop: Header=BB6_126 Depth=2
	v_or_b32_e32 v2, 0x7e, v2
	buffer_store_dword v2, off, s[0:3], s33 offset:116 ; 4-byte Folded Spill
.LBB6_347:                              ;   in Loop: Header=BB6_126 Depth=2
	s_or_b64 exec, exec, s[20:21]
                                        ; implicit-def: $vgpr3
.LBB6_348:                              ;   in Loop: Header=BB6_126 Depth=2
	s_andn2_saveexec_b64 s[20:21], s[78:79]
	s_cbranch_execz .LBB6_350
; %bb.349:                              ;   in Loop: Header=BB6_126 Depth=2
	v_or_b32_sdwa v2, v3, s53 dst_sel:DWORD dst_unused:UNUSED_PAD src0_sel:BYTE_3 src1_sel:DWORD
	buffer_store_dword v2, off, s[0:3], s33 offset:116 ; 4-byte Folded Spill
.LBB6_350:                              ;   in Loop: Header=BB6_126 Depth=2
	s_or_b64 exec, exec, s[20:21]
	v_cmp_ne_u16_sdwa s[78:79], v50, v61 src0_sel:BYTE_0 src1_sel:DWORD
	v_mov_b32_e32 v2, 0
	v_mov_b32_e32 v3, 0
	s_and_saveexec_b64 s[20:21], s[78:79]
	s_cbranch_execz .LBB6_356
; %bb.351:                              ;   in Loop: Header=BB6_126 Depth=2
	v_cmp_ne_u16_sdwa s[88:89], v50, s52 src0_sel:BYTE_0 src1_sel:DWORD
	v_bfrev_b32_e32 v3, 1
	s_and_saveexec_b64 s[78:79], s[88:89]
	s_cbranch_execz .LBB6_355
; %bb.352:                              ;   in Loop: Header=BB6_126 Depth=2
	v_and_b32_e32 v4, 0x7f, v50
	v_cmp_ne_u32_e32 vcc, s53, v4
	v_mov_b32_e32 v3, 0x7f800001
	s_and_saveexec_b64 s[88:89], vcc
	s_cbranch_execz .LBB6_354
; %bb.353:                              ;   in Loop: Header=BB6_126 Depth=2
	v_and_b32_e32 v3, 7, v50
	v_ffbh_u32_e32 v3, v3
	v_min_u32_e32 v3, 32, v3
	v_lshrrev_b32_e32 v5, 3, v4
	v_cmp_gt_u32_e32 vcc, 8, v4
	v_subrev_u32_e32 v4, 28, v3
	v_sub_u32_e32 v3, 29, v3
	v_cndmask_b32_e32 v5, v5, v3, vcc
	v_cndmask_b32_e32 v3, 0, v4, vcc
	v_lshlrev_b64 v[3:4], v3, v[50:51]
	v_lshlrev_b32_e32 v4, 24, v50
	v_lshlrev_b32_e32 v3, 20, v3
	v_and_b32_e32 v3, 0x700000, v3
	v_and_b32_e32 v4, 0x80000000, v4
	v_lshl_add_u32 v5, v5, 23, v62
	v_or3_b32 v3, v4, v5, v3
.LBB6_354:                              ;   in Loop: Header=BB6_126 Depth=2
	s_or_b64 exec, exec, s[88:89]
.LBB6_355:                              ;   in Loop: Header=BB6_126 Depth=2
	s_or_b64 exec, exec, s[78:79]
.LBB6_356:                              ;   in Loop: Header=BB6_126 Depth=2
	s_or_b64 exec, exec, s[20:21]
	v_cmp_ne_u16_sdwa s[78:79], v38, v61 src0_sel:BYTE_0 src1_sel:DWORD
	s_and_saveexec_b64 s[20:21], s[78:79]
	s_cbranch_execz .LBB6_362
; %bb.357:                              ;   in Loop: Header=BB6_126 Depth=2
	v_cmp_ne_u16_sdwa s[88:89], v38, s52 src0_sel:BYTE_0 src1_sel:DWORD
	v_bfrev_b32_e32 v2, 1
	s_and_saveexec_b64 s[78:79], s[88:89]
	s_cbranch_execz .LBB6_361
; %bb.358:                              ;   in Loop: Header=BB6_126 Depth=2
	v_and_b32_e32 v4, 0x7f, v38
	v_cmp_ne_u32_e32 vcc, s53, v4
	v_mov_b32_e32 v2, 0x7f800001
	s_and_saveexec_b64 s[88:89], vcc
	s_cbranch_execz .LBB6_360
; %bb.359:                              ;   in Loop: Header=BB6_126 Depth=2
	v_and_b32_e32 v2, 7, v38
	v_ffbh_u32_e32 v2, v2
	v_min_u32_e32 v2, 32, v2
	v_lshrrev_b32_e32 v5, 3, v4
	v_cmp_gt_u32_e32 vcc, 8, v4
	v_subrev_u32_e32 v4, 28, v2
	v_sub_u32_e32 v2, 29, v2
	v_cndmask_b32_e32 v4, 0, v4, vcc
	v_cndmask_b32_e32 v2, v5, v2, vcc
	v_lshlrev_b64 v[4:5], v4, v[38:39]
	v_lshlrev_b32_e32 v5, 24, v38
	v_lshlrev_b32_e32 v4, 20, v4
	v_and_b32_e32 v4, 0x700000, v4
	v_and_b32_e32 v5, 0x80000000, v5
	v_lshl_add_u32 v2, v2, 23, v62
	v_or3_b32 v2, v5, v2, v4
.LBB6_360:                              ;   in Loop: Header=BB6_126 Depth=2
	s_or_b64 exec, exec, s[88:89]
.LBB6_361:                              ;   in Loop: Header=BB6_126 Depth=2
	s_or_b64 exec, exec, s[78:79]
.LBB6_362:                              ;   in Loop: Header=BB6_126 Depth=2
	s_or_b64 exec, exec, s[20:21]
	v_add_f32_e32 v3, v3, v2
	v_and_b32_e32 v60, 0x7f800000, v3
	v_cmp_ne_u64_e32 vcc, s[56:57], v[60:61]
                                        ; implicit-def: $vgpr2
                                        ; kill: killed $vgpr2
	s_and_saveexec_b64 s[20:21], vcc
	s_xor_b64 s[78:79], exec, s[20:21]
	s_cbranch_execz .LBB6_376
; %bb.363:                              ;   in Loop: Header=BB6_126 Depth=2
	v_and_b32_e32 v60, 0x7fffffff, v3
	v_cmp_gt_u64_e32 vcc, s[58:59], v[60:61]
	v_and_b32_sdwa v2, v3, s52 dst_sel:DWORD dst_unused:UNUSED_PAD src0_sel:BYTE_3 src1_sel:DWORD
                                        ; implicit-def: $vgpr4
                                        ; kill: killed $vgpr4
	s_and_saveexec_b64 s[20:21], vcc
	s_xor_b64 s[88:89], exec, s[20:21]
	s_cbranch_execz .LBB6_373
; %bb.364:                              ;   in Loop: Header=BB6_126 Depth=2
	v_mov_b32_e32 v4, 0
	v_cmp_ne_u32_e32 vcc, 0, v3
	buffer_store_dword v4, off, s[0:3], s33 offset:120 ; 4-byte Folded Spill
	s_and_saveexec_b64 s[90:91], vcc
	s_cbranch_execz .LBB6_372
; %bb.365:                              ;   in Loop: Header=BB6_126 Depth=2
	v_and_b32_e32 v5, 0x7fffff, v3
	v_bfe_u32 v3, v3, 23, 8
	v_cmp_gt_u32_e64 s[20:21], s54, v3
	v_sub_u32_e32 v4, 0x79, v3
	v_cmp_eq_u32_e32 vcc, 0, v3
	v_cndmask_b32_e64 v4, 0, v4, s[20:21]
	v_mov_b32_e32 v7, 0x78
	v_or_b32_e32 v6, 0x800000, v5
	v_cndmask_b32_e32 v4, v4, v7, vcc
	v_cndmask_b32_e32 v60, v6, v5, vcc
	v_add_u32_e32 v5, 20, v4
	v_lshlrev_b64 v[5:6], v5, -1
	v_add_u32_e32 v7, 19, v4
	v_lshlrev_b64 v[7:8], v7, 1
	v_bfi_b32 v6, v6, 0, 0
	v_bfi_b32 v5, v5, 0, v60
	v_lshrrev_b64 v[36:37], v4, v[60:61]
	v_cmp_eq_u64_e64 s[20:21], v[5:6], v[7:8]
	v_mov_b32_e32 v30, v36
	v_mov_b32_e32 v31, v37
	s_and_saveexec_b64 s[92:93], s[20:21]
; %bb.366:                              ;   in Loop: Header=BB6_126 Depth=2
	v_bfe_u32 v5, v36, 20, 1
	v_add_co_u32_e64 v5, s[20:21], v36, v5
	v_add_co_u32_e64 v30, s[20:21], -1, v5
; %bb.367:                              ;   in Loop: Header=BB6_126 Depth=2
	s_or_b64 exec, exec, s[92:93]
	v_add_u32_e32 v3, 0xffffff81, v3
	v_mov_b32_e32 v5, 0xffffff82
	v_cndmask_b32_e32 v3, v3, v5, vcc
	v_lshrrev_b32_e32 v5, 23, v36
	v_add3_u32 v5, v4, v3, v5
	v_add_u32_e32 v4, 6, v5
	v_and_b32_e32 v3, 0xfffff, v30
	v_add_u32_e32 v60, v3, v36
	v_cmp_ne_u32_e32 vcc, 0, v4
                                        ; implicit-def: $vgpr36_vgpr37
                                        ; implicit-def: $vgpr3
	s_and_saveexec_b64 s[20:21], vcc
	s_xor_b64 s[20:21], exec, s[20:21]
; %bb.368:                              ;   in Loop: Header=BB6_126 Depth=2
	v_cmp_lt_u64_e32 vcc, s[60:61], v[60:61]
	v_add_u32_e32 v3, 7, v5
	v_cndmask_b32_e32 v3, v4, v3, vcc
	v_cndmask_b32_e64 v4, 0, 1, vcc
	v_lshrrev_b64 v[36:37], v4, v[60:61]
; %bb.369:                              ;   in Loop: Header=BB6_126 Depth=2
	s_andn2_saveexec_b64 s[20:21], s[20:21]
; %bb.370:                              ;   in Loop: Header=BB6_126 Depth=2
	v_mov_b32_e32 v36, v60
	v_bfe_u32 v3, v60, 23, 1
	v_mov_b32_e32 v37, v61
; %bb.371:                              ;   in Loop: Header=BB6_126 Depth=2
	s_or_b64 exec, exec, s[20:21]
	v_lshrrev_b64 v[4:5], 20, v[36:37]
	v_cmp_gt_i32_e32 vcc, 16, v3
	v_cndmask_b32_e32 v5, 0, v5, vcc
	v_cndmask_b32_e32 v4, 7, v4, vcc
	v_cmp_eq_u32_e32 vcc, 0, v3
	v_min_i32_e32 v3, 15, v3
	v_cmp_eq_u64_e64 s[20:21], 0, v[4:5]
	v_lshlrev_b32_e32 v3, 3, v3
	v_and_b32_e32 v3, 0xf8, v3
	v_and_or_b32 v3, v4, 7, v3
	s_and_b64 s[20:21], vcc, s[20:21]
	v_cndmask_b32_e64 v3, v3, 0, s[20:21]
	v_or_b32_e32 v2, v3, v2
	buffer_store_dword v2, off, s[0:3], s33 offset:120 ; 4-byte Folded Spill
.LBB6_372:                              ;   in Loop: Header=BB6_126 Depth=2
	s_or_b64 exec, exec, s[90:91]
                                        ; implicit-def: $vgpr2
.LBB6_373:                              ;   in Loop: Header=BB6_126 Depth=2
	s_andn2_saveexec_b64 s[20:21], s[88:89]
	s_cbranch_execz .LBB6_375
; %bb.374:                              ;   in Loop: Header=BB6_126 Depth=2
	v_or_b32_e32 v2, 0x7e, v2
	buffer_store_dword v2, off, s[0:3], s33 offset:120 ; 4-byte Folded Spill
.LBB6_375:                              ;   in Loop: Header=BB6_126 Depth=2
	s_or_b64 exec, exec, s[20:21]
                                        ; implicit-def: $vgpr3
.LBB6_376:                              ;   in Loop: Header=BB6_126 Depth=2
	s_andn2_saveexec_b64 s[20:21], s[78:79]
	s_cbranch_execz .LBB6_378
; %bb.377:                              ;   in Loop: Header=BB6_126 Depth=2
	v_or_b32_sdwa v2, v3, s53 dst_sel:DWORD dst_unused:UNUSED_PAD src0_sel:BYTE_3 src1_sel:DWORD
	buffer_store_dword v2, off, s[0:3], s33 offset:120 ; 4-byte Folded Spill
.LBB6_378:                              ;   in Loop: Header=BB6_126 Depth=2
	s_or_b64 exec, exec, s[20:21]
	v_lshrrev_b16_e32 v31, 8, v50
	v_cmp_ne_u16_e32 vcc, 0, v31
	v_mov_b32_e32 v2, 0
	v_mov_b32_e32 v3, 0
	s_and_saveexec_b64 s[20:21], vcc
	s_cbranch_execz .LBB6_384
; %bb.379:                              ;   in Loop: Header=BB6_126 Depth=2
	v_cmp_ne_u16_e32 vcc, s52, v31
	v_bfrev_b32_e32 v3, 1
	s_and_saveexec_b64 s[78:79], vcc
	s_cbranch_execz .LBB6_383
; %bb.380:                              ;   in Loop: Header=BB6_126 Depth=2
	v_and_b32_e32 v4, 0x7f, v31
	v_cmp_ne_u32_e32 vcc, s53, v4
	v_mov_b32_e32 v3, 0x7f800001
	s_and_saveexec_b64 s[88:89], vcc
	s_cbranch_execz .LBB6_382
; %bb.381:                              ;   in Loop: Header=BB6_126 Depth=2
	v_and_b32_e32 v5, 7, v31
	v_ffbh_u32_e32 v3, v5
	v_min_u32_e32 v7, 32, v3
	v_subrev_u32_e32 v3, 28, v7
	v_lshrrev_b32_e32 v6, 3, v4
	v_cmp_gt_u32_e32 vcc, 8, v4
	v_lshlrev_b64 v[3:4], v3, v[31:32]
	v_sub_u32_e32 v4, 29, v7
	v_and_b32_e32 v3, 7, v3
	v_cndmask_b32_e32 v4, v6, v4, vcc
	v_cndmask_b32_e32 v3, v5, v3, vcc
	v_lshlrev_b32_e32 v5, 16, v50
	v_lshlrev_b32_e32 v3, 20, v3
	v_and_b32_e32 v5, 0x80000000, v5
	v_lshl_add_u32 v4, v4, 23, v62
	v_or3_b32 v3, v5, v4, v3
.LBB6_382:                              ;   in Loop: Header=BB6_126 Depth=2
	s_or_b64 exec, exec, s[88:89]
.LBB6_383:                              ;   in Loop: Header=BB6_126 Depth=2
	s_or_b64 exec, exec, s[78:79]
.LBB6_384:                              ;   in Loop: Header=BB6_126 Depth=2
	s_or_b64 exec, exec, s[20:21]
	v_lshrrev_b16_e32 v31, 8, v38
	v_cmp_ne_u16_e32 vcc, 0, v31
	s_and_saveexec_b64 s[20:21], vcc
	s_cbranch_execz .LBB6_390
; %bb.385:                              ;   in Loop: Header=BB6_126 Depth=2
	v_cmp_ne_u16_e32 vcc, s52, v31
	v_bfrev_b32_e32 v2, 1
	s_and_saveexec_b64 s[78:79], vcc
	s_cbranch_execz .LBB6_389
; %bb.386:                              ;   in Loop: Header=BB6_126 Depth=2
	v_and_b32_e32 v4, 0x7f, v31
	v_cmp_ne_u32_e32 vcc, s53, v4
	v_mov_b32_e32 v2, 0x7f800001
	s_and_saveexec_b64 s[88:89], vcc
	s_cbranch_execz .LBB6_388
; %bb.387:                              ;   in Loop: Header=BB6_126 Depth=2
	v_and_b32_e32 v2, 7, v31
	v_lshrrev_b32_e32 v6, 3, v4
	v_cmp_gt_u32_e32 vcc, 8, v4
	v_ffbh_u32_e32 v4, v2
	v_min_u32_e32 v7, 32, v4
	v_subrev_u32_e32 v4, 28, v7
	v_lshlrev_b64 v[4:5], v4, v[31:32]
	v_sub_u32_e32 v5, 29, v7
	v_and_b32_e32 v4, 7, v4
	v_cndmask_b32_e32 v5, v6, v5, vcc
	v_cndmask_b32_e32 v2, v2, v4, vcc
	v_lshlrev_b32_e32 v4, 16, v38
	v_lshlrev_b32_e32 v2, 20, v2
	v_and_b32_e32 v4, 0x80000000, v4
	v_lshl_add_u32 v5, v5, 23, v62
	v_or3_b32 v2, v4, v5, v2
.LBB6_388:                              ;   in Loop: Header=BB6_126 Depth=2
	s_or_b64 exec, exec, s[88:89]
.LBB6_389:                              ;   in Loop: Header=BB6_126 Depth=2
	s_or_b64 exec, exec, s[78:79]
.LBB6_390:                              ;   in Loop: Header=BB6_126 Depth=2
	s_or_b64 exec, exec, s[20:21]
	v_add_f32_e32 v3, v3, v2
	v_and_b32_e32 v60, 0x7f800000, v3
	v_cmp_ne_u64_e32 vcc, s[56:57], v[60:61]
                                        ; implicit-def: $vgpr2
                                        ; kill: killed $vgpr2
	s_and_saveexec_b64 s[20:21], vcc
	s_xor_b64 s[78:79], exec, s[20:21]
	s_cbranch_execz .LBB6_404
; %bb.391:                              ;   in Loop: Header=BB6_126 Depth=2
	v_and_b32_e32 v60, 0x7fffffff, v3
	v_cmp_gt_u64_e32 vcc, s[58:59], v[60:61]
	v_and_b32_sdwa v2, v3, s52 dst_sel:DWORD dst_unused:UNUSED_PAD src0_sel:BYTE_3 src1_sel:DWORD
                                        ; implicit-def: $vgpr4
                                        ; kill: killed $vgpr4
	s_and_saveexec_b64 s[20:21], vcc
	s_xor_b64 s[88:89], exec, s[20:21]
	s_cbranch_execz .LBB6_401
; %bb.392:                              ;   in Loop: Header=BB6_126 Depth=2
	v_mov_b32_e32 v4, 0
	v_cmp_ne_u32_e32 vcc, 0, v3
	buffer_store_dword v4, off, s[0:3], s33 offset:124 ; 4-byte Folded Spill
	s_and_saveexec_b64 s[90:91], vcc
	s_cbranch_execz .LBB6_400
; %bb.393:                              ;   in Loop: Header=BB6_126 Depth=2
	v_and_b32_e32 v5, 0x7fffff, v3
	v_bfe_u32 v3, v3, 23, 8
	v_cmp_gt_u32_e64 s[20:21], s54, v3
	v_sub_u32_e32 v4, 0x79, v3
	v_cmp_eq_u32_e32 vcc, 0, v3
	v_cndmask_b32_e64 v4, 0, v4, s[20:21]
	v_mov_b32_e32 v7, 0x78
	v_or_b32_e32 v6, 0x800000, v5
	v_cndmask_b32_e32 v4, v4, v7, vcc
	v_cndmask_b32_e32 v60, v6, v5, vcc
	v_add_u32_e32 v5, 20, v4
	v_lshlrev_b64 v[5:6], v5, -1
	v_add_u32_e32 v7, 19, v4
	v_lshlrev_b64 v[7:8], v7, 1
	v_bfi_b32 v6, v6, 0, 0
	v_bfi_b32 v5, v5, 0, v60
	v_lshrrev_b64 v[36:37], v4, v[60:61]
	v_cmp_eq_u64_e64 s[20:21], v[5:6], v[7:8]
	v_mov_b32_e32 v30, v36
	v_mov_b32_e32 v31, v37
	s_and_saveexec_b64 s[92:93], s[20:21]
; %bb.394:                              ;   in Loop: Header=BB6_126 Depth=2
	v_bfe_u32 v5, v36, 20, 1
	v_add_co_u32_e64 v5, s[20:21], v36, v5
	v_add_co_u32_e64 v30, s[20:21], -1, v5
; %bb.395:                              ;   in Loop: Header=BB6_126 Depth=2
	s_or_b64 exec, exec, s[92:93]
	v_add_u32_e32 v3, 0xffffff81, v3
	v_mov_b32_e32 v5, 0xffffff82
	v_cndmask_b32_e32 v3, v3, v5, vcc
	v_lshrrev_b32_e32 v5, 23, v36
	v_add3_u32 v5, v4, v3, v5
	v_add_u32_e32 v4, 6, v5
	v_and_b32_e32 v3, 0xfffff, v30
	v_add_u32_e32 v60, v3, v36
	v_cmp_ne_u32_e32 vcc, 0, v4
                                        ; implicit-def: $vgpr36_vgpr37
                                        ; implicit-def: $vgpr3
	s_and_saveexec_b64 s[20:21], vcc
	s_xor_b64 s[20:21], exec, s[20:21]
; %bb.396:                              ;   in Loop: Header=BB6_126 Depth=2
	v_cmp_lt_u64_e32 vcc, s[60:61], v[60:61]
	v_add_u32_e32 v3, 7, v5
	v_cndmask_b32_e32 v3, v4, v3, vcc
	v_cndmask_b32_e64 v4, 0, 1, vcc
	v_lshrrev_b64 v[36:37], v4, v[60:61]
; %bb.397:                              ;   in Loop: Header=BB6_126 Depth=2
	s_andn2_saveexec_b64 s[20:21], s[20:21]
; %bb.398:                              ;   in Loop: Header=BB6_126 Depth=2
	v_mov_b32_e32 v36, v60
	v_bfe_u32 v3, v60, 23, 1
	v_mov_b32_e32 v37, v61
; %bb.399:                              ;   in Loop: Header=BB6_126 Depth=2
	s_or_b64 exec, exec, s[20:21]
	v_lshrrev_b64 v[4:5], 20, v[36:37]
	v_cmp_gt_i32_e32 vcc, 16, v3
	v_cndmask_b32_e32 v5, 0, v5, vcc
	v_cndmask_b32_e32 v4, 7, v4, vcc
	v_cmp_eq_u32_e32 vcc, 0, v3
	v_min_i32_e32 v3, 15, v3
	v_cmp_eq_u64_e64 s[20:21], 0, v[4:5]
	v_lshlrev_b32_e32 v3, 3, v3
	v_and_b32_e32 v3, 0xf8, v3
	v_and_or_b32 v3, v4, 7, v3
	s_and_b64 s[20:21], vcc, s[20:21]
	v_cndmask_b32_e64 v3, v3, 0, s[20:21]
	v_or_b32_e32 v2, v3, v2
	buffer_store_dword v2, off, s[0:3], s33 offset:124 ; 4-byte Folded Spill
.LBB6_400:                              ;   in Loop: Header=BB6_126 Depth=2
	s_or_b64 exec, exec, s[90:91]
                                        ; implicit-def: $vgpr2
.LBB6_401:                              ;   in Loop: Header=BB6_126 Depth=2
	s_andn2_saveexec_b64 s[20:21], s[88:89]
	s_cbranch_execz .LBB6_403
; %bb.402:                              ;   in Loop: Header=BB6_126 Depth=2
	v_or_b32_e32 v2, 0x7e, v2
	buffer_store_dword v2, off, s[0:3], s33 offset:124 ; 4-byte Folded Spill
.LBB6_403:                              ;   in Loop: Header=BB6_126 Depth=2
	s_or_b64 exec, exec, s[20:21]
                                        ; implicit-def: $vgpr3
.LBB6_404:                              ;   in Loop: Header=BB6_126 Depth=2
	s_andn2_saveexec_b64 s[20:21], s[78:79]
	s_cbranch_execz .LBB6_406
; %bb.405:                              ;   in Loop: Header=BB6_126 Depth=2
	v_or_b32_sdwa v2, v3, s53 dst_sel:DWORD dst_unused:UNUSED_PAD src0_sel:BYTE_3 src1_sel:DWORD
	buffer_store_dword v2, off, s[0:3], s33 offset:124 ; 4-byte Folded Spill
.LBB6_406:                              ;   in Loop: Header=BB6_126 Depth=2
	s_or_b64 exec, exec, s[20:21]
	v_lshrrev_b32_e32 v31, 16, v50
	v_cmp_ne_u16_sdwa s[78:79], v31, v61 src0_sel:BYTE_0 src1_sel:DWORD
	v_mov_b32_e32 v2, 0
	v_mov_b32_e32 v3, 0
	s_and_saveexec_b64 s[20:21], s[78:79]
	s_cbranch_execz .LBB6_412
; %bb.407:                              ;   in Loop: Header=BB6_126 Depth=2
	v_cmp_ne_u16_sdwa s[88:89], v31, s52 src0_sel:BYTE_0 src1_sel:DWORD
	v_bfrev_b32_e32 v3, 1
	s_and_saveexec_b64 s[78:79], s[88:89]
	s_cbranch_execz .LBB6_411
; %bb.408:                              ;   in Loop: Header=BB6_126 Depth=2
	v_bfe_u32 v4, v50, 16, 7
	v_cmp_ne_u32_e32 vcc, s53, v4
	v_mov_b32_e32 v3, 0x7f800001
	s_and_saveexec_b64 s[88:89], vcc
	s_cbranch_execz .LBB6_410
; %bb.409:                              ;   in Loop: Header=BB6_126 Depth=2
	v_and_b32_e32 v5, 7, v31
	v_ffbh_u32_e32 v3, v5
	v_min_u32_e32 v7, 32, v3
	v_subrev_u32_e32 v3, 28, v7
	v_lshrrev_b32_e32 v6, 3, v4
	v_cmp_gt_u32_e32 vcc, 8, v4
	v_lshlrev_b64 v[3:4], v3, v[31:32]
	v_sub_u32_e32 v4, 29, v7
	v_and_b32_e32 v3, 7, v3
	v_cndmask_b32_e32 v4, v6, v4, vcc
	v_cndmask_b32_e32 v3, v5, v3, vcc
	v_lshlrev_b32_e32 v5, 24, v31
	v_lshlrev_b32_e32 v3, 20, v3
	v_and_b32_e32 v5, 0x80000000, v5
	v_lshl_add_u32 v4, v4, 23, v62
	v_or3_b32 v3, v5, v4, v3
.LBB6_410:                              ;   in Loop: Header=BB6_126 Depth=2
	s_or_b64 exec, exec, s[88:89]
.LBB6_411:                              ;   in Loop: Header=BB6_126 Depth=2
	s_or_b64 exec, exec, s[78:79]
.LBB6_412:                              ;   in Loop: Header=BB6_126 Depth=2
	s_or_b64 exec, exec, s[20:21]
	v_lshrrev_b32_e32 v31, 16, v38
	v_cmp_ne_u16_sdwa s[78:79], v31, v61 src0_sel:BYTE_0 src1_sel:DWORD
	s_and_saveexec_b64 s[20:21], s[78:79]
	s_cbranch_execz .LBB6_418
; %bb.413:                              ;   in Loop: Header=BB6_126 Depth=2
	v_cmp_ne_u16_sdwa s[88:89], v31, s52 src0_sel:BYTE_0 src1_sel:DWORD
	v_bfrev_b32_e32 v2, 1
	s_and_saveexec_b64 s[78:79], s[88:89]
	s_cbranch_execz .LBB6_417
; %bb.414:                              ;   in Loop: Header=BB6_126 Depth=2
	v_bfe_u32 v4, v38, 16, 7
	v_cmp_ne_u32_e32 vcc, s53, v4
	v_mov_b32_e32 v2, 0x7f800001
	s_and_saveexec_b64 s[88:89], vcc
	s_cbranch_execz .LBB6_416
; %bb.415:                              ;   in Loop: Header=BB6_126 Depth=2
	v_and_b32_e32 v2, 7, v31
	v_lshrrev_b32_e32 v6, 3, v4
	v_cmp_gt_u32_e32 vcc, 8, v4
	v_ffbh_u32_e32 v4, v2
	v_min_u32_e32 v7, 32, v4
	v_subrev_u32_e32 v4, 28, v7
	v_lshlrev_b64 v[4:5], v4, v[31:32]
	v_sub_u32_e32 v5, 29, v7
	v_and_b32_e32 v4, 7, v4
	v_cndmask_b32_e32 v5, v6, v5, vcc
	v_cndmask_b32_e32 v2, v2, v4, vcc
	v_lshlrev_b32_e32 v4, 8, v38
	v_lshlrev_b32_e32 v2, 20, v2
	v_and_b32_e32 v4, 0x80000000, v4
	v_lshl_add_u32 v5, v5, 23, v62
	v_or3_b32 v2, v4, v5, v2
.LBB6_416:                              ;   in Loop: Header=BB6_126 Depth=2
	s_or_b64 exec, exec, s[88:89]
.LBB6_417:                              ;   in Loop: Header=BB6_126 Depth=2
	s_or_b64 exec, exec, s[78:79]
.LBB6_418:                              ;   in Loop: Header=BB6_126 Depth=2
	s_or_b64 exec, exec, s[20:21]
	v_add_f32_e32 v3, v3, v2
	v_and_b32_e32 v60, 0x7f800000, v3
	v_cmp_ne_u64_e32 vcc, s[56:57], v[60:61]
                                        ; implicit-def: $vgpr2
                                        ; kill: killed $vgpr2
	s_and_saveexec_b64 s[20:21], vcc
	s_xor_b64 s[78:79], exec, s[20:21]
	s_cbranch_execz .LBB6_432
; %bb.419:                              ;   in Loop: Header=BB6_126 Depth=2
	v_and_b32_e32 v60, 0x7fffffff, v3
	v_cmp_gt_u64_e32 vcc, s[58:59], v[60:61]
	v_and_b32_sdwa v2, v3, s52 dst_sel:DWORD dst_unused:UNUSED_PAD src0_sel:BYTE_3 src1_sel:DWORD
                                        ; implicit-def: $vgpr4
                                        ; kill: killed $vgpr4
	s_and_saveexec_b64 s[20:21], vcc
	s_xor_b64 s[88:89], exec, s[20:21]
	s_cbranch_execz .LBB6_429
; %bb.420:                              ;   in Loop: Header=BB6_126 Depth=2
	v_mov_b32_e32 v4, 0
	v_cmp_ne_u32_e32 vcc, 0, v3
	buffer_store_dword v4, off, s[0:3], s33 offset:128 ; 4-byte Folded Spill
	s_and_saveexec_b64 s[90:91], vcc
	s_cbranch_execz .LBB6_428
; %bb.421:                              ;   in Loop: Header=BB6_126 Depth=2
	v_and_b32_e32 v5, 0x7fffff, v3
	v_bfe_u32 v3, v3, 23, 8
	v_cmp_gt_u32_e64 s[20:21], s54, v3
	v_sub_u32_e32 v4, 0x79, v3
	v_cmp_eq_u32_e32 vcc, 0, v3
	v_cndmask_b32_e64 v4, 0, v4, s[20:21]
	v_mov_b32_e32 v7, 0x78
	v_or_b32_e32 v6, 0x800000, v5
	v_cndmask_b32_e32 v4, v4, v7, vcc
	v_cndmask_b32_e32 v60, v6, v5, vcc
	v_add_u32_e32 v5, 20, v4
	v_lshlrev_b64 v[5:6], v5, -1
	v_add_u32_e32 v7, 19, v4
	v_lshlrev_b64 v[7:8], v7, 1
	v_bfi_b32 v6, v6, 0, 0
	v_bfi_b32 v5, v5, 0, v60
	v_lshrrev_b64 v[36:37], v4, v[60:61]
	v_cmp_eq_u64_e64 s[20:21], v[5:6], v[7:8]
	v_mov_b32_e32 v30, v36
	v_mov_b32_e32 v31, v37
	s_and_saveexec_b64 s[92:93], s[20:21]
; %bb.422:                              ;   in Loop: Header=BB6_126 Depth=2
	v_bfe_u32 v5, v36, 20, 1
	v_add_co_u32_e64 v5, s[20:21], v36, v5
	v_add_co_u32_e64 v30, s[20:21], -1, v5
; %bb.423:                              ;   in Loop: Header=BB6_126 Depth=2
	s_or_b64 exec, exec, s[92:93]
	v_add_u32_e32 v3, 0xffffff81, v3
	v_mov_b32_e32 v5, 0xffffff82
	v_cndmask_b32_e32 v3, v3, v5, vcc
	v_lshrrev_b32_e32 v5, 23, v36
	v_add3_u32 v5, v4, v3, v5
	v_add_u32_e32 v4, 6, v5
	v_and_b32_e32 v3, 0xfffff, v30
	v_add_u32_e32 v60, v3, v36
	v_cmp_ne_u32_e32 vcc, 0, v4
                                        ; implicit-def: $vgpr36_vgpr37
                                        ; implicit-def: $vgpr3
	s_and_saveexec_b64 s[20:21], vcc
	s_xor_b64 s[20:21], exec, s[20:21]
; %bb.424:                              ;   in Loop: Header=BB6_126 Depth=2
	v_cmp_lt_u64_e32 vcc, s[60:61], v[60:61]
	v_add_u32_e32 v3, 7, v5
	v_cndmask_b32_e32 v3, v4, v3, vcc
	v_cndmask_b32_e64 v4, 0, 1, vcc
	v_lshrrev_b64 v[36:37], v4, v[60:61]
; %bb.425:                              ;   in Loop: Header=BB6_126 Depth=2
	s_andn2_saveexec_b64 s[20:21], s[20:21]
; %bb.426:                              ;   in Loop: Header=BB6_126 Depth=2
	v_mov_b32_e32 v36, v60
	v_bfe_u32 v3, v60, 23, 1
	v_mov_b32_e32 v37, v61
; %bb.427:                              ;   in Loop: Header=BB6_126 Depth=2
	s_or_b64 exec, exec, s[20:21]
	v_lshrrev_b64 v[4:5], 20, v[36:37]
	v_cmp_gt_i32_e32 vcc, 16, v3
	v_cndmask_b32_e32 v5, 0, v5, vcc
	v_cndmask_b32_e32 v4, 7, v4, vcc
	v_cmp_eq_u32_e32 vcc, 0, v3
	v_min_i32_e32 v3, 15, v3
	v_cmp_eq_u64_e64 s[20:21], 0, v[4:5]
	v_lshlrev_b32_e32 v3, 3, v3
	v_and_b32_e32 v3, 0xf8, v3
	v_and_or_b32 v3, v4, 7, v3
	s_and_b64 s[20:21], vcc, s[20:21]
	v_cndmask_b32_e64 v3, v3, 0, s[20:21]
	v_or_b32_e32 v2, v3, v2
	buffer_store_dword v2, off, s[0:3], s33 offset:128 ; 4-byte Folded Spill
.LBB6_428:                              ;   in Loop: Header=BB6_126 Depth=2
	s_or_b64 exec, exec, s[90:91]
                                        ; implicit-def: $vgpr2
.LBB6_429:                              ;   in Loop: Header=BB6_126 Depth=2
	s_andn2_saveexec_b64 s[20:21], s[88:89]
	s_cbranch_execz .LBB6_431
; %bb.430:                              ;   in Loop: Header=BB6_126 Depth=2
	v_or_b32_e32 v2, 0x7e, v2
	buffer_store_dword v2, off, s[0:3], s33 offset:128 ; 4-byte Folded Spill
.LBB6_431:                              ;   in Loop: Header=BB6_126 Depth=2
	s_or_b64 exec, exec, s[20:21]
                                        ; implicit-def: $vgpr3
.LBB6_432:                              ;   in Loop: Header=BB6_126 Depth=2
	s_andn2_saveexec_b64 s[20:21], s[78:79]
	s_cbranch_execz .LBB6_434
; %bb.433:                              ;   in Loop: Header=BB6_126 Depth=2
	v_or_b32_sdwa v2, v3, s53 dst_sel:DWORD dst_unused:UNUSED_PAD src0_sel:BYTE_3 src1_sel:DWORD
	buffer_store_dword v2, off, s[0:3], s33 offset:128 ; 4-byte Folded Spill
.LBB6_434:                              ;   in Loop: Header=BB6_126 Depth=2
	s_or_b64 exec, exec, s[20:21]
	v_cmp_lt_u32_e32 vcc, s63, v50
	v_mov_b32_e32 v2, 0
	v_mov_b32_e32 v3, 0
	s_and_saveexec_b64 s[20:21], vcc
	s_cbranch_execz .LBB6_440
; %bb.435:                              ;   in Loop: Header=BB6_126 Depth=2
	v_lshrrev_b32_e32 v31, 24, v50
	v_cmp_ne_u32_e32 vcc, s52, v31
	v_bfrev_b32_e32 v3, 1
	s_and_saveexec_b64 s[78:79], vcc
	s_cbranch_execz .LBB6_439
; %bb.436:                              ;   in Loop: Header=BB6_126 Depth=2
	v_bfe_u32 v4, v50, 24, 7
	v_cmp_ne_u32_e32 vcc, s53, v4
	v_mov_b32_e32 v3, 0x7f800001
	s_and_saveexec_b64 s[88:89], vcc
	s_cbranch_execz .LBB6_438
; %bb.437:                              ;   in Loop: Header=BB6_126 Depth=2
	v_and_b32_e32 v5, 7, v31
	v_ffbh_u32_e32 v3, v5
	v_min_u32_e32 v7, 32, v3
	v_subrev_u32_e32 v3, 28, v7
	v_lshrrev_b32_e32 v6, 3, v4
	v_cmp_gt_u32_e32 vcc, 8, v4
	v_lshlrev_b64 v[3:4], v3, v[31:32]
	v_sub_u32_e32 v4, 29, v7
	v_and_b32_e32 v3, 7, v3
	v_cndmask_b32_e32 v4, v6, v4, vcc
	v_cndmask_b32_e32 v3, v5, v3, vcc
	v_lshlrev_b32_e32 v5, 24, v31
	v_lshlrev_b32_e32 v3, 20, v3
	v_and_b32_e32 v5, 0x80000000, v5
	v_lshl_add_u32 v4, v4, 23, v62
	v_or3_b32 v3, v5, v4, v3
.LBB6_438:                              ;   in Loop: Header=BB6_126 Depth=2
	s_or_b64 exec, exec, s[88:89]
.LBB6_439:                              ;   in Loop: Header=BB6_126 Depth=2
	s_or_b64 exec, exec, s[78:79]
.LBB6_440:                              ;   in Loop: Header=BB6_126 Depth=2
	s_or_b64 exec, exec, s[20:21]
	v_cmp_lt_u32_e32 vcc, s63, v38
	s_and_saveexec_b64 s[20:21], vcc
	s_cbranch_execz .LBB6_446
; %bb.441:                              ;   in Loop: Header=BB6_126 Depth=2
	v_lshrrev_b32_e32 v31, 24, v38
	v_cmp_ne_u32_e32 vcc, s52, v31
	v_bfrev_b32_e32 v2, 1
	s_and_saveexec_b64 s[78:79], vcc
	s_cbranch_execz .LBB6_445
; %bb.442:                              ;   in Loop: Header=BB6_126 Depth=2
	v_bfe_u32 v4, v38, 24, 7
	v_cmp_ne_u32_e32 vcc, s53, v4
	v_mov_b32_e32 v2, 0x7f800001
	s_and_saveexec_b64 s[88:89], vcc
	s_cbranch_execz .LBB6_444
; %bb.443:                              ;   in Loop: Header=BB6_126 Depth=2
	v_and_b32_e32 v2, 7, v31
	v_lshrrev_b32_e32 v6, 3, v4
	v_cmp_gt_u32_e32 vcc, 8, v4
	v_ffbh_u32_e32 v4, v2
	v_min_u32_e32 v7, 32, v4
	v_subrev_u32_e32 v4, 28, v7
	v_lshlrev_b64 v[4:5], v4, v[31:32]
	v_sub_u32_e32 v5, 29, v7
	v_and_b32_e32 v4, 7, v4
	v_cndmask_b32_e32 v5, v6, v5, vcc
	v_cndmask_b32_e32 v2, v2, v4, vcc
	v_lshlrev_b32_e32 v4, 24, v31
	v_lshlrev_b32_e32 v2, 20, v2
	v_and_b32_e32 v4, 0x80000000, v4
	v_lshl_add_u32 v5, v5, 23, v62
	v_or3_b32 v2, v4, v5, v2
.LBB6_444:                              ;   in Loop: Header=BB6_126 Depth=2
	s_or_b64 exec, exec, s[88:89]
.LBB6_445:                              ;   in Loop: Header=BB6_126 Depth=2
	s_or_b64 exec, exec, s[78:79]
.LBB6_446:                              ;   in Loop: Header=BB6_126 Depth=2
	s_or_b64 exec, exec, s[20:21]
	v_add_f32_e32 v3, v3, v2
	v_and_b32_e32 v60, 0x7f800000, v3
	v_cmp_ne_u64_e32 vcc, s[56:57], v[60:61]
                                        ; implicit-def: $vgpr2
                                        ; kill: killed $vgpr2
	s_and_saveexec_b64 s[20:21], vcc
	s_xor_b64 s[78:79], exec, s[20:21]
	s_cbranch_execz .LBB6_460
; %bb.447:                              ;   in Loop: Header=BB6_126 Depth=2
	v_and_b32_e32 v60, 0x7fffffff, v3
	v_cmp_gt_u64_e32 vcc, s[58:59], v[60:61]
	v_and_b32_sdwa v2, v3, s52 dst_sel:DWORD dst_unused:UNUSED_PAD src0_sel:BYTE_3 src1_sel:DWORD
                                        ; implicit-def: $vgpr4
                                        ; kill: killed $vgpr4
	s_and_saveexec_b64 s[20:21], vcc
	s_xor_b64 s[88:89], exec, s[20:21]
	s_cbranch_execz .LBB6_457
; %bb.448:                              ;   in Loop: Header=BB6_126 Depth=2
	v_mov_b32_e32 v4, 0
	v_cmp_ne_u32_e32 vcc, 0, v3
	buffer_store_dword v4, off, s[0:3], s33 offset:132 ; 4-byte Folded Spill
	s_and_saveexec_b64 s[90:91], vcc
	s_cbranch_execz .LBB6_456
; %bb.449:                              ;   in Loop: Header=BB6_126 Depth=2
	v_and_b32_e32 v5, 0x7fffff, v3
	v_bfe_u32 v3, v3, 23, 8
	v_cmp_gt_u32_e64 s[20:21], s54, v3
	v_sub_u32_e32 v4, 0x79, v3
	v_cmp_eq_u32_e32 vcc, 0, v3
	v_cndmask_b32_e64 v4, 0, v4, s[20:21]
	v_mov_b32_e32 v7, 0x78
	v_or_b32_e32 v6, 0x800000, v5
	v_cndmask_b32_e32 v4, v4, v7, vcc
	v_cndmask_b32_e32 v60, v6, v5, vcc
	v_add_u32_e32 v5, 20, v4
	v_lshlrev_b64 v[5:6], v5, -1
	v_add_u32_e32 v7, 19, v4
	v_lshlrev_b64 v[7:8], v7, 1
	v_bfi_b32 v6, v6, 0, 0
	v_bfi_b32 v5, v5, 0, v60
	v_lshrrev_b64 v[36:37], v4, v[60:61]
	v_cmp_eq_u64_e64 s[20:21], v[5:6], v[7:8]
	v_mov_b32_e32 v30, v36
	v_mov_b32_e32 v31, v37
	s_and_saveexec_b64 s[92:93], s[20:21]
; %bb.450:                              ;   in Loop: Header=BB6_126 Depth=2
	v_bfe_u32 v5, v36, 20, 1
	v_add_co_u32_e64 v5, s[20:21], v36, v5
	v_add_co_u32_e64 v30, s[20:21], -1, v5
; %bb.451:                              ;   in Loop: Header=BB6_126 Depth=2
	s_or_b64 exec, exec, s[92:93]
	v_add_u32_e32 v3, 0xffffff81, v3
	v_mov_b32_e32 v5, 0xffffff82
	v_cndmask_b32_e32 v3, v3, v5, vcc
	v_lshrrev_b32_e32 v5, 23, v36
	v_add3_u32 v5, v4, v3, v5
	v_add_u32_e32 v4, 6, v5
	v_and_b32_e32 v3, 0xfffff, v30
	v_add_u32_e32 v60, v3, v36
	v_cmp_ne_u32_e32 vcc, 0, v4
                                        ; implicit-def: $vgpr36_vgpr37
                                        ; implicit-def: $vgpr3
	s_and_saveexec_b64 s[20:21], vcc
	s_xor_b64 s[20:21], exec, s[20:21]
; %bb.452:                              ;   in Loop: Header=BB6_126 Depth=2
	v_cmp_lt_u64_e32 vcc, s[60:61], v[60:61]
	v_add_u32_e32 v3, 7, v5
	v_cndmask_b32_e32 v3, v4, v3, vcc
	v_cndmask_b32_e64 v4, 0, 1, vcc
	v_lshrrev_b64 v[36:37], v4, v[60:61]
; %bb.453:                              ;   in Loop: Header=BB6_126 Depth=2
	s_andn2_saveexec_b64 s[20:21], s[20:21]
; %bb.454:                              ;   in Loop: Header=BB6_126 Depth=2
	v_mov_b32_e32 v36, v60
	v_bfe_u32 v3, v60, 23, 1
	v_mov_b32_e32 v37, v61
; %bb.455:                              ;   in Loop: Header=BB6_126 Depth=2
	s_or_b64 exec, exec, s[20:21]
	v_lshrrev_b64 v[4:5], 20, v[36:37]
	v_cmp_gt_i32_e32 vcc, 16, v3
	v_cndmask_b32_e32 v5, 0, v5, vcc
	v_cndmask_b32_e32 v4, 7, v4, vcc
	v_cmp_eq_u32_e32 vcc, 0, v3
	v_min_i32_e32 v3, 15, v3
	v_cmp_eq_u64_e64 s[20:21], 0, v[4:5]
	v_lshlrev_b32_e32 v3, 3, v3
	v_and_b32_e32 v3, 0xf8, v3
	v_and_or_b32 v3, v4, 7, v3
	s_and_b64 s[20:21], vcc, s[20:21]
	v_cndmask_b32_e64 v3, v3, 0, s[20:21]
	v_or_b32_e32 v2, v3, v2
	buffer_store_dword v2, off, s[0:3], s33 offset:132 ; 4-byte Folded Spill
.LBB6_456:                              ;   in Loop: Header=BB6_126 Depth=2
	s_or_b64 exec, exec, s[90:91]
                                        ; implicit-def: $vgpr2
.LBB6_457:                              ;   in Loop: Header=BB6_126 Depth=2
	s_andn2_saveexec_b64 s[20:21], s[88:89]
	s_cbranch_execz .LBB6_459
; %bb.458:                              ;   in Loop: Header=BB6_126 Depth=2
	v_or_b32_e32 v2, 0x7e, v2
	buffer_store_dword v2, off, s[0:3], s33 offset:132 ; 4-byte Folded Spill
.LBB6_459:                              ;   in Loop: Header=BB6_126 Depth=2
	s_or_b64 exec, exec, s[20:21]
                                        ; implicit-def: $vgpr3
.LBB6_460:                              ;   in Loop: Header=BB6_126 Depth=2
	s_andn2_saveexec_b64 s[20:21], s[78:79]
	s_cbranch_execz .LBB6_462
; %bb.461:                              ;   in Loop: Header=BB6_126 Depth=2
	v_or_b32_sdwa v2, v3, s53 dst_sel:DWORD dst_unused:UNUSED_PAD src0_sel:BYTE_3 src1_sel:DWORD
	buffer_store_dword v2, off, s[0:3], s33 offset:132 ; 4-byte Folded Spill
.LBB6_462:                              ;   in Loop: Header=BB6_126 Depth=2
	s_or_b64 exec, exec, s[20:21]
	v_mov_b32_e32 v60, v51
	v_cmp_ne_u16_sdwa s[78:79], v51, v61 src0_sel:BYTE_0 src1_sel:DWORD
	v_mov_b32_e32 v3, 0
	v_mov_b32_e32 v2, 0
	s_and_saveexec_b64 s[20:21], s[78:79]
	s_cbranch_execz .LBB6_468
; %bb.463:                              ;   in Loop: Header=BB6_126 Depth=2
	v_cmp_ne_u16_sdwa s[88:89], v51, s52 src0_sel:BYTE_0 src1_sel:DWORD
	v_bfrev_b32_e32 v2, 1
	s_and_saveexec_b64 s[78:79], s[88:89]
	s_cbranch_execz .LBB6_467
; %bb.464:                              ;   in Loop: Header=BB6_126 Depth=2
	v_and_b32_e32 v4, 0x7f, v51
	v_cmp_ne_u32_e32 vcc, s53, v4
	v_mov_b32_e32 v2, 0x7f800001
	s_and_saveexec_b64 s[88:89], vcc
	s_cbranch_execz .LBB6_466
; %bb.465:                              ;   in Loop: Header=BB6_126 Depth=2
	v_and_b32_e32 v2, 7, v51
	v_ffbh_u32_e32 v2, v2
	v_min_u32_e32 v2, 32, v2
	v_lshrrev_b32_e32 v5, 3, v4
	v_cmp_gt_u32_e32 vcc, 8, v4
	v_subrev_u32_e32 v4, 28, v2
	v_sub_u32_e32 v2, 29, v2
	v_cndmask_b32_e32 v4, 0, v4, vcc
	v_cndmask_b32_e32 v2, v5, v2, vcc
	v_lshlrev_b64 v[4:5], v4, v[60:61]
	v_lshlrev_b32_e32 v5, 24, v60
	v_lshlrev_b32_e32 v4, 20, v4
	v_and_b32_e32 v4, 0x700000, v4
	v_and_b32_e32 v5, 0x80000000, v5
	v_lshl_add_u32 v2, v2, 23, v62
	v_or3_b32 v2, v5, v2, v4
.LBB6_466:                              ;   in Loop: Header=BB6_126 Depth=2
	s_or_b64 exec, exec, s[88:89]
.LBB6_467:                              ;   in Loop: Header=BB6_126 Depth=2
	s_or_b64 exec, exec, s[78:79]
.LBB6_468:                              ;   in Loop: Header=BB6_126 Depth=2
	s_or_b64 exec, exec, s[20:21]
	v_cmp_ne_u16_sdwa s[78:79], v39, v61 src0_sel:BYTE_0 src1_sel:DWORD
	s_and_saveexec_b64 s[20:21], s[78:79]
	s_cbranch_execz .LBB6_474
; %bb.469:                              ;   in Loop: Header=BB6_126 Depth=2
	v_cmp_ne_u16_sdwa s[88:89], v39, s52 src0_sel:BYTE_0 src1_sel:DWORD
	v_bfrev_b32_e32 v3, 1
	s_and_saveexec_b64 s[78:79], s[88:89]
	s_cbranch_execz .LBB6_473
; %bb.470:                              ;   in Loop: Header=BB6_126 Depth=2
	v_and_b32_e32 v4, 0x7f, v39
	v_cmp_ne_u32_e32 vcc, s53, v4
	v_mov_b32_e32 v3, 0x7f800001
	s_and_saveexec_b64 s[88:89], vcc
	s_cbranch_execz .LBB6_472
; %bb.471:                              ;   in Loop: Header=BB6_126 Depth=2
	v_and_b32_e32 v3, 7, v39
	v_ffbh_u32_e32 v3, v3
	v_min_u32_e32 v3, 32, v3
	v_lshrrev_b32_e32 v7, 3, v4
	v_cmp_gt_u32_e32 vcc, 8, v4
	v_subrev_u32_e32 v4, 28, v3
	v_sub_u32_e32 v3, 29, v3
	v_mov_b32_e32 v5, v39
	v_mov_b32_e32 v6, v61
	v_cndmask_b32_e32 v7, v7, v3, vcc
	v_cndmask_b32_e32 v3, 0, v4, vcc
	v_lshlrev_b64 v[3:4], v3, v[5:6]
	v_lshlrev_b32_e32 v4, 24, v5
	v_lshlrev_b32_e32 v3, 20, v3
	v_and_b32_e32 v3, 0x700000, v3
	v_and_b32_e32 v4, 0x80000000, v4
	v_lshl_add_u32 v5, v7, 23, v62
	v_or3_b32 v3, v4, v5, v3
.LBB6_472:                              ;   in Loop: Header=BB6_126 Depth=2
	s_or_b64 exec, exec, s[88:89]
.LBB6_473:                              ;   in Loop: Header=BB6_126 Depth=2
	s_or_b64 exec, exec, s[78:79]
.LBB6_474:                              ;   in Loop: Header=BB6_126 Depth=2
	s_or_b64 exec, exec, s[20:21]
	v_add_f32_e32 v3, v2, v3
	v_and_b32_e32 v4, 0x7f800000, v3
	v_mov_b32_e32 v5, v61
	v_cmp_ne_u64_e32 vcc, s[56:57], v[4:5]
                                        ; implicit-def: $vgpr2
                                        ; kill: killed $vgpr2
	s_and_saveexec_b64 s[20:21], vcc
	s_xor_b64 s[78:79], exec, s[20:21]
	s_cbranch_execz .LBB6_488
; %bb.475:                              ;   in Loop: Header=BB6_126 Depth=2
	v_and_b32_e32 v4, 0x7fffffff, v3
	v_mov_b32_e32 v5, v61
	v_cmp_gt_u64_e32 vcc, s[58:59], v[4:5]
	v_and_b32_sdwa v2, v3, s52 dst_sel:DWORD dst_unused:UNUSED_PAD src0_sel:BYTE_3 src1_sel:DWORD
                                        ; implicit-def: $vgpr4
                                        ; kill: killed $vgpr4
	s_and_saveexec_b64 s[20:21], vcc
	s_xor_b64 s[88:89], exec, s[20:21]
	s_cbranch_execz .LBB6_485
; %bb.476:                              ;   in Loop: Header=BB6_126 Depth=2
	v_mov_b32_e32 v4, 0
	v_cmp_ne_u32_e32 vcc, 0, v3
	buffer_store_dword v4, off, s[0:3], s33 offset:136 ; 4-byte Folded Spill
	s_and_saveexec_b64 s[90:91], vcc
	s_cbranch_execz .LBB6_484
; %bb.477:                              ;   in Loop: Header=BB6_126 Depth=2
	v_and_b32_e32 v5, 0x7fffff, v3
	v_bfe_u32 v3, v3, 23, 8
	v_cmp_gt_u32_e64 s[20:21], s54, v3
	v_sub_u32_e32 v4, 0x79, v3
	v_cmp_eq_u32_e32 vcc, 0, v3
	v_cndmask_b32_e64 v4, 0, v4, s[20:21]
	v_mov_b32_e32 v7, 0x78
	v_cndmask_b32_e32 v4, v4, v7, vcc
	v_add_u32_e32 v7, 20, v4
	v_or_b32_e32 v6, 0x800000, v5
	v_lshlrev_b64 v[7:8], v7, -1
	v_add_u32_e32 v9, 19, v4
	v_cndmask_b32_e32 v5, v6, v5, vcc
	v_mov_b32_e32 v6, v61
	v_lshlrev_b64 v[30:31], v9, 1
	v_bfi_b32 v8, v8, 0, 0
	v_bfi_b32 v7, v7, 0, v5
	v_lshrrev_b64 v[36:37], v4, v[5:6]
	v_cmp_eq_u64_e64 s[20:21], v[7:8], v[30:31]
	v_mov_b32_e32 v30, v36
	v_mov_b32_e32 v31, v37
	s_and_saveexec_b64 s[92:93], s[20:21]
; %bb.478:                              ;   in Loop: Header=BB6_126 Depth=2
	v_bfe_u32 v5, v36, 20, 1
	v_add_co_u32_e64 v5, s[20:21], v36, v5
	v_add_co_u32_e64 v30, s[20:21], -1, v5
; %bb.479:                              ;   in Loop: Header=BB6_126 Depth=2
	s_or_b64 exec, exec, s[92:93]
	v_add_u32_e32 v3, 0xffffff81, v3
	v_mov_b32_e32 v5, 0xffffff82
	v_cndmask_b32_e32 v3, v3, v5, vcc
	v_lshrrev_b32_e32 v5, 23, v36
	v_add3_u32 v5, v4, v3, v5
	v_add_u32_e32 v4, 6, v5
	v_and_b32_e32 v3, 0xfffff, v30
	v_add_u32_e32 v36, v3, v36
	v_mov_b32_e32 v37, v61
	v_cmp_ne_u32_e32 vcc, 0, v4
                                        ; implicit-def: $vgpr3
	s_and_saveexec_b64 s[20:21], vcc
	s_xor_b64 s[20:21], exec, s[20:21]
; %bb.480:                              ;   in Loop: Header=BB6_126 Depth=2
	v_cmp_lt_u64_e32 vcc, s[60:61], v[36:37]
	v_add_u32_e32 v3, 7, v5
	v_cndmask_b32_e32 v3, v4, v3, vcc
	v_cndmask_b32_e64 v4, 0, 1, vcc
	v_lshrrev_b64 v[36:37], v4, v[36:37]
; %bb.481:                              ;   in Loop: Header=BB6_126 Depth=2
	s_andn2_saveexec_b64 s[20:21], s[20:21]
; %bb.482:                              ;   in Loop: Header=BB6_126 Depth=2
	v_bfe_u32 v3, v36, 23, 1
; %bb.483:                              ;   in Loop: Header=BB6_126 Depth=2
	s_or_b64 exec, exec, s[20:21]
	v_lshrrev_b64 v[4:5], 20, v[36:37]
	v_cmp_gt_i32_e32 vcc, 16, v3
	v_cndmask_b32_e32 v5, 0, v5, vcc
	v_cndmask_b32_e32 v4, 7, v4, vcc
	v_cmp_eq_u32_e32 vcc, 0, v3
	v_min_i32_e32 v3, 15, v3
	v_cmp_eq_u64_e64 s[20:21], 0, v[4:5]
	v_lshlrev_b32_e32 v3, 3, v3
	v_and_b32_e32 v3, 0xf8, v3
	v_and_or_b32 v3, v4, 7, v3
	s_and_b64 s[20:21], vcc, s[20:21]
	v_cndmask_b32_e64 v3, v3, 0, s[20:21]
	v_or_b32_e32 v2, v3, v2
	buffer_store_dword v2, off, s[0:3], s33 offset:136 ; 4-byte Folded Spill
.LBB6_484:                              ;   in Loop: Header=BB6_126 Depth=2
	s_or_b64 exec, exec, s[90:91]
                                        ; implicit-def: $vgpr2
.LBB6_485:                              ;   in Loop: Header=BB6_126 Depth=2
	s_andn2_saveexec_b64 s[20:21], s[88:89]
	s_cbranch_execz .LBB6_487
; %bb.486:                              ;   in Loop: Header=BB6_126 Depth=2
	v_or_b32_e32 v2, 0x7e, v2
	buffer_store_dword v2, off, s[0:3], s33 offset:136 ; 4-byte Folded Spill
.LBB6_487:                              ;   in Loop: Header=BB6_126 Depth=2
	s_or_b64 exec, exec, s[20:21]
                                        ; implicit-def: $vgpr3
.LBB6_488:                              ;   in Loop: Header=BB6_126 Depth=2
	s_andn2_saveexec_b64 s[20:21], s[78:79]
	s_cbranch_execz .LBB6_490
; %bb.489:                              ;   in Loop: Header=BB6_126 Depth=2
	v_or_b32_sdwa v2, v3, s53 dst_sel:DWORD dst_unused:UNUSED_PAD src0_sel:BYTE_3 src1_sel:DWORD
	buffer_store_dword v2, off, s[0:3], s33 offset:136 ; 4-byte Folded Spill
.LBB6_490:                              ;   in Loop: Header=BB6_126 Depth=2
	s_or_b64 exec, exec, s[20:21]
	v_lshrrev_b16_e32 v31, 8, v60
	v_cmp_ne_u16_e32 vcc, 0, v31
	v_mov_b32_e32 v2, 0
	v_mov_b32_e32 v3, 0
	s_and_saveexec_b64 s[20:21], vcc
	s_cbranch_execz .LBB6_496
; %bb.491:                              ;   in Loop: Header=BB6_126 Depth=2
	v_cmp_ne_u16_e32 vcc, s52, v31
	v_bfrev_b32_e32 v3, 1
	s_and_saveexec_b64 s[78:79], vcc
	s_cbranch_execz .LBB6_495
; %bb.492:                              ;   in Loop: Header=BB6_126 Depth=2
	v_and_b32_e32 v4, 0x7f, v31
	v_cmp_ne_u32_e32 vcc, s53, v4
	v_mov_b32_e32 v3, 0x7f800001
	s_and_saveexec_b64 s[88:89], vcc
	s_cbranch_execz .LBB6_494
; %bb.493:                              ;   in Loop: Header=BB6_126 Depth=2
	v_and_b32_e32 v5, 7, v31
	v_ffbh_u32_e32 v3, v5
	v_min_u32_e32 v7, 32, v3
	v_subrev_u32_e32 v3, 28, v7
	v_lshrrev_b32_e32 v6, 3, v4
	v_cmp_gt_u32_e32 vcc, 8, v4
	v_lshlrev_b64 v[3:4], v3, v[31:32]
	v_sub_u32_e32 v4, 29, v7
	v_and_b32_e32 v3, 7, v3
	v_cndmask_b32_e32 v4, v6, v4, vcc
	v_cndmask_b32_e32 v3, v5, v3, vcc
	v_lshlrev_b32_e32 v5, 16, v60
	v_lshlrev_b32_e32 v3, 20, v3
	v_and_b32_e32 v5, 0x80000000, v5
	v_lshl_add_u32 v4, v4, 23, v62
	v_or3_b32 v3, v5, v4, v3
.LBB6_494:                              ;   in Loop: Header=BB6_126 Depth=2
	s_or_b64 exec, exec, s[88:89]
.LBB6_495:                              ;   in Loop: Header=BB6_126 Depth=2
	s_or_b64 exec, exec, s[78:79]
.LBB6_496:                              ;   in Loop: Header=BB6_126 Depth=2
	s_or_b64 exec, exec, s[20:21]
	v_lshrrev_b16_e32 v31, 8, v39
	v_cmp_ne_u16_e32 vcc, 0, v31
	s_and_saveexec_b64 s[20:21], vcc
	s_cbranch_execz .LBB6_502
; %bb.497:                              ;   in Loop: Header=BB6_126 Depth=2
	v_cmp_ne_u16_e32 vcc, s52, v31
	v_bfrev_b32_e32 v2, 1
	s_and_saveexec_b64 s[78:79], vcc
	s_cbranch_execz .LBB6_501
; %bb.498:                              ;   in Loop: Header=BB6_126 Depth=2
	v_and_b32_e32 v4, 0x7f, v31
	v_cmp_ne_u32_e32 vcc, s53, v4
	v_mov_b32_e32 v2, 0x7f800001
	s_and_saveexec_b64 s[88:89], vcc
	s_cbranch_execz .LBB6_500
; %bb.499:                              ;   in Loop: Header=BB6_126 Depth=2
	v_and_b32_e32 v2, 7, v31
	v_lshrrev_b32_e32 v6, 3, v4
	v_cmp_gt_u32_e32 vcc, 8, v4
	v_ffbh_u32_e32 v4, v2
	v_min_u32_e32 v7, 32, v4
	v_subrev_u32_e32 v4, 28, v7
	v_lshlrev_b64 v[4:5], v4, v[31:32]
	v_sub_u32_e32 v5, 29, v7
	v_and_b32_e32 v4, 7, v4
	v_cndmask_b32_e32 v5, v6, v5, vcc
	v_cndmask_b32_e32 v2, v2, v4, vcc
	v_lshlrev_b32_e32 v4, 16, v39
	v_lshlrev_b32_e32 v2, 20, v2
	v_and_b32_e32 v4, 0x80000000, v4
	v_lshl_add_u32 v5, v5, 23, v62
	v_or3_b32 v2, v4, v5, v2
.LBB6_500:                              ;   in Loop: Header=BB6_126 Depth=2
	s_or_b64 exec, exec, s[88:89]
.LBB6_501:                              ;   in Loop: Header=BB6_126 Depth=2
	s_or_b64 exec, exec, s[78:79]
.LBB6_502:                              ;   in Loop: Header=BB6_126 Depth=2
	s_or_b64 exec, exec, s[20:21]
	v_add_f32_e32 v3, v3, v2
	v_and_b32_e32 v60, 0x7f800000, v3
	v_cmp_ne_u64_e32 vcc, s[56:57], v[60:61]
                                        ; implicit-def: $vgpr2
                                        ; kill: killed $vgpr2
	s_and_saveexec_b64 s[20:21], vcc
	s_xor_b64 s[78:79], exec, s[20:21]
	s_cbranch_execz .LBB6_516
; %bb.503:                              ;   in Loop: Header=BB6_126 Depth=2
	v_and_b32_e32 v60, 0x7fffffff, v3
	v_cmp_gt_u64_e32 vcc, s[58:59], v[60:61]
	v_and_b32_sdwa v2, v3, s52 dst_sel:DWORD dst_unused:UNUSED_PAD src0_sel:BYTE_3 src1_sel:DWORD
                                        ; implicit-def: $vgpr4
                                        ; kill: killed $vgpr4
	s_and_saveexec_b64 s[20:21], vcc
	s_xor_b64 s[88:89], exec, s[20:21]
	s_cbranch_execz .LBB6_513
; %bb.504:                              ;   in Loop: Header=BB6_126 Depth=2
	v_mov_b32_e32 v4, 0
	v_cmp_ne_u32_e32 vcc, 0, v3
	buffer_store_dword v4, off, s[0:3], s33 offset:140 ; 4-byte Folded Spill
	s_and_saveexec_b64 s[90:91], vcc
	s_cbranch_execz .LBB6_512
; %bb.505:                              ;   in Loop: Header=BB6_126 Depth=2
	v_and_b32_e32 v5, 0x7fffff, v3
	v_bfe_u32 v3, v3, 23, 8
	v_cmp_gt_u32_e64 s[20:21], s54, v3
	v_sub_u32_e32 v4, 0x79, v3
	v_cmp_eq_u32_e32 vcc, 0, v3
	v_cndmask_b32_e64 v4, 0, v4, s[20:21]
	v_mov_b32_e32 v7, 0x78
	v_or_b32_e32 v6, 0x800000, v5
	v_cndmask_b32_e32 v4, v4, v7, vcc
	v_cndmask_b32_e32 v60, v6, v5, vcc
	v_add_u32_e32 v5, 20, v4
	v_lshlrev_b64 v[5:6], v5, -1
	v_add_u32_e32 v7, 19, v4
	v_lshlrev_b64 v[7:8], v7, 1
	v_bfi_b32 v6, v6, 0, 0
	v_bfi_b32 v5, v5, 0, v60
	v_lshrrev_b64 v[36:37], v4, v[60:61]
	v_cmp_eq_u64_e64 s[20:21], v[5:6], v[7:8]
	v_mov_b32_e32 v30, v36
	v_mov_b32_e32 v31, v37
	s_and_saveexec_b64 s[92:93], s[20:21]
; %bb.506:                              ;   in Loop: Header=BB6_126 Depth=2
	v_bfe_u32 v5, v36, 20, 1
	v_add_co_u32_e64 v5, s[20:21], v36, v5
	v_add_co_u32_e64 v30, s[20:21], -1, v5
; %bb.507:                              ;   in Loop: Header=BB6_126 Depth=2
	s_or_b64 exec, exec, s[92:93]
	v_add_u32_e32 v3, 0xffffff81, v3
	v_mov_b32_e32 v5, 0xffffff82
	v_cndmask_b32_e32 v3, v3, v5, vcc
	v_lshrrev_b32_e32 v5, 23, v36
	v_add3_u32 v5, v4, v3, v5
	v_add_u32_e32 v4, 6, v5
	v_and_b32_e32 v3, 0xfffff, v30
	v_add_u32_e32 v60, v3, v36
	v_cmp_ne_u32_e32 vcc, 0, v4
                                        ; implicit-def: $vgpr36_vgpr37
                                        ; implicit-def: $vgpr3
	s_and_saveexec_b64 s[20:21], vcc
	s_xor_b64 s[20:21], exec, s[20:21]
; %bb.508:                              ;   in Loop: Header=BB6_126 Depth=2
	v_cmp_lt_u64_e32 vcc, s[60:61], v[60:61]
	v_add_u32_e32 v3, 7, v5
	v_cndmask_b32_e32 v3, v4, v3, vcc
	v_cndmask_b32_e64 v4, 0, 1, vcc
	v_lshrrev_b64 v[36:37], v4, v[60:61]
; %bb.509:                              ;   in Loop: Header=BB6_126 Depth=2
	s_andn2_saveexec_b64 s[20:21], s[20:21]
; %bb.510:                              ;   in Loop: Header=BB6_126 Depth=2
	v_mov_b32_e32 v36, v60
	v_bfe_u32 v3, v60, 23, 1
	v_mov_b32_e32 v37, v61
; %bb.511:                              ;   in Loop: Header=BB6_126 Depth=2
	s_or_b64 exec, exec, s[20:21]
	v_lshrrev_b64 v[4:5], 20, v[36:37]
	v_cmp_gt_i32_e32 vcc, 16, v3
	v_cndmask_b32_e32 v5, 0, v5, vcc
	v_cndmask_b32_e32 v4, 7, v4, vcc
	v_cmp_eq_u32_e32 vcc, 0, v3
	v_min_i32_e32 v3, 15, v3
	v_cmp_eq_u64_e64 s[20:21], 0, v[4:5]
	v_lshlrev_b32_e32 v3, 3, v3
	v_and_b32_e32 v3, 0xf8, v3
	v_and_or_b32 v3, v4, 7, v3
	s_and_b64 s[20:21], vcc, s[20:21]
	v_cndmask_b32_e64 v3, v3, 0, s[20:21]
	v_or_b32_e32 v2, v3, v2
	buffer_store_dword v2, off, s[0:3], s33 offset:140 ; 4-byte Folded Spill
.LBB6_512:                              ;   in Loop: Header=BB6_126 Depth=2
	s_or_b64 exec, exec, s[90:91]
                                        ; implicit-def: $vgpr2
.LBB6_513:                              ;   in Loop: Header=BB6_126 Depth=2
	s_andn2_saveexec_b64 s[20:21], s[88:89]
	s_cbranch_execz .LBB6_515
; %bb.514:                              ;   in Loop: Header=BB6_126 Depth=2
	v_or_b32_e32 v2, 0x7e, v2
	buffer_store_dword v2, off, s[0:3], s33 offset:140 ; 4-byte Folded Spill
.LBB6_515:                              ;   in Loop: Header=BB6_126 Depth=2
	s_or_b64 exec, exec, s[20:21]
                                        ; implicit-def: $vgpr3
.LBB6_516:                              ;   in Loop: Header=BB6_126 Depth=2
	s_andn2_saveexec_b64 s[20:21], s[78:79]
	s_cbranch_execz .LBB6_518
; %bb.517:                              ;   in Loop: Header=BB6_126 Depth=2
	v_or_b32_sdwa v2, v3, s53 dst_sel:DWORD dst_unused:UNUSED_PAD src0_sel:BYTE_3 src1_sel:DWORD
	buffer_store_dword v2, off, s[0:3], s33 offset:140 ; 4-byte Folded Spill
.LBB6_518:                              ;   in Loop: Header=BB6_126 Depth=2
	s_or_b64 exec, exec, s[20:21]
	v_lshrrev_b32_e32 v31, 16, v51
	v_cmp_ne_u16_sdwa s[78:79], v31, v61 src0_sel:BYTE_0 src1_sel:DWORD
	v_mov_b32_e32 v2, 0
	v_mov_b32_e32 v3, 0
	s_and_saveexec_b64 s[20:21], s[78:79]
	s_cbranch_execz .LBB6_524
; %bb.519:                              ;   in Loop: Header=BB6_126 Depth=2
	v_cmp_ne_u16_sdwa s[88:89], v31, s52 src0_sel:BYTE_0 src1_sel:DWORD
	v_bfrev_b32_e32 v3, 1
	s_and_saveexec_b64 s[78:79], s[88:89]
	s_cbranch_execz .LBB6_523
; %bb.520:                              ;   in Loop: Header=BB6_126 Depth=2
	v_bfe_u32 v4, v51, 16, 7
	v_cmp_ne_u32_e32 vcc, s53, v4
	v_mov_b32_e32 v3, 0x7f800001
	s_and_saveexec_b64 s[88:89], vcc
	s_cbranch_execz .LBB6_522
; %bb.521:                              ;   in Loop: Header=BB6_126 Depth=2
	v_and_b32_e32 v5, 7, v31
	v_ffbh_u32_e32 v3, v5
	v_min_u32_e32 v7, 32, v3
	v_subrev_u32_e32 v3, 28, v7
	v_lshrrev_b32_e32 v6, 3, v4
	v_cmp_gt_u32_e32 vcc, 8, v4
	v_lshlrev_b64 v[3:4], v3, v[31:32]
	v_sub_u32_e32 v4, 29, v7
	v_and_b32_e32 v3, 7, v3
	v_cndmask_b32_e32 v4, v6, v4, vcc
	v_cndmask_b32_e32 v3, v5, v3, vcc
	v_lshlrev_b32_e32 v5, 24, v31
	v_lshlrev_b32_e32 v3, 20, v3
	v_and_b32_e32 v5, 0x80000000, v5
	v_lshl_add_u32 v4, v4, 23, v62
	v_or3_b32 v3, v5, v4, v3
.LBB6_522:                              ;   in Loop: Header=BB6_126 Depth=2
	s_or_b64 exec, exec, s[88:89]
.LBB6_523:                              ;   in Loop: Header=BB6_126 Depth=2
	s_or_b64 exec, exec, s[78:79]
.LBB6_524:                              ;   in Loop: Header=BB6_126 Depth=2
	s_or_b64 exec, exec, s[20:21]
	v_lshrrev_b32_e32 v31, 16, v39
	v_cmp_ne_u16_sdwa s[78:79], v31, v61 src0_sel:BYTE_0 src1_sel:DWORD
	s_and_saveexec_b64 s[20:21], s[78:79]
	s_cbranch_execz .LBB6_530
; %bb.525:                              ;   in Loop: Header=BB6_126 Depth=2
	v_cmp_ne_u16_sdwa s[88:89], v31, s52 src0_sel:BYTE_0 src1_sel:DWORD
	v_bfrev_b32_e32 v2, 1
	s_and_saveexec_b64 s[78:79], s[88:89]
	s_cbranch_execz .LBB6_529
; %bb.526:                              ;   in Loop: Header=BB6_126 Depth=2
	v_bfe_u32 v4, v39, 16, 7
	v_cmp_ne_u32_e32 vcc, s53, v4
	v_mov_b32_e32 v2, 0x7f800001
	s_and_saveexec_b64 s[88:89], vcc
	s_cbranch_execz .LBB6_528
; %bb.527:                              ;   in Loop: Header=BB6_126 Depth=2
	v_and_b32_e32 v2, 7, v31
	v_lshrrev_b32_e32 v6, 3, v4
	v_cmp_gt_u32_e32 vcc, 8, v4
	v_ffbh_u32_e32 v4, v2
	v_min_u32_e32 v7, 32, v4
	v_subrev_u32_e32 v4, 28, v7
	v_lshlrev_b64 v[4:5], v4, v[31:32]
	v_sub_u32_e32 v5, 29, v7
	v_and_b32_e32 v4, 7, v4
	v_cndmask_b32_e32 v5, v6, v5, vcc
	v_cndmask_b32_e32 v2, v2, v4, vcc
	v_lshlrev_b32_e32 v4, 8, v39
	v_lshlrev_b32_e32 v2, 20, v2
	v_and_b32_e32 v4, 0x80000000, v4
	v_lshl_add_u32 v5, v5, 23, v62
	v_or3_b32 v2, v4, v5, v2
.LBB6_528:                              ;   in Loop: Header=BB6_126 Depth=2
	s_or_b64 exec, exec, s[88:89]
.LBB6_529:                              ;   in Loop: Header=BB6_126 Depth=2
	s_or_b64 exec, exec, s[78:79]
.LBB6_530:                              ;   in Loop: Header=BB6_126 Depth=2
	s_or_b64 exec, exec, s[20:21]
	v_add_f32_e32 v3, v3, v2
	v_and_b32_e32 v60, 0x7f800000, v3
	v_cmp_ne_u64_e32 vcc, s[56:57], v[60:61]
                                        ; implicit-def: $vgpr2
                                        ; kill: killed $vgpr2
	s_and_saveexec_b64 s[20:21], vcc
	s_xor_b64 s[78:79], exec, s[20:21]
	s_cbranch_execz .LBB6_544
; %bb.531:                              ;   in Loop: Header=BB6_126 Depth=2
	v_and_b32_e32 v60, 0x7fffffff, v3
	v_cmp_gt_u64_e32 vcc, s[58:59], v[60:61]
	v_and_b32_sdwa v2, v3, s52 dst_sel:DWORD dst_unused:UNUSED_PAD src0_sel:BYTE_3 src1_sel:DWORD
                                        ; implicit-def: $vgpr4
                                        ; kill: killed $vgpr4
	s_and_saveexec_b64 s[20:21], vcc
	s_xor_b64 s[88:89], exec, s[20:21]
	s_cbranch_execz .LBB6_541
; %bb.532:                              ;   in Loop: Header=BB6_126 Depth=2
	v_mov_b32_e32 v4, 0
	v_cmp_ne_u32_e32 vcc, 0, v3
	buffer_store_dword v4, off, s[0:3], s33 offset:144 ; 4-byte Folded Spill
	s_and_saveexec_b64 s[90:91], vcc
	s_cbranch_execz .LBB6_540
; %bb.533:                              ;   in Loop: Header=BB6_126 Depth=2
	v_and_b32_e32 v5, 0x7fffff, v3
	v_bfe_u32 v3, v3, 23, 8
	v_cmp_gt_u32_e64 s[20:21], s54, v3
	v_sub_u32_e32 v4, 0x79, v3
	v_cmp_eq_u32_e32 vcc, 0, v3
	v_cndmask_b32_e64 v4, 0, v4, s[20:21]
	v_mov_b32_e32 v7, 0x78
	v_or_b32_e32 v6, 0x800000, v5
	v_cndmask_b32_e32 v4, v4, v7, vcc
	v_cndmask_b32_e32 v60, v6, v5, vcc
	v_add_u32_e32 v5, 20, v4
	v_lshlrev_b64 v[5:6], v5, -1
	v_add_u32_e32 v7, 19, v4
	v_lshlrev_b64 v[7:8], v7, 1
	v_bfi_b32 v6, v6, 0, 0
	v_bfi_b32 v5, v5, 0, v60
	v_lshrrev_b64 v[36:37], v4, v[60:61]
	v_cmp_eq_u64_e64 s[20:21], v[5:6], v[7:8]
	v_mov_b32_e32 v30, v36
	v_mov_b32_e32 v31, v37
	s_and_saveexec_b64 s[92:93], s[20:21]
; %bb.534:                              ;   in Loop: Header=BB6_126 Depth=2
	v_bfe_u32 v5, v36, 20, 1
	v_add_co_u32_e64 v5, s[20:21], v36, v5
	v_add_co_u32_e64 v30, s[20:21], -1, v5
; %bb.535:                              ;   in Loop: Header=BB6_126 Depth=2
	s_or_b64 exec, exec, s[92:93]
	v_add_u32_e32 v3, 0xffffff81, v3
	v_mov_b32_e32 v5, 0xffffff82
	v_cndmask_b32_e32 v3, v3, v5, vcc
	v_lshrrev_b32_e32 v5, 23, v36
	v_add3_u32 v5, v4, v3, v5
	v_add_u32_e32 v4, 6, v5
	v_and_b32_e32 v3, 0xfffff, v30
	v_add_u32_e32 v60, v3, v36
	v_cmp_ne_u32_e32 vcc, 0, v4
                                        ; implicit-def: $vgpr36_vgpr37
                                        ; implicit-def: $vgpr3
	s_and_saveexec_b64 s[20:21], vcc
	s_xor_b64 s[20:21], exec, s[20:21]
; %bb.536:                              ;   in Loop: Header=BB6_126 Depth=2
	v_cmp_lt_u64_e32 vcc, s[60:61], v[60:61]
	v_add_u32_e32 v3, 7, v5
	v_cndmask_b32_e32 v3, v4, v3, vcc
	v_cndmask_b32_e64 v4, 0, 1, vcc
	v_lshrrev_b64 v[36:37], v4, v[60:61]
; %bb.537:                              ;   in Loop: Header=BB6_126 Depth=2
	s_andn2_saveexec_b64 s[20:21], s[20:21]
; %bb.538:                              ;   in Loop: Header=BB6_126 Depth=2
	v_mov_b32_e32 v36, v60
	v_bfe_u32 v3, v60, 23, 1
	v_mov_b32_e32 v37, v61
; %bb.539:                              ;   in Loop: Header=BB6_126 Depth=2
	s_or_b64 exec, exec, s[20:21]
	v_lshrrev_b64 v[4:5], 20, v[36:37]
	v_cmp_gt_i32_e32 vcc, 16, v3
	v_cndmask_b32_e32 v5, 0, v5, vcc
	v_cndmask_b32_e32 v4, 7, v4, vcc
	v_cmp_eq_u32_e32 vcc, 0, v3
	v_min_i32_e32 v3, 15, v3
	v_cmp_eq_u64_e64 s[20:21], 0, v[4:5]
	v_lshlrev_b32_e32 v3, 3, v3
	v_and_b32_e32 v3, 0xf8, v3
	v_and_or_b32 v3, v4, 7, v3
	s_and_b64 s[20:21], vcc, s[20:21]
	v_cndmask_b32_e64 v3, v3, 0, s[20:21]
	v_or_b32_e32 v2, v3, v2
	buffer_store_dword v2, off, s[0:3], s33 offset:144 ; 4-byte Folded Spill
.LBB6_540:                              ;   in Loop: Header=BB6_126 Depth=2
	s_or_b64 exec, exec, s[90:91]
                                        ; implicit-def: $vgpr2
.LBB6_541:                              ;   in Loop: Header=BB6_126 Depth=2
	s_andn2_saveexec_b64 s[20:21], s[88:89]
	s_cbranch_execz .LBB6_543
; %bb.542:                              ;   in Loop: Header=BB6_126 Depth=2
	v_or_b32_e32 v2, 0x7e, v2
	buffer_store_dword v2, off, s[0:3], s33 offset:144 ; 4-byte Folded Spill
.LBB6_543:                              ;   in Loop: Header=BB6_126 Depth=2
	s_or_b64 exec, exec, s[20:21]
                                        ; implicit-def: $vgpr3
.LBB6_544:                              ;   in Loop: Header=BB6_126 Depth=2
	s_andn2_saveexec_b64 s[20:21], s[78:79]
	s_cbranch_execz .LBB6_546
; %bb.545:                              ;   in Loop: Header=BB6_126 Depth=2
	v_or_b32_sdwa v2, v3, s53 dst_sel:DWORD dst_unused:UNUSED_PAD src0_sel:BYTE_3 src1_sel:DWORD
	buffer_store_dword v2, off, s[0:3], s33 offset:144 ; 4-byte Folded Spill
.LBB6_546:                              ;   in Loop: Header=BB6_126 Depth=2
	s_or_b64 exec, exec, s[20:21]
	v_cmp_lt_u64_e32 vcc, s[62:63], v[50:51]
	v_mov_b32_e32 v2, 0
	v_mov_b32_e32 v3, 0
	s_and_saveexec_b64 s[20:21], vcc
	s_cbranch_execz .LBB6_552
; %bb.547:                              ;   in Loop: Header=BB6_126 Depth=2
	v_lshrrev_b32_e32 v31, 24, v51
	v_cmp_ne_u32_e32 vcc, s52, v31
	v_bfrev_b32_e32 v3, 1
	s_and_saveexec_b64 s[78:79], vcc
	s_cbranch_execz .LBB6_551
; %bb.548:                              ;   in Loop: Header=BB6_126 Depth=2
	v_bfe_u32 v4, v51, 24, 7
	v_cmp_ne_u32_e32 vcc, s53, v4
	v_mov_b32_e32 v3, 0x7f800001
	s_and_saveexec_b64 s[88:89], vcc
	s_cbranch_execz .LBB6_550
; %bb.549:                              ;   in Loop: Header=BB6_126 Depth=2
	v_and_b32_e32 v5, 7, v31
	v_ffbh_u32_e32 v3, v5
	v_min_u32_e32 v7, 32, v3
	v_subrev_u32_e32 v3, 28, v7
	v_lshrrev_b32_e32 v6, 3, v4
	v_cmp_gt_u32_e32 vcc, 8, v4
	v_lshlrev_b64 v[3:4], v3, v[31:32]
	v_sub_u32_e32 v4, 29, v7
	v_and_b32_e32 v3, 7, v3
	v_cndmask_b32_e32 v4, v6, v4, vcc
	v_cndmask_b32_e32 v3, v5, v3, vcc
	v_lshlrev_b32_e32 v5, 24, v31
	v_lshlrev_b32_e32 v3, 20, v3
	v_and_b32_e32 v5, 0x80000000, v5
	v_lshl_add_u32 v4, v4, 23, v62
	v_or3_b32 v3, v5, v4, v3
.LBB6_550:                              ;   in Loop: Header=BB6_126 Depth=2
	s_or_b64 exec, exec, s[88:89]
.LBB6_551:                              ;   in Loop: Header=BB6_126 Depth=2
	s_or_b64 exec, exec, s[78:79]
.LBB6_552:                              ;   in Loop: Header=BB6_126 Depth=2
	s_or_b64 exec, exec, s[20:21]
	v_cmp_lt_u64_e32 vcc, s[62:63], v[38:39]
	s_and_saveexec_b64 s[20:21], vcc
	s_cbranch_execz .LBB6_558
; %bb.553:                              ;   in Loop: Header=BB6_126 Depth=2
	v_lshrrev_b32_e32 v31, 24, v39
	v_cmp_ne_u32_e32 vcc, s52, v31
	v_bfrev_b32_e32 v2, 1
	s_and_saveexec_b64 s[78:79], vcc
	s_cbranch_execz .LBB6_557
; %bb.554:                              ;   in Loop: Header=BB6_126 Depth=2
	v_bfe_u32 v4, v39, 24, 7
	v_cmp_ne_u32_e32 vcc, s53, v4
	v_mov_b32_e32 v2, 0x7f800001
	s_and_saveexec_b64 s[88:89], vcc
	s_cbranch_execz .LBB6_556
; %bb.555:                              ;   in Loop: Header=BB6_126 Depth=2
	v_and_b32_e32 v2, 7, v31
	v_lshrrev_b32_e32 v6, 3, v4
	v_cmp_gt_u32_e32 vcc, 8, v4
	v_ffbh_u32_e32 v4, v2
	v_min_u32_e32 v7, 32, v4
	v_subrev_u32_e32 v4, 28, v7
	v_lshlrev_b64 v[4:5], v4, v[31:32]
	v_sub_u32_e32 v5, 29, v7
	v_and_b32_e32 v4, 7, v4
	v_cndmask_b32_e32 v5, v6, v5, vcc
	v_cndmask_b32_e32 v2, v2, v4, vcc
	v_lshlrev_b32_e32 v4, 24, v31
	v_lshlrev_b32_e32 v2, 20, v2
	v_and_b32_e32 v4, 0x80000000, v4
	v_lshl_add_u32 v5, v5, 23, v62
	v_or3_b32 v2, v4, v5, v2
.LBB6_556:                              ;   in Loop: Header=BB6_126 Depth=2
	s_or_b64 exec, exec, s[88:89]
.LBB6_557:                              ;   in Loop: Header=BB6_126 Depth=2
	s_or_b64 exec, exec, s[78:79]
.LBB6_558:                              ;   in Loop: Header=BB6_126 Depth=2
	s_or_b64 exec, exec, s[20:21]
	v_add_f32_e32 v3, v3, v2
	v_and_b32_e32 v60, 0x7f800000, v3
	v_cmp_ne_u64_e32 vcc, s[56:57], v[60:61]
                                        ; implicit-def: $vgpr2
                                        ; kill: killed $vgpr2
	s_and_saveexec_b64 s[20:21], vcc
	s_xor_b64 s[78:79], exec, s[20:21]
	s_cbranch_execz .LBB6_572
; %bb.559:                              ;   in Loop: Header=BB6_126 Depth=2
	v_and_b32_e32 v60, 0x7fffffff, v3
	v_cmp_gt_u64_e32 vcc, s[58:59], v[60:61]
	v_and_b32_sdwa v2, v3, s52 dst_sel:DWORD dst_unused:UNUSED_PAD src0_sel:BYTE_3 src1_sel:DWORD
                                        ; implicit-def: $vgpr4
                                        ; kill: killed $vgpr4
	s_and_saveexec_b64 s[20:21], vcc
	s_xor_b64 s[88:89], exec, s[20:21]
	s_cbranch_execz .LBB6_569
; %bb.560:                              ;   in Loop: Header=BB6_126 Depth=2
	v_mov_b32_e32 v4, 0
	v_cmp_ne_u32_e32 vcc, 0, v3
	buffer_store_dword v4, off, s[0:3], s33 offset:148 ; 4-byte Folded Spill
	s_and_saveexec_b64 s[90:91], vcc
	s_cbranch_execz .LBB6_568
; %bb.561:                              ;   in Loop: Header=BB6_126 Depth=2
	v_and_b32_e32 v5, 0x7fffff, v3
	v_bfe_u32 v3, v3, 23, 8
	v_cmp_gt_u32_e64 s[20:21], s54, v3
	v_sub_u32_e32 v4, 0x79, v3
	v_cmp_eq_u32_e32 vcc, 0, v3
	v_cndmask_b32_e64 v4, 0, v4, s[20:21]
	v_mov_b32_e32 v7, 0x78
	v_or_b32_e32 v6, 0x800000, v5
	v_cndmask_b32_e32 v4, v4, v7, vcc
	v_cndmask_b32_e32 v60, v6, v5, vcc
	v_add_u32_e32 v5, 20, v4
	v_lshlrev_b64 v[5:6], v5, -1
	v_add_u32_e32 v7, 19, v4
	v_lshlrev_b64 v[7:8], v7, 1
	v_bfi_b32 v6, v6, 0, 0
	v_bfi_b32 v5, v5, 0, v60
	v_lshrrev_b64 v[36:37], v4, v[60:61]
	v_cmp_eq_u64_e64 s[20:21], v[5:6], v[7:8]
	v_mov_b32_e32 v30, v36
	v_mov_b32_e32 v31, v37
	s_and_saveexec_b64 s[92:93], s[20:21]
; %bb.562:                              ;   in Loop: Header=BB6_126 Depth=2
	v_bfe_u32 v5, v36, 20, 1
	v_add_co_u32_e64 v5, s[20:21], v36, v5
	v_add_co_u32_e64 v30, s[20:21], -1, v5
; %bb.563:                              ;   in Loop: Header=BB6_126 Depth=2
	s_or_b64 exec, exec, s[92:93]
	v_add_u32_e32 v3, 0xffffff81, v3
	v_mov_b32_e32 v5, 0xffffff82
	v_cndmask_b32_e32 v3, v3, v5, vcc
	v_lshrrev_b32_e32 v5, 23, v36
	v_add3_u32 v5, v4, v3, v5
	v_add_u32_e32 v4, 6, v5
	v_and_b32_e32 v3, 0xfffff, v30
	v_add_u32_e32 v60, v3, v36
	v_cmp_ne_u32_e32 vcc, 0, v4
                                        ; implicit-def: $vgpr36_vgpr37
                                        ; implicit-def: $vgpr3
	s_and_saveexec_b64 s[20:21], vcc
	s_xor_b64 s[20:21], exec, s[20:21]
; %bb.564:                              ;   in Loop: Header=BB6_126 Depth=2
	v_cmp_lt_u64_e32 vcc, s[60:61], v[60:61]
	v_add_u32_e32 v3, 7, v5
	v_cndmask_b32_e32 v3, v4, v3, vcc
	v_cndmask_b32_e64 v4, 0, 1, vcc
	v_lshrrev_b64 v[36:37], v4, v[60:61]
; %bb.565:                              ;   in Loop: Header=BB6_126 Depth=2
	s_andn2_saveexec_b64 s[20:21], s[20:21]
; %bb.566:                              ;   in Loop: Header=BB6_126 Depth=2
	v_mov_b32_e32 v36, v60
	v_bfe_u32 v3, v60, 23, 1
	v_mov_b32_e32 v37, v61
; %bb.567:                              ;   in Loop: Header=BB6_126 Depth=2
	s_or_b64 exec, exec, s[20:21]
	v_lshrrev_b64 v[4:5], 20, v[36:37]
	v_cmp_gt_i32_e32 vcc, 16, v3
	v_cndmask_b32_e32 v5, 0, v5, vcc
	v_cndmask_b32_e32 v4, 7, v4, vcc
	v_cmp_eq_u32_e32 vcc, 0, v3
	v_min_i32_e32 v3, 15, v3
	v_cmp_eq_u64_e64 s[20:21], 0, v[4:5]
	v_lshlrev_b32_e32 v3, 3, v3
	v_and_b32_e32 v3, 0xf8, v3
	v_and_or_b32 v3, v4, 7, v3
	s_and_b64 s[20:21], vcc, s[20:21]
	v_cndmask_b32_e64 v3, v3, 0, s[20:21]
	v_or_b32_e32 v2, v3, v2
	buffer_store_dword v2, off, s[0:3], s33 offset:148 ; 4-byte Folded Spill
.LBB6_568:                              ;   in Loop: Header=BB6_126 Depth=2
	s_or_b64 exec, exec, s[90:91]
                                        ; implicit-def: $vgpr2
.LBB6_569:                              ;   in Loop: Header=BB6_126 Depth=2
	s_andn2_saveexec_b64 s[20:21], s[88:89]
	s_cbranch_execz .LBB6_571
; %bb.570:                              ;   in Loop: Header=BB6_126 Depth=2
	v_or_b32_e32 v2, 0x7e, v2
	buffer_store_dword v2, off, s[0:3], s33 offset:148 ; 4-byte Folded Spill
.LBB6_571:                              ;   in Loop: Header=BB6_126 Depth=2
	s_or_b64 exec, exec, s[20:21]
                                        ; implicit-def: $vgpr3
.LBB6_572:                              ;   in Loop: Header=BB6_126 Depth=2
	s_andn2_saveexec_b64 s[20:21], s[78:79]
	s_cbranch_execz .LBB6_574
; %bb.573:                              ;   in Loop: Header=BB6_126 Depth=2
	v_or_b32_sdwa v2, v3, s53 dst_sel:DWORD dst_unused:UNUSED_PAD src0_sel:BYTE_3 src1_sel:DWORD
	buffer_store_dword v2, off, s[0:3], s33 offset:148 ; 4-byte Folded Spill
.LBB6_574:                              ;   in Loop: Header=BB6_126 Depth=2
	s_or_b64 exec, exec, s[20:21]
	v_cmp_ne_u16_sdwa s[78:79], v32, v61 src0_sel:BYTE_0 src1_sel:DWORD
	v_mov_b32_e32 v2, 0
	v_mov_b32_e32 v3, 0
	s_and_saveexec_b64 s[20:21], s[78:79]
	s_cbranch_execz .LBB6_580
; %bb.575:                              ;   in Loop: Header=BB6_126 Depth=2
	v_cmp_ne_u16_sdwa s[88:89], v32, s52 src0_sel:BYTE_0 src1_sel:DWORD
	v_bfrev_b32_e32 v3, 1
	s_and_saveexec_b64 s[78:79], s[88:89]
	s_cbranch_execz .LBB6_579
; %bb.576:                              ;   in Loop: Header=BB6_126 Depth=2
	v_and_b32_e32 v4, 0x7f, v32
	v_cmp_ne_u32_e32 vcc, s53, v4
	v_mov_b32_e32 v3, 0x7f800001
	s_and_saveexec_b64 s[88:89], vcc
	s_cbranch_execz .LBB6_578
; %bb.577:                              ;   in Loop: Header=BB6_126 Depth=2
	v_and_b32_e32 v3, 7, v32
	v_ffbh_u32_e32 v3, v3
	v_min_u32_e32 v3, 32, v3
	v_lshrrev_b32_e32 v5, 3, v4
	v_cmp_gt_u32_e32 vcc, 8, v4
	v_subrev_u32_e32 v4, 28, v3
	v_sub_u32_e32 v3, 29, v3
	v_cndmask_b32_e32 v5, v5, v3, vcc
	v_cndmask_b32_e32 v3, 0, v4, vcc
	v_lshlrev_b64 v[3:4], v3, v[32:33]
	v_lshlrev_b32_e32 v4, 24, v32
	v_lshlrev_b32_e32 v3, 20, v3
	v_and_b32_e32 v3, 0x700000, v3
	v_and_b32_e32 v4, 0x80000000, v4
	v_lshl_add_u32 v5, v5, 23, v62
	v_or3_b32 v3, v4, v5, v3
.LBB6_578:                              ;   in Loop: Header=BB6_126 Depth=2
	s_or_b64 exec, exec, s[88:89]
.LBB6_579:                              ;   in Loop: Header=BB6_126 Depth=2
	s_or_b64 exec, exec, s[78:79]
.LBB6_580:                              ;   in Loop: Header=BB6_126 Depth=2
	s_or_b64 exec, exec, s[20:21]
	s_waitcnt vmcnt(2)
	v_cmp_ne_u16_sdwa s[78:79], v26, v61 src0_sel:BYTE_0 src1_sel:DWORD
	s_and_saveexec_b64 s[20:21], s[78:79]
	s_cbranch_execz .LBB6_586
; %bb.581:                              ;   in Loop: Header=BB6_126 Depth=2
	v_cmp_ne_u16_sdwa s[88:89], v26, s52 src0_sel:BYTE_0 src1_sel:DWORD
	v_bfrev_b32_e32 v2, 1
	s_and_saveexec_b64 s[78:79], s[88:89]
	s_cbranch_execz .LBB6_585
; %bb.582:                              ;   in Loop: Header=BB6_126 Depth=2
	v_and_b32_e32 v4, 0x7f, v26
	v_cmp_ne_u32_e32 vcc, s53, v4
	v_mov_b32_e32 v2, 0x7f800001
	s_and_saveexec_b64 s[88:89], vcc
	s_cbranch_execz .LBB6_584
; %bb.583:                              ;   in Loop: Header=BB6_126 Depth=2
	v_and_b32_e32 v2, 7, v26
	v_ffbh_u32_e32 v2, v2
	v_min_u32_e32 v2, 32, v2
	v_lshrrev_b32_e32 v5, 3, v4
	v_cmp_gt_u32_e32 vcc, 8, v4
	v_subrev_u32_e32 v4, 28, v2
	v_sub_u32_e32 v2, 29, v2
	v_cndmask_b32_e32 v4, 0, v4, vcc
	v_cndmask_b32_e32 v2, v5, v2, vcc
	v_lshlrev_b64 v[4:5], v4, v[26:27]
	v_lshlrev_b32_e32 v5, 24, v26
	v_lshlrev_b32_e32 v4, 20, v4
	v_and_b32_e32 v4, 0x700000, v4
	v_and_b32_e32 v5, 0x80000000, v5
	v_lshl_add_u32 v2, v2, 23, v62
	v_or3_b32 v2, v5, v2, v4
.LBB6_584:                              ;   in Loop: Header=BB6_126 Depth=2
	s_or_b64 exec, exec, s[88:89]
.LBB6_585:                              ;   in Loop: Header=BB6_126 Depth=2
	s_or_b64 exec, exec, s[78:79]
.LBB6_586:                              ;   in Loop: Header=BB6_126 Depth=2
	s_or_b64 exec, exec, s[20:21]
	v_add_f32_e32 v3, v3, v2
	v_and_b32_e32 v60, 0x7f800000, v3
	v_cmp_ne_u64_e32 vcc, s[56:57], v[60:61]
                                        ; implicit-def: $vgpr2
                                        ; kill: killed $vgpr2
	s_and_saveexec_b64 s[20:21], vcc
	s_xor_b64 s[78:79], exec, s[20:21]
	s_cbranch_execz .LBB6_600
; %bb.587:                              ;   in Loop: Header=BB6_126 Depth=2
	v_and_b32_e32 v60, 0x7fffffff, v3
	v_cmp_gt_u64_e32 vcc, s[58:59], v[60:61]
	v_and_b32_sdwa v2, v3, s52 dst_sel:DWORD dst_unused:UNUSED_PAD src0_sel:BYTE_3 src1_sel:DWORD
                                        ; implicit-def: $vgpr4
                                        ; kill: killed $vgpr4
	s_and_saveexec_b64 s[20:21], vcc
	s_xor_b64 s[88:89], exec, s[20:21]
	s_cbranch_execz .LBB6_597
; %bb.588:                              ;   in Loop: Header=BB6_126 Depth=2
	v_mov_b32_e32 v4, 0
	v_cmp_ne_u32_e32 vcc, 0, v3
	buffer_store_dword v4, off, s[0:3], s33 offset:152 ; 4-byte Folded Spill
	s_and_saveexec_b64 s[90:91], vcc
	s_cbranch_execz .LBB6_596
; %bb.589:                              ;   in Loop: Header=BB6_126 Depth=2
	v_and_b32_e32 v5, 0x7fffff, v3
	v_bfe_u32 v3, v3, 23, 8
	v_cmp_gt_u32_e64 s[20:21], s54, v3
	v_sub_u32_e32 v4, 0x79, v3
	v_cmp_eq_u32_e32 vcc, 0, v3
	v_cndmask_b32_e64 v4, 0, v4, s[20:21]
	v_mov_b32_e32 v7, 0x78
	v_or_b32_e32 v6, 0x800000, v5
	v_cndmask_b32_e32 v4, v4, v7, vcc
	v_cndmask_b32_e32 v60, v6, v5, vcc
	v_add_u32_e32 v5, 20, v4
	v_lshlrev_b64 v[5:6], v5, -1
	v_add_u32_e32 v7, 19, v4
	v_lshlrev_b64 v[7:8], v7, 1
	v_bfi_b32 v6, v6, 0, 0
	v_bfi_b32 v5, v5, 0, v60
	v_lshrrev_b64 v[36:37], v4, v[60:61]
	v_cmp_eq_u64_e64 s[20:21], v[5:6], v[7:8]
	v_mov_b32_e32 v30, v36
	v_mov_b32_e32 v31, v37
	s_and_saveexec_b64 s[92:93], s[20:21]
; %bb.590:                              ;   in Loop: Header=BB6_126 Depth=2
	v_bfe_u32 v5, v36, 20, 1
	v_add_co_u32_e64 v5, s[20:21], v36, v5
	v_add_co_u32_e64 v30, s[20:21], -1, v5
; %bb.591:                              ;   in Loop: Header=BB6_126 Depth=2
	s_or_b64 exec, exec, s[92:93]
	v_add_u32_e32 v3, 0xffffff81, v3
	v_mov_b32_e32 v5, 0xffffff82
	v_cndmask_b32_e32 v3, v3, v5, vcc
	v_lshrrev_b32_e32 v5, 23, v36
	v_add3_u32 v5, v4, v3, v5
	v_add_u32_e32 v4, 6, v5
	v_and_b32_e32 v3, 0xfffff, v30
	v_add_u32_e32 v60, v3, v36
	v_cmp_ne_u32_e32 vcc, 0, v4
                                        ; implicit-def: $vgpr36_vgpr37
                                        ; implicit-def: $vgpr3
	s_and_saveexec_b64 s[20:21], vcc
	s_xor_b64 s[20:21], exec, s[20:21]
; %bb.592:                              ;   in Loop: Header=BB6_126 Depth=2
	v_cmp_lt_u64_e32 vcc, s[60:61], v[60:61]
	v_add_u32_e32 v3, 7, v5
	v_cndmask_b32_e32 v3, v4, v3, vcc
	v_cndmask_b32_e64 v4, 0, 1, vcc
	v_lshrrev_b64 v[36:37], v4, v[60:61]
; %bb.593:                              ;   in Loop: Header=BB6_126 Depth=2
	s_andn2_saveexec_b64 s[20:21], s[20:21]
; %bb.594:                              ;   in Loop: Header=BB6_126 Depth=2
	v_mov_b32_e32 v36, v60
	v_bfe_u32 v3, v60, 23, 1
	v_mov_b32_e32 v37, v61
; %bb.595:                              ;   in Loop: Header=BB6_126 Depth=2
	s_or_b64 exec, exec, s[20:21]
	v_lshrrev_b64 v[4:5], 20, v[36:37]
	v_cmp_gt_i32_e32 vcc, 16, v3
	v_cndmask_b32_e32 v5, 0, v5, vcc
	v_cndmask_b32_e32 v4, 7, v4, vcc
	v_cmp_eq_u32_e32 vcc, 0, v3
	v_min_i32_e32 v3, 15, v3
	v_cmp_eq_u64_e64 s[20:21], 0, v[4:5]
	v_lshlrev_b32_e32 v3, 3, v3
	v_and_b32_e32 v3, 0xf8, v3
	v_and_or_b32 v3, v4, 7, v3
	s_and_b64 s[20:21], vcc, s[20:21]
	v_cndmask_b32_e64 v3, v3, 0, s[20:21]
	v_or_b32_e32 v2, v3, v2
	buffer_store_dword v2, off, s[0:3], s33 offset:152 ; 4-byte Folded Spill
.LBB6_596:                              ;   in Loop: Header=BB6_126 Depth=2
	s_or_b64 exec, exec, s[90:91]
                                        ; implicit-def: $vgpr2
.LBB6_597:                              ;   in Loop: Header=BB6_126 Depth=2
	s_andn2_saveexec_b64 s[20:21], s[88:89]
	s_cbranch_execz .LBB6_599
; %bb.598:                              ;   in Loop: Header=BB6_126 Depth=2
	v_or_b32_e32 v2, 0x7e, v2
	buffer_store_dword v2, off, s[0:3], s33 offset:152 ; 4-byte Folded Spill
.LBB6_599:                              ;   in Loop: Header=BB6_126 Depth=2
	s_or_b64 exec, exec, s[20:21]
                                        ; implicit-def: $vgpr3
.LBB6_600:                              ;   in Loop: Header=BB6_126 Depth=2
	s_andn2_saveexec_b64 s[20:21], s[78:79]
	s_cbranch_execz .LBB6_602
; %bb.601:                              ;   in Loop: Header=BB6_126 Depth=2
	v_or_b32_sdwa v2, v3, s53 dst_sel:DWORD dst_unused:UNUSED_PAD src0_sel:BYTE_3 src1_sel:DWORD
	buffer_store_dword v2, off, s[0:3], s33 offset:152 ; 4-byte Folded Spill
.LBB6_602:                              ;   in Loop: Header=BB6_126 Depth=2
	s_or_b64 exec, exec, s[20:21]
	v_lshrrev_b16_e32 v31, 8, v32
	v_cmp_ne_u16_e32 vcc, 0, v31
	v_mov_b32_e32 v2, 0
	v_mov_b32_e32 v3, 0
	s_and_saveexec_b64 s[20:21], vcc
	s_cbranch_execz .LBB6_608
; %bb.603:                              ;   in Loop: Header=BB6_126 Depth=2
	v_cmp_ne_u16_e32 vcc, s52, v31
	v_bfrev_b32_e32 v3, 1
	s_and_saveexec_b64 s[78:79], vcc
	s_cbranch_execz .LBB6_607
; %bb.604:                              ;   in Loop: Header=BB6_126 Depth=2
	v_and_b32_e32 v4, 0x7f, v31
	v_cmp_ne_u32_e32 vcc, s53, v4
	v_mov_b32_e32 v3, 0x7f800001
	s_and_saveexec_b64 s[88:89], vcc
	s_cbranch_execz .LBB6_606
; %bb.605:                              ;   in Loop: Header=BB6_126 Depth=2
	v_and_b32_e32 v5, 7, v31
	v_ffbh_u32_e32 v3, v5
	v_min_u32_e32 v7, 32, v3
	v_subrev_u32_e32 v3, 28, v7
	v_lshrrev_b32_e32 v6, 3, v4
	v_cmp_gt_u32_e32 vcc, 8, v4
	v_lshlrev_b64 v[3:4], v3, v[31:32]
	v_sub_u32_e32 v4, 29, v7
	v_and_b32_e32 v3, 7, v3
	v_cndmask_b32_e32 v4, v6, v4, vcc
	v_cndmask_b32_e32 v3, v5, v3, vcc
	v_lshlrev_b32_e32 v5, 16, v32
	v_lshlrev_b32_e32 v3, 20, v3
	v_and_b32_e32 v5, 0x80000000, v5
	v_lshl_add_u32 v4, v4, 23, v62
	v_or3_b32 v3, v5, v4, v3
.LBB6_606:                              ;   in Loop: Header=BB6_126 Depth=2
	s_or_b64 exec, exec, s[88:89]
.LBB6_607:                              ;   in Loop: Header=BB6_126 Depth=2
	s_or_b64 exec, exec, s[78:79]
.LBB6_608:                              ;   in Loop: Header=BB6_126 Depth=2
	s_or_b64 exec, exec, s[20:21]
	v_lshrrev_b16_e32 v31, 8, v26
	v_cmp_ne_u16_e32 vcc, 0, v31
	s_and_saveexec_b64 s[20:21], vcc
	s_cbranch_execz .LBB6_614
; %bb.609:                              ;   in Loop: Header=BB6_126 Depth=2
	v_cmp_ne_u16_e32 vcc, s52, v31
	v_bfrev_b32_e32 v2, 1
	s_and_saveexec_b64 s[78:79], vcc
	s_cbranch_execz .LBB6_613
; %bb.610:                              ;   in Loop: Header=BB6_126 Depth=2
	v_and_b32_e32 v4, 0x7f, v31
	v_cmp_ne_u32_e32 vcc, s53, v4
	v_mov_b32_e32 v2, 0x7f800001
	s_and_saveexec_b64 s[88:89], vcc
	s_cbranch_execz .LBB6_612
; %bb.611:                              ;   in Loop: Header=BB6_126 Depth=2
	v_and_b32_e32 v2, 7, v31
	v_lshrrev_b32_e32 v6, 3, v4
	v_cmp_gt_u32_e32 vcc, 8, v4
	v_ffbh_u32_e32 v4, v2
	v_min_u32_e32 v7, 32, v4
	v_subrev_u32_e32 v4, 28, v7
	v_lshlrev_b64 v[4:5], v4, v[31:32]
	v_sub_u32_e32 v5, 29, v7
	v_and_b32_e32 v4, 7, v4
	v_cndmask_b32_e32 v5, v6, v5, vcc
	v_cndmask_b32_e32 v2, v2, v4, vcc
	v_lshlrev_b32_e32 v4, 16, v26
	v_lshlrev_b32_e32 v2, 20, v2
	v_and_b32_e32 v4, 0x80000000, v4
	v_lshl_add_u32 v5, v5, 23, v62
	v_or3_b32 v2, v4, v5, v2
.LBB6_612:                              ;   in Loop: Header=BB6_126 Depth=2
	s_or_b64 exec, exec, s[88:89]
.LBB6_613:                              ;   in Loop: Header=BB6_126 Depth=2
	s_or_b64 exec, exec, s[78:79]
.LBB6_614:                              ;   in Loop: Header=BB6_126 Depth=2
	s_or_b64 exec, exec, s[20:21]
	v_add_f32_e32 v3, v3, v2
	v_and_b32_e32 v60, 0x7f800000, v3
	v_cmp_ne_u64_e32 vcc, s[56:57], v[60:61]
                                        ; implicit-def: $vgpr2
                                        ; kill: killed $vgpr2
	s_and_saveexec_b64 s[20:21], vcc
	s_xor_b64 s[78:79], exec, s[20:21]
	s_cbranch_execz .LBB6_628
; %bb.615:                              ;   in Loop: Header=BB6_126 Depth=2
	v_and_b32_e32 v60, 0x7fffffff, v3
	v_cmp_gt_u64_e32 vcc, s[58:59], v[60:61]
	v_and_b32_sdwa v2, v3, s52 dst_sel:DWORD dst_unused:UNUSED_PAD src0_sel:BYTE_3 src1_sel:DWORD
                                        ; implicit-def: $vgpr4
                                        ; kill: killed $vgpr4
	s_and_saveexec_b64 s[20:21], vcc
	s_xor_b64 s[88:89], exec, s[20:21]
	s_cbranch_execz .LBB6_625
; %bb.616:                              ;   in Loop: Header=BB6_126 Depth=2
	v_mov_b32_e32 v4, 0
	v_cmp_ne_u32_e32 vcc, 0, v3
	buffer_store_dword v4, off, s[0:3], s33 offset:172 ; 4-byte Folded Spill
	s_and_saveexec_b64 s[90:91], vcc
	s_cbranch_execz .LBB6_624
; %bb.617:                              ;   in Loop: Header=BB6_126 Depth=2
	v_and_b32_e32 v5, 0x7fffff, v3
	v_bfe_u32 v3, v3, 23, 8
	v_cmp_gt_u32_e64 s[20:21], s54, v3
	v_sub_u32_e32 v4, 0x79, v3
	v_cmp_eq_u32_e32 vcc, 0, v3
	v_cndmask_b32_e64 v4, 0, v4, s[20:21]
	v_mov_b32_e32 v7, 0x78
	v_or_b32_e32 v6, 0x800000, v5
	v_cndmask_b32_e32 v4, v4, v7, vcc
	v_cndmask_b32_e32 v60, v6, v5, vcc
	v_add_u32_e32 v5, 20, v4
	v_lshlrev_b64 v[5:6], v5, -1
	v_add_u32_e32 v7, 19, v4
	v_lshlrev_b64 v[7:8], v7, 1
	v_bfi_b32 v6, v6, 0, 0
	v_bfi_b32 v5, v5, 0, v60
	v_lshrrev_b64 v[36:37], v4, v[60:61]
	v_cmp_eq_u64_e64 s[20:21], v[5:6], v[7:8]
	v_mov_b32_e32 v30, v36
	v_mov_b32_e32 v31, v37
	s_and_saveexec_b64 s[92:93], s[20:21]
; %bb.618:                              ;   in Loop: Header=BB6_126 Depth=2
	v_bfe_u32 v5, v36, 20, 1
	v_add_co_u32_e64 v5, s[20:21], v36, v5
	v_add_co_u32_e64 v30, s[20:21], -1, v5
; %bb.619:                              ;   in Loop: Header=BB6_126 Depth=2
	s_or_b64 exec, exec, s[92:93]
	v_add_u32_e32 v3, 0xffffff81, v3
	v_mov_b32_e32 v5, 0xffffff82
	v_cndmask_b32_e32 v3, v3, v5, vcc
	v_lshrrev_b32_e32 v5, 23, v36
	v_add3_u32 v5, v4, v3, v5
	v_add_u32_e32 v4, 6, v5
	v_and_b32_e32 v3, 0xfffff, v30
	v_add_u32_e32 v60, v3, v36
	v_cmp_ne_u32_e32 vcc, 0, v4
                                        ; implicit-def: $vgpr36_vgpr37
                                        ; implicit-def: $vgpr3
	s_and_saveexec_b64 s[20:21], vcc
	s_xor_b64 s[20:21], exec, s[20:21]
; %bb.620:                              ;   in Loop: Header=BB6_126 Depth=2
	v_cmp_lt_u64_e32 vcc, s[60:61], v[60:61]
	v_add_u32_e32 v3, 7, v5
	v_cndmask_b32_e32 v3, v4, v3, vcc
	v_cndmask_b32_e64 v4, 0, 1, vcc
	v_lshrrev_b64 v[36:37], v4, v[60:61]
; %bb.621:                              ;   in Loop: Header=BB6_126 Depth=2
	s_andn2_saveexec_b64 s[20:21], s[20:21]
; %bb.622:                              ;   in Loop: Header=BB6_126 Depth=2
	v_mov_b32_e32 v36, v60
	v_bfe_u32 v3, v60, 23, 1
	v_mov_b32_e32 v37, v61
; %bb.623:                              ;   in Loop: Header=BB6_126 Depth=2
	s_or_b64 exec, exec, s[20:21]
	v_lshrrev_b64 v[4:5], 20, v[36:37]
	v_cmp_gt_i32_e32 vcc, 16, v3
	v_cndmask_b32_e32 v5, 0, v5, vcc
	v_cndmask_b32_e32 v4, 7, v4, vcc
	v_cmp_eq_u32_e32 vcc, 0, v3
	v_min_i32_e32 v3, 15, v3
	v_cmp_eq_u64_e64 s[20:21], 0, v[4:5]
	v_lshlrev_b32_e32 v3, 3, v3
	v_and_b32_e32 v3, 0xf8, v3
	v_and_or_b32 v3, v4, 7, v3
	s_and_b64 s[20:21], vcc, s[20:21]
	v_cndmask_b32_e64 v3, v3, 0, s[20:21]
	v_or_b32_e32 v2, v3, v2
	buffer_store_dword v2, off, s[0:3], s33 offset:172 ; 4-byte Folded Spill
.LBB6_624:                              ;   in Loop: Header=BB6_126 Depth=2
	s_or_b64 exec, exec, s[90:91]
                                        ; implicit-def: $vgpr2
.LBB6_625:                              ;   in Loop: Header=BB6_126 Depth=2
	s_andn2_saveexec_b64 s[20:21], s[88:89]
	s_cbranch_execz .LBB6_627
; %bb.626:                              ;   in Loop: Header=BB6_126 Depth=2
	v_or_b32_e32 v2, 0x7e, v2
	buffer_store_dword v2, off, s[0:3], s33 offset:172 ; 4-byte Folded Spill
.LBB6_627:                              ;   in Loop: Header=BB6_126 Depth=2
	s_or_b64 exec, exec, s[20:21]
                                        ; implicit-def: $vgpr3
.LBB6_628:                              ;   in Loop: Header=BB6_126 Depth=2
	s_andn2_saveexec_b64 s[20:21], s[78:79]
	s_cbranch_execz .LBB6_630
; %bb.629:                              ;   in Loop: Header=BB6_126 Depth=2
	v_or_b32_sdwa v2, v3, s53 dst_sel:DWORD dst_unused:UNUSED_PAD src0_sel:BYTE_3 src1_sel:DWORD
	buffer_store_dword v2, off, s[0:3], s33 offset:172 ; 4-byte Folded Spill
.LBB6_630:                              ;   in Loop: Header=BB6_126 Depth=2
	s_or_b64 exec, exec, s[20:21]
	v_lshrrev_b32_e32 v31, 16, v32
	v_cmp_ne_u16_sdwa s[78:79], v31, v61 src0_sel:BYTE_0 src1_sel:DWORD
	v_mov_b32_e32 v2, 0
	v_mov_b32_e32 v3, 0
	s_and_saveexec_b64 s[20:21], s[78:79]
	s_cbranch_execz .LBB6_636
; %bb.631:                              ;   in Loop: Header=BB6_126 Depth=2
	v_cmp_ne_u16_sdwa s[88:89], v31, s52 src0_sel:BYTE_0 src1_sel:DWORD
	v_bfrev_b32_e32 v3, 1
	s_and_saveexec_b64 s[78:79], s[88:89]
	s_cbranch_execz .LBB6_635
; %bb.632:                              ;   in Loop: Header=BB6_126 Depth=2
	v_bfe_u32 v4, v32, 16, 7
	v_cmp_ne_u32_e32 vcc, s53, v4
	v_mov_b32_e32 v3, 0x7f800001
	s_and_saveexec_b64 s[88:89], vcc
	s_cbranch_execz .LBB6_634
; %bb.633:                              ;   in Loop: Header=BB6_126 Depth=2
	v_and_b32_e32 v5, 7, v31
	v_ffbh_u32_e32 v3, v5
	v_min_u32_e32 v7, 32, v3
	v_subrev_u32_e32 v3, 28, v7
	v_lshrrev_b32_e32 v6, 3, v4
	v_cmp_gt_u32_e32 vcc, 8, v4
	v_lshlrev_b64 v[3:4], v3, v[31:32]
	v_sub_u32_e32 v4, 29, v7
	v_and_b32_e32 v3, 7, v3
	v_cndmask_b32_e32 v4, v6, v4, vcc
	v_cndmask_b32_e32 v3, v5, v3, vcc
	v_lshlrev_b32_e32 v5, 24, v31
	v_lshlrev_b32_e32 v3, 20, v3
	v_and_b32_e32 v5, 0x80000000, v5
	v_lshl_add_u32 v4, v4, 23, v62
	v_or3_b32 v3, v5, v4, v3
.LBB6_634:                              ;   in Loop: Header=BB6_126 Depth=2
	s_or_b64 exec, exec, s[88:89]
.LBB6_635:                              ;   in Loop: Header=BB6_126 Depth=2
	s_or_b64 exec, exec, s[78:79]
.LBB6_636:                              ;   in Loop: Header=BB6_126 Depth=2
	s_or_b64 exec, exec, s[20:21]
	v_lshrrev_b32_e32 v31, 16, v26
	v_cmp_ne_u16_sdwa s[78:79], v31, v61 src0_sel:BYTE_0 src1_sel:DWORD
	s_and_saveexec_b64 s[20:21], s[78:79]
	s_cbranch_execz .LBB6_642
; %bb.637:                              ;   in Loop: Header=BB6_126 Depth=2
	v_cmp_ne_u16_sdwa s[88:89], v31, s52 src0_sel:BYTE_0 src1_sel:DWORD
	v_bfrev_b32_e32 v2, 1
	s_and_saveexec_b64 s[78:79], s[88:89]
	s_cbranch_execz .LBB6_641
; %bb.638:                              ;   in Loop: Header=BB6_126 Depth=2
	v_bfe_u32 v4, v26, 16, 7
	v_cmp_ne_u32_e32 vcc, s53, v4
	v_mov_b32_e32 v2, 0x7f800001
	s_and_saveexec_b64 s[88:89], vcc
	s_cbranch_execz .LBB6_640
; %bb.639:                              ;   in Loop: Header=BB6_126 Depth=2
	v_and_b32_e32 v2, 7, v31
	v_lshrrev_b32_e32 v6, 3, v4
	v_cmp_gt_u32_e32 vcc, 8, v4
	v_ffbh_u32_e32 v4, v2
	v_min_u32_e32 v7, 32, v4
	v_subrev_u32_e32 v4, 28, v7
	v_lshlrev_b64 v[4:5], v4, v[31:32]
	v_sub_u32_e32 v5, 29, v7
	v_and_b32_e32 v4, 7, v4
	v_cndmask_b32_e32 v5, v6, v5, vcc
	v_cndmask_b32_e32 v2, v2, v4, vcc
	v_lshlrev_b32_e32 v4, 8, v26
	v_lshlrev_b32_e32 v2, 20, v2
	v_and_b32_e32 v4, 0x80000000, v4
	v_lshl_add_u32 v5, v5, 23, v62
	v_or3_b32 v2, v4, v5, v2
.LBB6_640:                              ;   in Loop: Header=BB6_126 Depth=2
	s_or_b64 exec, exec, s[88:89]
.LBB6_641:                              ;   in Loop: Header=BB6_126 Depth=2
	s_or_b64 exec, exec, s[78:79]
.LBB6_642:                              ;   in Loop: Header=BB6_126 Depth=2
	s_or_b64 exec, exec, s[20:21]
	v_add_f32_e32 v3, v3, v2
	v_and_b32_e32 v60, 0x7f800000, v3
	v_cmp_ne_u64_e32 vcc, s[56:57], v[60:61]
                                        ; implicit-def: $vgpr2
                                        ; kill: killed $vgpr2
	s_and_saveexec_b64 s[20:21], vcc
	s_xor_b64 s[78:79], exec, s[20:21]
	s_cbranch_execz .LBB6_656
; %bb.643:                              ;   in Loop: Header=BB6_126 Depth=2
	v_and_b32_e32 v60, 0x7fffffff, v3
	v_cmp_gt_u64_e32 vcc, s[58:59], v[60:61]
	v_and_b32_sdwa v2, v3, s52 dst_sel:DWORD dst_unused:UNUSED_PAD src0_sel:BYTE_3 src1_sel:DWORD
                                        ; implicit-def: $vgpr4
                                        ; kill: killed $vgpr4
	s_and_saveexec_b64 s[20:21], vcc
	s_xor_b64 s[88:89], exec, s[20:21]
	s_cbranch_execz .LBB6_653
; %bb.644:                              ;   in Loop: Header=BB6_126 Depth=2
	v_mov_b32_e32 v4, 0
	v_cmp_ne_u32_e32 vcc, 0, v3
	buffer_store_dword v4, off, s[0:3], s33 offset:176 ; 4-byte Folded Spill
	s_and_saveexec_b64 s[90:91], vcc
	s_cbranch_execz .LBB6_652
; %bb.645:                              ;   in Loop: Header=BB6_126 Depth=2
	v_and_b32_e32 v5, 0x7fffff, v3
	v_bfe_u32 v3, v3, 23, 8
	v_cmp_gt_u32_e64 s[20:21], s54, v3
	v_sub_u32_e32 v4, 0x79, v3
	v_cmp_eq_u32_e32 vcc, 0, v3
	v_cndmask_b32_e64 v4, 0, v4, s[20:21]
	v_mov_b32_e32 v7, 0x78
	v_or_b32_e32 v6, 0x800000, v5
	v_cndmask_b32_e32 v4, v4, v7, vcc
	v_cndmask_b32_e32 v60, v6, v5, vcc
	v_add_u32_e32 v5, 20, v4
	v_lshlrev_b64 v[5:6], v5, -1
	v_add_u32_e32 v7, 19, v4
	v_lshlrev_b64 v[7:8], v7, 1
	v_bfi_b32 v6, v6, 0, 0
	v_bfi_b32 v5, v5, 0, v60
	v_lshrrev_b64 v[36:37], v4, v[60:61]
	v_cmp_eq_u64_e64 s[20:21], v[5:6], v[7:8]
	v_mov_b32_e32 v30, v36
	v_mov_b32_e32 v31, v37
	s_and_saveexec_b64 s[92:93], s[20:21]
; %bb.646:                              ;   in Loop: Header=BB6_126 Depth=2
	v_bfe_u32 v5, v36, 20, 1
	v_add_co_u32_e64 v5, s[20:21], v36, v5
	v_add_co_u32_e64 v30, s[20:21], -1, v5
; %bb.647:                              ;   in Loop: Header=BB6_126 Depth=2
	s_or_b64 exec, exec, s[92:93]
	v_add_u32_e32 v3, 0xffffff81, v3
	v_mov_b32_e32 v5, 0xffffff82
	v_cndmask_b32_e32 v3, v3, v5, vcc
	v_lshrrev_b32_e32 v5, 23, v36
	v_add3_u32 v5, v4, v3, v5
	v_add_u32_e32 v4, 6, v5
	v_and_b32_e32 v3, 0xfffff, v30
	v_add_u32_e32 v60, v3, v36
	v_cmp_ne_u32_e32 vcc, 0, v4
                                        ; implicit-def: $vgpr36_vgpr37
                                        ; implicit-def: $vgpr3
	s_and_saveexec_b64 s[20:21], vcc
	s_xor_b64 s[20:21], exec, s[20:21]
; %bb.648:                              ;   in Loop: Header=BB6_126 Depth=2
	v_cmp_lt_u64_e32 vcc, s[60:61], v[60:61]
	v_add_u32_e32 v3, 7, v5
	v_cndmask_b32_e32 v3, v4, v3, vcc
	v_cndmask_b32_e64 v4, 0, 1, vcc
	v_lshrrev_b64 v[36:37], v4, v[60:61]
; %bb.649:                              ;   in Loop: Header=BB6_126 Depth=2
	s_andn2_saveexec_b64 s[20:21], s[20:21]
; %bb.650:                              ;   in Loop: Header=BB6_126 Depth=2
	v_mov_b32_e32 v36, v60
	v_bfe_u32 v3, v60, 23, 1
	v_mov_b32_e32 v37, v61
; %bb.651:                              ;   in Loop: Header=BB6_126 Depth=2
	s_or_b64 exec, exec, s[20:21]
	v_lshrrev_b64 v[4:5], 20, v[36:37]
	v_cmp_gt_i32_e32 vcc, 16, v3
	v_cndmask_b32_e32 v5, 0, v5, vcc
	v_cndmask_b32_e32 v4, 7, v4, vcc
	v_cmp_eq_u32_e32 vcc, 0, v3
	v_min_i32_e32 v3, 15, v3
	v_cmp_eq_u64_e64 s[20:21], 0, v[4:5]
	v_lshlrev_b32_e32 v3, 3, v3
	v_and_b32_e32 v3, 0xf8, v3
	v_and_or_b32 v3, v4, 7, v3
	s_and_b64 s[20:21], vcc, s[20:21]
	v_cndmask_b32_e64 v3, v3, 0, s[20:21]
	v_or_b32_e32 v2, v3, v2
	buffer_store_dword v2, off, s[0:3], s33 offset:176 ; 4-byte Folded Spill
.LBB6_652:                              ;   in Loop: Header=BB6_126 Depth=2
	s_or_b64 exec, exec, s[90:91]
                                        ; implicit-def: $vgpr2
.LBB6_653:                              ;   in Loop: Header=BB6_126 Depth=2
	s_andn2_saveexec_b64 s[20:21], s[88:89]
	s_cbranch_execz .LBB6_655
; %bb.654:                              ;   in Loop: Header=BB6_126 Depth=2
	v_or_b32_e32 v2, 0x7e, v2
	buffer_store_dword v2, off, s[0:3], s33 offset:176 ; 4-byte Folded Spill
.LBB6_655:                              ;   in Loop: Header=BB6_126 Depth=2
	s_or_b64 exec, exec, s[20:21]
                                        ; implicit-def: $vgpr3
.LBB6_656:                              ;   in Loop: Header=BB6_126 Depth=2
	s_andn2_saveexec_b64 s[20:21], s[78:79]
	s_cbranch_execz .LBB6_658
; %bb.657:                              ;   in Loop: Header=BB6_126 Depth=2
	v_or_b32_sdwa v2, v3, s53 dst_sel:DWORD dst_unused:UNUSED_PAD src0_sel:BYTE_3 src1_sel:DWORD
	buffer_store_dword v2, off, s[0:3], s33 offset:176 ; 4-byte Folded Spill
.LBB6_658:                              ;   in Loop: Header=BB6_126 Depth=2
	s_or_b64 exec, exec, s[20:21]
	v_cmp_lt_u32_e32 vcc, s63, v32
	v_mov_b32_e32 v2, 0
	v_mov_b32_e32 v3, 0
	s_and_saveexec_b64 s[20:21], vcc
	s_cbranch_execz .LBB6_664
; %bb.659:                              ;   in Loop: Header=BB6_126 Depth=2
	v_lshrrev_b32_e32 v31, 24, v32
	v_cmp_ne_u32_e32 vcc, s52, v31
	v_bfrev_b32_e32 v3, 1
	s_and_saveexec_b64 s[78:79], vcc
	s_cbranch_execz .LBB6_663
; %bb.660:                              ;   in Loop: Header=BB6_126 Depth=2
	v_bfe_u32 v4, v32, 24, 7
	v_cmp_ne_u32_e32 vcc, s53, v4
	v_mov_b32_e32 v3, 0x7f800001
	s_and_saveexec_b64 s[88:89], vcc
	s_cbranch_execz .LBB6_662
; %bb.661:                              ;   in Loop: Header=BB6_126 Depth=2
	v_and_b32_e32 v5, 7, v31
	v_ffbh_u32_e32 v3, v5
	v_min_u32_e32 v7, 32, v3
	v_subrev_u32_e32 v3, 28, v7
	v_lshrrev_b32_e32 v6, 3, v4
	v_cmp_gt_u32_e32 vcc, 8, v4
	v_lshlrev_b64 v[3:4], v3, v[31:32]
	v_sub_u32_e32 v4, 29, v7
	v_and_b32_e32 v3, 7, v3
	v_cndmask_b32_e32 v4, v6, v4, vcc
	v_cndmask_b32_e32 v3, v5, v3, vcc
	v_lshlrev_b32_e32 v5, 24, v31
	v_lshlrev_b32_e32 v3, 20, v3
	v_and_b32_e32 v5, 0x80000000, v5
	v_lshl_add_u32 v4, v4, 23, v62
	v_or3_b32 v3, v5, v4, v3
.LBB6_662:                              ;   in Loop: Header=BB6_126 Depth=2
	s_or_b64 exec, exec, s[88:89]
.LBB6_663:                              ;   in Loop: Header=BB6_126 Depth=2
	s_or_b64 exec, exec, s[78:79]
.LBB6_664:                              ;   in Loop: Header=BB6_126 Depth=2
	s_or_b64 exec, exec, s[20:21]
	v_cmp_lt_u32_e32 vcc, s63, v26
	s_and_saveexec_b64 s[20:21], vcc
	s_cbranch_execz .LBB6_670
; %bb.665:                              ;   in Loop: Header=BB6_126 Depth=2
	v_lshrrev_b32_e32 v31, 24, v26
	v_cmp_ne_u32_e32 vcc, s52, v31
	v_bfrev_b32_e32 v2, 1
	s_and_saveexec_b64 s[78:79], vcc
	s_cbranch_execz .LBB6_669
; %bb.666:                              ;   in Loop: Header=BB6_126 Depth=2
	v_bfe_u32 v4, v26, 24, 7
	v_cmp_ne_u32_e32 vcc, s53, v4
	v_mov_b32_e32 v2, 0x7f800001
	s_and_saveexec_b64 s[88:89], vcc
	s_cbranch_execz .LBB6_668
; %bb.667:                              ;   in Loop: Header=BB6_126 Depth=2
	v_and_b32_e32 v2, 7, v31
	v_lshrrev_b32_e32 v6, 3, v4
	v_cmp_gt_u32_e32 vcc, 8, v4
	v_ffbh_u32_e32 v4, v2
	v_min_u32_e32 v7, 32, v4
	v_subrev_u32_e32 v4, 28, v7
	v_lshlrev_b64 v[4:5], v4, v[31:32]
	v_sub_u32_e32 v5, 29, v7
	v_and_b32_e32 v4, 7, v4
	v_cndmask_b32_e32 v5, v6, v5, vcc
	v_cndmask_b32_e32 v2, v2, v4, vcc
	v_lshlrev_b32_e32 v4, 24, v31
	v_lshlrev_b32_e32 v2, 20, v2
	v_and_b32_e32 v4, 0x80000000, v4
	v_lshl_add_u32 v5, v5, 23, v62
	v_or3_b32 v2, v4, v5, v2
.LBB6_668:                              ;   in Loop: Header=BB6_126 Depth=2
	s_or_b64 exec, exec, s[88:89]
.LBB6_669:                              ;   in Loop: Header=BB6_126 Depth=2
	s_or_b64 exec, exec, s[78:79]
.LBB6_670:                              ;   in Loop: Header=BB6_126 Depth=2
	s_or_b64 exec, exec, s[20:21]
	v_add_f32_e32 v3, v3, v2
	v_and_b32_e32 v60, 0x7f800000, v3
	v_cmp_ne_u64_e32 vcc, s[56:57], v[60:61]
                                        ; implicit-def: $vgpr2
                                        ; kill: killed $vgpr2
	s_and_saveexec_b64 s[20:21], vcc
	s_xor_b64 s[78:79], exec, s[20:21]
	s_cbranch_execz .LBB6_684
; %bb.671:                              ;   in Loop: Header=BB6_126 Depth=2
	v_and_b32_e32 v60, 0x7fffffff, v3
	v_cmp_gt_u64_e32 vcc, s[58:59], v[60:61]
	v_and_b32_sdwa v2, v3, s52 dst_sel:DWORD dst_unused:UNUSED_PAD src0_sel:BYTE_3 src1_sel:DWORD
                                        ; implicit-def: $vgpr4
                                        ; kill: killed $vgpr4
	s_and_saveexec_b64 s[20:21], vcc
	s_xor_b64 s[88:89], exec, s[20:21]
	s_cbranch_execz .LBB6_681
; %bb.672:                              ;   in Loop: Header=BB6_126 Depth=2
	v_mov_b32_e32 v4, 0
	v_cmp_ne_u32_e32 vcc, 0, v3
	buffer_store_dword v4, off, s[0:3], s33 offset:180 ; 4-byte Folded Spill
	s_and_saveexec_b64 s[90:91], vcc
	s_cbranch_execz .LBB6_680
; %bb.673:                              ;   in Loop: Header=BB6_126 Depth=2
	v_and_b32_e32 v5, 0x7fffff, v3
	v_bfe_u32 v3, v3, 23, 8
	v_cmp_gt_u32_e64 s[20:21], s54, v3
	v_sub_u32_e32 v4, 0x79, v3
	v_cmp_eq_u32_e32 vcc, 0, v3
	v_cndmask_b32_e64 v4, 0, v4, s[20:21]
	v_mov_b32_e32 v7, 0x78
	v_or_b32_e32 v6, 0x800000, v5
	v_cndmask_b32_e32 v4, v4, v7, vcc
	v_cndmask_b32_e32 v60, v6, v5, vcc
	v_add_u32_e32 v5, 20, v4
	v_lshlrev_b64 v[5:6], v5, -1
	v_add_u32_e32 v7, 19, v4
	v_lshlrev_b64 v[7:8], v7, 1
	v_bfi_b32 v6, v6, 0, 0
	v_bfi_b32 v5, v5, 0, v60
	v_lshrrev_b64 v[36:37], v4, v[60:61]
	v_cmp_eq_u64_e64 s[20:21], v[5:6], v[7:8]
	v_mov_b32_e32 v30, v36
	v_mov_b32_e32 v31, v37
	s_and_saveexec_b64 s[92:93], s[20:21]
; %bb.674:                              ;   in Loop: Header=BB6_126 Depth=2
	v_bfe_u32 v5, v36, 20, 1
	v_add_co_u32_e64 v5, s[20:21], v36, v5
	v_add_co_u32_e64 v30, s[20:21], -1, v5
; %bb.675:                              ;   in Loop: Header=BB6_126 Depth=2
	s_or_b64 exec, exec, s[92:93]
	v_add_u32_e32 v3, 0xffffff81, v3
	v_mov_b32_e32 v5, 0xffffff82
	v_cndmask_b32_e32 v3, v3, v5, vcc
	v_lshrrev_b32_e32 v5, 23, v36
	v_add3_u32 v5, v4, v3, v5
	v_add_u32_e32 v4, 6, v5
	v_and_b32_e32 v3, 0xfffff, v30
	v_add_u32_e32 v60, v3, v36
	v_cmp_ne_u32_e32 vcc, 0, v4
                                        ; implicit-def: $vgpr36_vgpr37
                                        ; implicit-def: $vgpr3
	s_and_saveexec_b64 s[20:21], vcc
	s_xor_b64 s[20:21], exec, s[20:21]
; %bb.676:                              ;   in Loop: Header=BB6_126 Depth=2
	v_cmp_lt_u64_e32 vcc, s[60:61], v[60:61]
	v_add_u32_e32 v3, 7, v5
	v_cndmask_b32_e32 v3, v4, v3, vcc
	v_cndmask_b32_e64 v4, 0, 1, vcc
	v_lshrrev_b64 v[36:37], v4, v[60:61]
; %bb.677:                              ;   in Loop: Header=BB6_126 Depth=2
	s_andn2_saveexec_b64 s[20:21], s[20:21]
; %bb.678:                              ;   in Loop: Header=BB6_126 Depth=2
	v_mov_b32_e32 v36, v60
	v_bfe_u32 v3, v60, 23, 1
	v_mov_b32_e32 v37, v61
; %bb.679:                              ;   in Loop: Header=BB6_126 Depth=2
	s_or_b64 exec, exec, s[20:21]
	v_lshrrev_b64 v[4:5], 20, v[36:37]
	v_cmp_gt_i32_e32 vcc, 16, v3
	v_cndmask_b32_e32 v5, 0, v5, vcc
	v_cndmask_b32_e32 v4, 7, v4, vcc
	v_cmp_eq_u32_e32 vcc, 0, v3
	v_min_i32_e32 v3, 15, v3
	v_cmp_eq_u64_e64 s[20:21], 0, v[4:5]
	v_lshlrev_b32_e32 v3, 3, v3
	v_and_b32_e32 v3, 0xf8, v3
	v_and_or_b32 v3, v4, 7, v3
	s_and_b64 s[20:21], vcc, s[20:21]
	v_cndmask_b32_e64 v3, v3, 0, s[20:21]
	v_or_b32_e32 v2, v3, v2
	buffer_store_dword v2, off, s[0:3], s33 offset:180 ; 4-byte Folded Spill
.LBB6_680:                              ;   in Loop: Header=BB6_126 Depth=2
	s_or_b64 exec, exec, s[90:91]
                                        ; implicit-def: $vgpr2
.LBB6_681:                              ;   in Loop: Header=BB6_126 Depth=2
	s_andn2_saveexec_b64 s[20:21], s[88:89]
	s_cbranch_execz .LBB6_683
; %bb.682:                              ;   in Loop: Header=BB6_126 Depth=2
	v_or_b32_e32 v2, 0x7e, v2
	buffer_store_dword v2, off, s[0:3], s33 offset:180 ; 4-byte Folded Spill
.LBB6_683:                              ;   in Loop: Header=BB6_126 Depth=2
	s_or_b64 exec, exec, s[20:21]
                                        ; implicit-def: $vgpr3
.LBB6_684:                              ;   in Loop: Header=BB6_126 Depth=2
	s_andn2_saveexec_b64 s[20:21], s[78:79]
	s_cbranch_execz .LBB6_686
; %bb.685:                              ;   in Loop: Header=BB6_126 Depth=2
	v_or_b32_sdwa v2, v3, s53 dst_sel:DWORD dst_unused:UNUSED_PAD src0_sel:BYTE_3 src1_sel:DWORD
	buffer_store_dword v2, off, s[0:3], s33 offset:180 ; 4-byte Folded Spill
.LBB6_686:                              ;   in Loop: Header=BB6_126 Depth=2
	s_or_b64 exec, exec, s[20:21]
	v_mov_b32_e32 v60, v33
	v_cmp_ne_u16_sdwa s[78:79], v33, v61 src0_sel:BYTE_0 src1_sel:DWORD
	v_mov_b32_e32 v3, 0
	v_mov_b32_e32 v2, 0
	s_and_saveexec_b64 s[20:21], s[78:79]
	s_cbranch_execz .LBB6_692
; %bb.687:                              ;   in Loop: Header=BB6_126 Depth=2
	v_cmp_ne_u16_sdwa s[88:89], v33, s52 src0_sel:BYTE_0 src1_sel:DWORD
	v_bfrev_b32_e32 v2, 1
	s_and_saveexec_b64 s[78:79], s[88:89]
	s_cbranch_execz .LBB6_691
; %bb.688:                              ;   in Loop: Header=BB6_126 Depth=2
	v_and_b32_e32 v4, 0x7f, v33
	v_cmp_ne_u32_e32 vcc, s53, v4
	v_mov_b32_e32 v2, 0x7f800001
	s_and_saveexec_b64 s[88:89], vcc
	s_cbranch_execz .LBB6_690
; %bb.689:                              ;   in Loop: Header=BB6_126 Depth=2
	v_and_b32_e32 v2, 7, v33
	v_ffbh_u32_e32 v2, v2
	v_min_u32_e32 v2, 32, v2
	v_lshrrev_b32_e32 v5, 3, v4
	v_cmp_gt_u32_e32 vcc, 8, v4
	v_subrev_u32_e32 v4, 28, v2
	v_sub_u32_e32 v2, 29, v2
	v_cndmask_b32_e32 v4, 0, v4, vcc
	v_cndmask_b32_e32 v2, v5, v2, vcc
	v_lshlrev_b64 v[4:5], v4, v[60:61]
	v_lshlrev_b32_e32 v5, 24, v60
	v_lshlrev_b32_e32 v4, 20, v4
	v_and_b32_e32 v4, 0x700000, v4
	v_and_b32_e32 v5, 0x80000000, v5
	v_lshl_add_u32 v2, v2, 23, v62
	v_or3_b32 v2, v5, v2, v4
.LBB6_690:                              ;   in Loop: Header=BB6_126 Depth=2
	s_or_b64 exec, exec, s[88:89]
.LBB6_691:                              ;   in Loop: Header=BB6_126 Depth=2
	s_or_b64 exec, exec, s[78:79]
.LBB6_692:                              ;   in Loop: Header=BB6_126 Depth=2
	s_or_b64 exec, exec, s[20:21]
	v_cmp_ne_u16_sdwa s[78:79], v27, v61 src0_sel:BYTE_0 src1_sel:DWORD
	s_and_saveexec_b64 s[20:21], s[78:79]
	s_cbranch_execz .LBB6_698
; %bb.693:                              ;   in Loop: Header=BB6_126 Depth=2
	v_cmp_ne_u16_sdwa s[88:89], v27, s52 src0_sel:BYTE_0 src1_sel:DWORD
	v_bfrev_b32_e32 v3, 1
	s_and_saveexec_b64 s[78:79], s[88:89]
	s_cbranch_execz .LBB6_697
; %bb.694:                              ;   in Loop: Header=BB6_126 Depth=2
	v_and_b32_e32 v4, 0x7f, v27
	v_cmp_ne_u32_e32 vcc, s53, v4
	v_mov_b32_e32 v3, 0x7f800001
	s_and_saveexec_b64 s[88:89], vcc
	s_cbranch_execz .LBB6_696
; %bb.695:                              ;   in Loop: Header=BB6_126 Depth=2
	v_and_b32_e32 v3, 7, v27
	v_ffbh_u32_e32 v3, v3
	v_min_u32_e32 v3, 32, v3
	v_lshrrev_b32_e32 v7, 3, v4
	v_cmp_gt_u32_e32 vcc, 8, v4
	v_subrev_u32_e32 v4, 28, v3
	v_sub_u32_e32 v3, 29, v3
	v_mov_b32_e32 v5, v27
	v_mov_b32_e32 v6, v61
	v_cndmask_b32_e32 v7, v7, v3, vcc
	v_cndmask_b32_e32 v3, 0, v4, vcc
	v_lshlrev_b64 v[3:4], v3, v[5:6]
	v_lshlrev_b32_e32 v4, 24, v5
	v_lshlrev_b32_e32 v3, 20, v3
	v_and_b32_e32 v3, 0x700000, v3
	v_and_b32_e32 v4, 0x80000000, v4
	v_lshl_add_u32 v5, v7, 23, v62
	v_or3_b32 v3, v4, v5, v3
.LBB6_696:                              ;   in Loop: Header=BB6_126 Depth=2
	s_or_b64 exec, exec, s[88:89]
.LBB6_697:                              ;   in Loop: Header=BB6_126 Depth=2
	s_or_b64 exec, exec, s[78:79]
.LBB6_698:                              ;   in Loop: Header=BB6_126 Depth=2
	s_or_b64 exec, exec, s[20:21]
	v_add_f32_e32 v3, v2, v3
	v_and_b32_e32 v4, 0x7f800000, v3
	v_mov_b32_e32 v5, v61
	v_cmp_ne_u64_e32 vcc, s[56:57], v[4:5]
                                        ; implicit-def: $vgpr2
                                        ; kill: killed $vgpr2
	s_and_saveexec_b64 s[20:21], vcc
	s_xor_b64 s[78:79], exec, s[20:21]
	s_cbranch_execz .LBB6_712
; %bb.699:                              ;   in Loop: Header=BB6_126 Depth=2
	v_and_b32_e32 v4, 0x7fffffff, v3
	v_mov_b32_e32 v5, v61
	v_cmp_gt_u64_e32 vcc, s[58:59], v[4:5]
	v_and_b32_sdwa v2, v3, s52 dst_sel:DWORD dst_unused:UNUSED_PAD src0_sel:BYTE_3 src1_sel:DWORD
                                        ; implicit-def: $vgpr4
                                        ; kill: killed $vgpr4
	s_and_saveexec_b64 s[20:21], vcc
	s_xor_b64 s[88:89], exec, s[20:21]
	s_cbranch_execz .LBB6_709
; %bb.700:                              ;   in Loop: Header=BB6_126 Depth=2
	v_mov_b32_e32 v4, 0
	v_cmp_ne_u32_e32 vcc, 0, v3
	buffer_store_dword v4, off, s[0:3], s33 offset:184 ; 4-byte Folded Spill
	s_and_saveexec_b64 s[90:91], vcc
	s_cbranch_execz .LBB6_708
; %bb.701:                              ;   in Loop: Header=BB6_126 Depth=2
	v_and_b32_e32 v5, 0x7fffff, v3
	v_bfe_u32 v3, v3, 23, 8
	v_cmp_gt_u32_e64 s[20:21], s54, v3
	v_sub_u32_e32 v4, 0x79, v3
	v_cmp_eq_u32_e32 vcc, 0, v3
	v_cndmask_b32_e64 v4, 0, v4, s[20:21]
	v_mov_b32_e32 v7, 0x78
	v_cndmask_b32_e32 v4, v4, v7, vcc
	v_add_u32_e32 v7, 20, v4
	v_or_b32_e32 v6, 0x800000, v5
	v_lshlrev_b64 v[7:8], v7, -1
	v_add_u32_e32 v9, 19, v4
	v_cndmask_b32_e32 v5, v6, v5, vcc
	v_mov_b32_e32 v6, v61
	v_lshlrev_b64 v[30:31], v9, 1
	v_bfi_b32 v8, v8, 0, 0
	v_bfi_b32 v7, v7, 0, v5
	v_lshrrev_b64 v[36:37], v4, v[5:6]
	v_cmp_eq_u64_e64 s[20:21], v[7:8], v[30:31]
	v_mov_b32_e32 v30, v36
	v_mov_b32_e32 v31, v37
	s_and_saveexec_b64 s[92:93], s[20:21]
; %bb.702:                              ;   in Loop: Header=BB6_126 Depth=2
	v_bfe_u32 v5, v36, 20, 1
	v_add_co_u32_e64 v5, s[20:21], v36, v5
	v_add_co_u32_e64 v30, s[20:21], -1, v5
; %bb.703:                              ;   in Loop: Header=BB6_126 Depth=2
	s_or_b64 exec, exec, s[92:93]
	v_add_u32_e32 v3, 0xffffff81, v3
	v_mov_b32_e32 v5, 0xffffff82
	v_cndmask_b32_e32 v3, v3, v5, vcc
	v_lshrrev_b32_e32 v5, 23, v36
	v_add3_u32 v5, v4, v3, v5
	v_add_u32_e32 v4, 6, v5
	v_and_b32_e32 v3, 0xfffff, v30
	v_add_u32_e32 v36, v3, v36
	v_mov_b32_e32 v37, v61
	v_cmp_ne_u32_e32 vcc, 0, v4
                                        ; implicit-def: $vgpr3
	s_and_saveexec_b64 s[20:21], vcc
	s_xor_b64 s[20:21], exec, s[20:21]
; %bb.704:                              ;   in Loop: Header=BB6_126 Depth=2
	v_cmp_lt_u64_e32 vcc, s[60:61], v[36:37]
	v_add_u32_e32 v3, 7, v5
	v_cndmask_b32_e32 v3, v4, v3, vcc
	v_cndmask_b32_e64 v4, 0, 1, vcc
	v_lshrrev_b64 v[36:37], v4, v[36:37]
; %bb.705:                              ;   in Loop: Header=BB6_126 Depth=2
	s_andn2_saveexec_b64 s[20:21], s[20:21]
; %bb.706:                              ;   in Loop: Header=BB6_126 Depth=2
	v_bfe_u32 v3, v36, 23, 1
; %bb.707:                              ;   in Loop: Header=BB6_126 Depth=2
	s_or_b64 exec, exec, s[20:21]
	v_lshrrev_b64 v[4:5], 20, v[36:37]
	v_cmp_gt_i32_e32 vcc, 16, v3
	v_cndmask_b32_e32 v5, 0, v5, vcc
	v_cndmask_b32_e32 v4, 7, v4, vcc
	v_cmp_eq_u32_e32 vcc, 0, v3
	v_min_i32_e32 v3, 15, v3
	v_cmp_eq_u64_e64 s[20:21], 0, v[4:5]
	v_lshlrev_b32_e32 v3, 3, v3
	v_and_b32_e32 v3, 0xf8, v3
	v_and_or_b32 v3, v4, 7, v3
	s_and_b64 s[20:21], vcc, s[20:21]
	v_cndmask_b32_e64 v3, v3, 0, s[20:21]
	v_or_b32_e32 v2, v3, v2
	buffer_store_dword v2, off, s[0:3], s33 offset:184 ; 4-byte Folded Spill
.LBB6_708:                              ;   in Loop: Header=BB6_126 Depth=2
	s_or_b64 exec, exec, s[90:91]
                                        ; implicit-def: $vgpr2
.LBB6_709:                              ;   in Loop: Header=BB6_126 Depth=2
	s_andn2_saveexec_b64 s[20:21], s[88:89]
	s_cbranch_execz .LBB6_711
; %bb.710:                              ;   in Loop: Header=BB6_126 Depth=2
	v_or_b32_e32 v2, 0x7e, v2
	buffer_store_dword v2, off, s[0:3], s33 offset:184 ; 4-byte Folded Spill
.LBB6_711:                              ;   in Loop: Header=BB6_126 Depth=2
	s_or_b64 exec, exec, s[20:21]
                                        ; implicit-def: $vgpr3
.LBB6_712:                              ;   in Loop: Header=BB6_126 Depth=2
	s_andn2_saveexec_b64 s[20:21], s[78:79]
	s_cbranch_execz .LBB6_714
; %bb.713:                              ;   in Loop: Header=BB6_126 Depth=2
	v_or_b32_sdwa v2, v3, s53 dst_sel:DWORD dst_unused:UNUSED_PAD src0_sel:BYTE_3 src1_sel:DWORD
	buffer_store_dword v2, off, s[0:3], s33 offset:184 ; 4-byte Folded Spill
.LBB6_714:                              ;   in Loop: Header=BB6_126 Depth=2
	s_or_b64 exec, exec, s[20:21]
	v_lshrrev_b16_e32 v31, 8, v60
	v_cmp_ne_u16_e32 vcc, 0, v31
	v_mov_b32_e32 v2, 0
	v_mov_b32_e32 v3, 0
	s_and_saveexec_b64 s[20:21], vcc
	s_cbranch_execz .LBB6_720
; %bb.715:                              ;   in Loop: Header=BB6_126 Depth=2
	v_cmp_ne_u16_e32 vcc, s52, v31
	v_bfrev_b32_e32 v3, 1
	s_and_saveexec_b64 s[78:79], vcc
	s_cbranch_execz .LBB6_719
; %bb.716:                              ;   in Loop: Header=BB6_126 Depth=2
	v_and_b32_e32 v4, 0x7f, v31
	v_cmp_ne_u32_e32 vcc, s53, v4
	v_mov_b32_e32 v3, 0x7f800001
	s_and_saveexec_b64 s[88:89], vcc
	s_cbranch_execz .LBB6_718
; %bb.717:                              ;   in Loop: Header=BB6_126 Depth=2
	v_and_b32_e32 v5, 7, v31
	v_ffbh_u32_e32 v3, v5
	v_min_u32_e32 v7, 32, v3
	v_subrev_u32_e32 v3, 28, v7
	v_lshrrev_b32_e32 v6, 3, v4
	v_cmp_gt_u32_e32 vcc, 8, v4
	v_lshlrev_b64 v[3:4], v3, v[31:32]
	v_sub_u32_e32 v4, 29, v7
	v_and_b32_e32 v3, 7, v3
	v_cndmask_b32_e32 v4, v6, v4, vcc
	v_cndmask_b32_e32 v3, v5, v3, vcc
	v_lshlrev_b32_e32 v5, 16, v60
	v_lshlrev_b32_e32 v3, 20, v3
	v_and_b32_e32 v5, 0x80000000, v5
	v_lshl_add_u32 v4, v4, 23, v62
	v_or3_b32 v3, v5, v4, v3
.LBB6_718:                              ;   in Loop: Header=BB6_126 Depth=2
	s_or_b64 exec, exec, s[88:89]
.LBB6_719:                              ;   in Loop: Header=BB6_126 Depth=2
	s_or_b64 exec, exec, s[78:79]
.LBB6_720:                              ;   in Loop: Header=BB6_126 Depth=2
	s_or_b64 exec, exec, s[20:21]
	v_lshrrev_b16_e32 v31, 8, v27
	v_cmp_ne_u16_e32 vcc, 0, v31
	s_and_saveexec_b64 s[20:21], vcc
	s_cbranch_execz .LBB6_726
; %bb.721:                              ;   in Loop: Header=BB6_126 Depth=2
	v_cmp_ne_u16_e32 vcc, s52, v31
	v_bfrev_b32_e32 v2, 1
	s_and_saveexec_b64 s[78:79], vcc
	s_cbranch_execz .LBB6_725
; %bb.722:                              ;   in Loop: Header=BB6_126 Depth=2
	v_and_b32_e32 v4, 0x7f, v31
	v_cmp_ne_u32_e32 vcc, s53, v4
	v_mov_b32_e32 v2, 0x7f800001
	s_and_saveexec_b64 s[88:89], vcc
	s_cbranch_execz .LBB6_724
; %bb.723:                              ;   in Loop: Header=BB6_126 Depth=2
	v_and_b32_e32 v2, 7, v31
	v_lshrrev_b32_e32 v6, 3, v4
	v_cmp_gt_u32_e32 vcc, 8, v4
	v_ffbh_u32_e32 v4, v2
	v_min_u32_e32 v7, 32, v4
	v_subrev_u32_e32 v4, 28, v7
	v_lshlrev_b64 v[4:5], v4, v[31:32]
	v_sub_u32_e32 v5, 29, v7
	v_and_b32_e32 v4, 7, v4
	v_cndmask_b32_e32 v5, v6, v5, vcc
	v_cndmask_b32_e32 v2, v2, v4, vcc
	v_lshlrev_b32_e32 v4, 16, v27
	v_lshlrev_b32_e32 v2, 20, v2
	v_and_b32_e32 v4, 0x80000000, v4
	v_lshl_add_u32 v5, v5, 23, v62
	v_or3_b32 v2, v4, v5, v2
.LBB6_724:                              ;   in Loop: Header=BB6_126 Depth=2
	s_or_b64 exec, exec, s[88:89]
.LBB6_725:                              ;   in Loop: Header=BB6_126 Depth=2
	s_or_b64 exec, exec, s[78:79]
.LBB6_726:                              ;   in Loop: Header=BB6_126 Depth=2
	s_or_b64 exec, exec, s[20:21]
	v_add_f32_e32 v3, v3, v2
	v_and_b32_e32 v60, 0x7f800000, v3
	v_cmp_ne_u64_e32 vcc, s[56:57], v[60:61]
                                        ; implicit-def: $vgpr2
                                        ; kill: killed $vgpr2
	s_and_saveexec_b64 s[20:21], vcc
	s_xor_b64 s[78:79], exec, s[20:21]
	s_cbranch_execz .LBB6_740
; %bb.727:                              ;   in Loop: Header=BB6_126 Depth=2
	v_and_b32_e32 v60, 0x7fffffff, v3
	v_cmp_gt_u64_e32 vcc, s[58:59], v[60:61]
	v_and_b32_sdwa v2, v3, s52 dst_sel:DWORD dst_unused:UNUSED_PAD src0_sel:BYTE_3 src1_sel:DWORD
                                        ; implicit-def: $vgpr4
                                        ; kill: killed $vgpr4
	s_and_saveexec_b64 s[20:21], vcc
	s_xor_b64 s[88:89], exec, s[20:21]
	s_cbranch_execz .LBB6_737
; %bb.728:                              ;   in Loop: Header=BB6_126 Depth=2
	v_mov_b32_e32 v4, 0
	v_cmp_ne_u32_e32 vcc, 0, v3
	buffer_store_dword v4, off, s[0:3], s33 offset:188 ; 4-byte Folded Spill
	s_and_saveexec_b64 s[90:91], vcc
	s_cbranch_execz .LBB6_736
; %bb.729:                              ;   in Loop: Header=BB6_126 Depth=2
	v_and_b32_e32 v5, 0x7fffff, v3
	v_bfe_u32 v3, v3, 23, 8
	v_cmp_gt_u32_e64 s[20:21], s54, v3
	v_sub_u32_e32 v4, 0x79, v3
	v_cmp_eq_u32_e32 vcc, 0, v3
	v_cndmask_b32_e64 v4, 0, v4, s[20:21]
	v_mov_b32_e32 v7, 0x78
	v_or_b32_e32 v6, 0x800000, v5
	v_cndmask_b32_e32 v4, v4, v7, vcc
	v_cndmask_b32_e32 v60, v6, v5, vcc
	v_add_u32_e32 v5, 20, v4
	v_lshlrev_b64 v[5:6], v5, -1
	v_add_u32_e32 v7, 19, v4
	v_lshlrev_b64 v[7:8], v7, 1
	v_bfi_b32 v6, v6, 0, 0
	v_bfi_b32 v5, v5, 0, v60
	v_lshrrev_b64 v[36:37], v4, v[60:61]
	v_cmp_eq_u64_e64 s[20:21], v[5:6], v[7:8]
	v_mov_b32_e32 v30, v36
	v_mov_b32_e32 v31, v37
	s_and_saveexec_b64 s[92:93], s[20:21]
; %bb.730:                              ;   in Loop: Header=BB6_126 Depth=2
	v_bfe_u32 v5, v36, 20, 1
	v_add_co_u32_e64 v5, s[20:21], v36, v5
	v_add_co_u32_e64 v30, s[20:21], -1, v5
; %bb.731:                              ;   in Loop: Header=BB6_126 Depth=2
	s_or_b64 exec, exec, s[92:93]
	v_add_u32_e32 v3, 0xffffff81, v3
	v_mov_b32_e32 v5, 0xffffff82
	v_cndmask_b32_e32 v3, v3, v5, vcc
	v_lshrrev_b32_e32 v5, 23, v36
	v_add3_u32 v5, v4, v3, v5
	v_add_u32_e32 v4, 6, v5
	v_and_b32_e32 v3, 0xfffff, v30
	v_add_u32_e32 v60, v3, v36
	v_cmp_ne_u32_e32 vcc, 0, v4
                                        ; implicit-def: $vgpr36_vgpr37
                                        ; implicit-def: $vgpr3
	s_and_saveexec_b64 s[20:21], vcc
	s_xor_b64 s[20:21], exec, s[20:21]
; %bb.732:                              ;   in Loop: Header=BB6_126 Depth=2
	v_cmp_lt_u64_e32 vcc, s[60:61], v[60:61]
	v_add_u32_e32 v3, 7, v5
	v_cndmask_b32_e32 v3, v4, v3, vcc
	v_cndmask_b32_e64 v4, 0, 1, vcc
	v_lshrrev_b64 v[36:37], v4, v[60:61]
; %bb.733:                              ;   in Loop: Header=BB6_126 Depth=2
	s_andn2_saveexec_b64 s[20:21], s[20:21]
; %bb.734:                              ;   in Loop: Header=BB6_126 Depth=2
	v_mov_b32_e32 v36, v60
	v_bfe_u32 v3, v60, 23, 1
	v_mov_b32_e32 v37, v61
; %bb.735:                              ;   in Loop: Header=BB6_126 Depth=2
	s_or_b64 exec, exec, s[20:21]
	v_lshrrev_b64 v[4:5], 20, v[36:37]
	v_cmp_gt_i32_e32 vcc, 16, v3
	v_cndmask_b32_e32 v5, 0, v5, vcc
	v_cndmask_b32_e32 v4, 7, v4, vcc
	v_cmp_eq_u32_e32 vcc, 0, v3
	v_min_i32_e32 v3, 15, v3
	v_cmp_eq_u64_e64 s[20:21], 0, v[4:5]
	v_lshlrev_b32_e32 v3, 3, v3
	v_and_b32_e32 v3, 0xf8, v3
	v_and_or_b32 v3, v4, 7, v3
	s_and_b64 s[20:21], vcc, s[20:21]
	v_cndmask_b32_e64 v3, v3, 0, s[20:21]
	v_or_b32_e32 v2, v3, v2
	buffer_store_dword v2, off, s[0:3], s33 offset:188 ; 4-byte Folded Spill
.LBB6_736:                              ;   in Loop: Header=BB6_126 Depth=2
	s_or_b64 exec, exec, s[90:91]
                                        ; implicit-def: $vgpr2
.LBB6_737:                              ;   in Loop: Header=BB6_126 Depth=2
	s_andn2_saveexec_b64 s[20:21], s[88:89]
	s_cbranch_execz .LBB6_739
; %bb.738:                              ;   in Loop: Header=BB6_126 Depth=2
	v_or_b32_e32 v2, 0x7e, v2
	buffer_store_dword v2, off, s[0:3], s33 offset:188 ; 4-byte Folded Spill
.LBB6_739:                              ;   in Loop: Header=BB6_126 Depth=2
	s_or_b64 exec, exec, s[20:21]
                                        ; implicit-def: $vgpr3
.LBB6_740:                              ;   in Loop: Header=BB6_126 Depth=2
	s_andn2_saveexec_b64 s[20:21], s[78:79]
	s_cbranch_execz .LBB6_742
; %bb.741:                              ;   in Loop: Header=BB6_126 Depth=2
	v_or_b32_sdwa v2, v3, s53 dst_sel:DWORD dst_unused:UNUSED_PAD src0_sel:BYTE_3 src1_sel:DWORD
	buffer_store_dword v2, off, s[0:3], s33 offset:188 ; 4-byte Folded Spill
.LBB6_742:                              ;   in Loop: Header=BB6_126 Depth=2
	s_or_b64 exec, exec, s[20:21]
	v_lshrrev_b32_e32 v31, 16, v33
	v_cmp_ne_u16_sdwa s[78:79], v31, v61 src0_sel:BYTE_0 src1_sel:DWORD
	v_mov_b32_e32 v2, 0
	v_mov_b32_e32 v3, 0
	s_and_saveexec_b64 s[20:21], s[78:79]
	s_cbranch_execz .LBB6_748
; %bb.743:                              ;   in Loop: Header=BB6_126 Depth=2
	v_cmp_ne_u16_sdwa s[88:89], v31, s52 src0_sel:BYTE_0 src1_sel:DWORD
	v_bfrev_b32_e32 v3, 1
	s_and_saveexec_b64 s[78:79], s[88:89]
	s_cbranch_execz .LBB6_747
; %bb.744:                              ;   in Loop: Header=BB6_126 Depth=2
	v_bfe_u32 v4, v33, 16, 7
	v_cmp_ne_u32_e32 vcc, s53, v4
	v_mov_b32_e32 v3, 0x7f800001
	s_and_saveexec_b64 s[88:89], vcc
	s_cbranch_execz .LBB6_746
; %bb.745:                              ;   in Loop: Header=BB6_126 Depth=2
	v_and_b32_e32 v5, 7, v31
	v_ffbh_u32_e32 v3, v5
	v_min_u32_e32 v7, 32, v3
	v_subrev_u32_e32 v3, 28, v7
	v_lshrrev_b32_e32 v6, 3, v4
	v_cmp_gt_u32_e32 vcc, 8, v4
	v_lshlrev_b64 v[3:4], v3, v[31:32]
	v_sub_u32_e32 v4, 29, v7
	v_and_b32_e32 v3, 7, v3
	v_cndmask_b32_e32 v4, v6, v4, vcc
	v_cndmask_b32_e32 v3, v5, v3, vcc
	v_lshlrev_b32_e32 v5, 24, v31
	v_lshlrev_b32_e32 v3, 20, v3
	v_and_b32_e32 v5, 0x80000000, v5
	v_lshl_add_u32 v4, v4, 23, v62
	v_or3_b32 v3, v5, v4, v3
.LBB6_746:                              ;   in Loop: Header=BB6_126 Depth=2
	s_or_b64 exec, exec, s[88:89]
.LBB6_747:                              ;   in Loop: Header=BB6_126 Depth=2
	s_or_b64 exec, exec, s[78:79]
.LBB6_748:                              ;   in Loop: Header=BB6_126 Depth=2
	s_or_b64 exec, exec, s[20:21]
	v_lshrrev_b32_e32 v31, 16, v27
	v_cmp_ne_u16_sdwa s[78:79], v31, v61 src0_sel:BYTE_0 src1_sel:DWORD
	s_and_saveexec_b64 s[20:21], s[78:79]
	s_cbranch_execz .LBB6_754
; %bb.749:                              ;   in Loop: Header=BB6_126 Depth=2
	v_cmp_ne_u16_sdwa s[88:89], v31, s52 src0_sel:BYTE_0 src1_sel:DWORD
	v_bfrev_b32_e32 v2, 1
	s_and_saveexec_b64 s[78:79], s[88:89]
	s_cbranch_execz .LBB6_753
; %bb.750:                              ;   in Loop: Header=BB6_126 Depth=2
	v_bfe_u32 v4, v27, 16, 7
	v_cmp_ne_u32_e32 vcc, s53, v4
	v_mov_b32_e32 v2, 0x7f800001
	s_and_saveexec_b64 s[88:89], vcc
	s_cbranch_execz .LBB6_752
; %bb.751:                              ;   in Loop: Header=BB6_126 Depth=2
	v_and_b32_e32 v2, 7, v31
	v_lshrrev_b32_e32 v6, 3, v4
	v_cmp_gt_u32_e32 vcc, 8, v4
	v_ffbh_u32_e32 v4, v2
	v_min_u32_e32 v7, 32, v4
	v_subrev_u32_e32 v4, 28, v7
	v_lshlrev_b64 v[4:5], v4, v[31:32]
	v_sub_u32_e32 v5, 29, v7
	v_and_b32_e32 v4, 7, v4
	v_cndmask_b32_e32 v5, v6, v5, vcc
	v_cndmask_b32_e32 v2, v2, v4, vcc
	v_lshlrev_b32_e32 v4, 8, v27
	v_lshlrev_b32_e32 v2, 20, v2
	v_and_b32_e32 v4, 0x80000000, v4
	v_lshl_add_u32 v5, v5, 23, v62
	v_or3_b32 v2, v4, v5, v2
.LBB6_752:                              ;   in Loop: Header=BB6_126 Depth=2
	s_or_b64 exec, exec, s[88:89]
.LBB6_753:                              ;   in Loop: Header=BB6_126 Depth=2
	s_or_b64 exec, exec, s[78:79]
.LBB6_754:                              ;   in Loop: Header=BB6_126 Depth=2
	s_or_b64 exec, exec, s[20:21]
	v_add_f32_e32 v3, v3, v2
	v_and_b32_e32 v60, 0x7f800000, v3
	v_cmp_ne_u64_e32 vcc, s[56:57], v[60:61]
                                        ; implicit-def: $vgpr2
                                        ; kill: killed $vgpr2
	s_and_saveexec_b64 s[20:21], vcc
	s_xor_b64 s[78:79], exec, s[20:21]
	s_cbranch_execz .LBB6_768
; %bb.755:                              ;   in Loop: Header=BB6_126 Depth=2
	v_and_b32_e32 v60, 0x7fffffff, v3
	v_cmp_gt_u64_e32 vcc, s[58:59], v[60:61]
	v_and_b32_sdwa v2, v3, s52 dst_sel:DWORD dst_unused:UNUSED_PAD src0_sel:BYTE_3 src1_sel:DWORD
                                        ; implicit-def: $vgpr4
                                        ; kill: killed $vgpr4
	s_and_saveexec_b64 s[20:21], vcc
	s_xor_b64 s[88:89], exec, s[20:21]
	s_cbranch_execz .LBB6_765
; %bb.756:                              ;   in Loop: Header=BB6_126 Depth=2
	v_mov_b32_e32 v4, 0
	v_cmp_ne_u32_e32 vcc, 0, v3
	buffer_store_dword v4, off, s[0:3], s33 offset:192 ; 4-byte Folded Spill
	s_and_saveexec_b64 s[90:91], vcc
	s_cbranch_execz .LBB6_764
; %bb.757:                              ;   in Loop: Header=BB6_126 Depth=2
	v_and_b32_e32 v5, 0x7fffff, v3
	v_bfe_u32 v3, v3, 23, 8
	v_cmp_gt_u32_e64 s[20:21], s54, v3
	v_sub_u32_e32 v4, 0x79, v3
	v_cmp_eq_u32_e32 vcc, 0, v3
	v_cndmask_b32_e64 v4, 0, v4, s[20:21]
	v_mov_b32_e32 v7, 0x78
	v_or_b32_e32 v6, 0x800000, v5
	v_cndmask_b32_e32 v4, v4, v7, vcc
	v_cndmask_b32_e32 v60, v6, v5, vcc
	v_add_u32_e32 v5, 20, v4
	v_lshlrev_b64 v[5:6], v5, -1
	v_add_u32_e32 v7, 19, v4
	v_lshlrev_b64 v[7:8], v7, 1
	v_bfi_b32 v6, v6, 0, 0
	v_bfi_b32 v5, v5, 0, v60
	v_lshrrev_b64 v[36:37], v4, v[60:61]
	v_cmp_eq_u64_e64 s[20:21], v[5:6], v[7:8]
	v_mov_b32_e32 v30, v36
	v_mov_b32_e32 v31, v37
	s_and_saveexec_b64 s[92:93], s[20:21]
; %bb.758:                              ;   in Loop: Header=BB6_126 Depth=2
	v_bfe_u32 v5, v36, 20, 1
	v_add_co_u32_e64 v5, s[20:21], v36, v5
	v_add_co_u32_e64 v30, s[20:21], -1, v5
; %bb.759:                              ;   in Loop: Header=BB6_126 Depth=2
	s_or_b64 exec, exec, s[92:93]
	v_add_u32_e32 v3, 0xffffff81, v3
	v_mov_b32_e32 v5, 0xffffff82
	v_cndmask_b32_e32 v3, v3, v5, vcc
	v_lshrrev_b32_e32 v5, 23, v36
	v_add3_u32 v5, v4, v3, v5
	v_add_u32_e32 v4, 6, v5
	v_and_b32_e32 v3, 0xfffff, v30
	v_add_u32_e32 v60, v3, v36
	v_cmp_ne_u32_e32 vcc, 0, v4
                                        ; implicit-def: $vgpr36_vgpr37
                                        ; implicit-def: $vgpr3
	s_and_saveexec_b64 s[20:21], vcc
	s_xor_b64 s[20:21], exec, s[20:21]
; %bb.760:                              ;   in Loop: Header=BB6_126 Depth=2
	v_cmp_lt_u64_e32 vcc, s[60:61], v[60:61]
	v_add_u32_e32 v3, 7, v5
	v_cndmask_b32_e32 v3, v4, v3, vcc
	v_cndmask_b32_e64 v4, 0, 1, vcc
	v_lshrrev_b64 v[36:37], v4, v[60:61]
; %bb.761:                              ;   in Loop: Header=BB6_126 Depth=2
	s_andn2_saveexec_b64 s[20:21], s[20:21]
; %bb.762:                              ;   in Loop: Header=BB6_126 Depth=2
	v_mov_b32_e32 v36, v60
	v_bfe_u32 v3, v60, 23, 1
	v_mov_b32_e32 v37, v61
; %bb.763:                              ;   in Loop: Header=BB6_126 Depth=2
	s_or_b64 exec, exec, s[20:21]
	v_lshrrev_b64 v[4:5], 20, v[36:37]
	v_cmp_gt_i32_e32 vcc, 16, v3
	v_cndmask_b32_e32 v5, 0, v5, vcc
	v_cndmask_b32_e32 v4, 7, v4, vcc
	v_cmp_eq_u32_e32 vcc, 0, v3
	v_min_i32_e32 v3, 15, v3
	v_cmp_eq_u64_e64 s[20:21], 0, v[4:5]
	v_lshlrev_b32_e32 v3, 3, v3
	v_and_b32_e32 v3, 0xf8, v3
	v_and_or_b32 v3, v4, 7, v3
	s_and_b64 s[20:21], vcc, s[20:21]
	v_cndmask_b32_e64 v3, v3, 0, s[20:21]
	v_or_b32_e32 v2, v3, v2
	buffer_store_dword v2, off, s[0:3], s33 offset:192 ; 4-byte Folded Spill
.LBB6_764:                              ;   in Loop: Header=BB6_126 Depth=2
	s_or_b64 exec, exec, s[90:91]
                                        ; implicit-def: $vgpr2
.LBB6_765:                              ;   in Loop: Header=BB6_126 Depth=2
	s_andn2_saveexec_b64 s[20:21], s[88:89]
	s_cbranch_execz .LBB6_767
; %bb.766:                              ;   in Loop: Header=BB6_126 Depth=2
	v_or_b32_e32 v2, 0x7e, v2
	buffer_store_dword v2, off, s[0:3], s33 offset:192 ; 4-byte Folded Spill
.LBB6_767:                              ;   in Loop: Header=BB6_126 Depth=2
	s_or_b64 exec, exec, s[20:21]
                                        ; implicit-def: $vgpr3
.LBB6_768:                              ;   in Loop: Header=BB6_126 Depth=2
	s_andn2_saveexec_b64 s[20:21], s[78:79]
	s_cbranch_execz .LBB6_770
; %bb.769:                              ;   in Loop: Header=BB6_126 Depth=2
	v_or_b32_sdwa v2, v3, s53 dst_sel:DWORD dst_unused:UNUSED_PAD src0_sel:BYTE_3 src1_sel:DWORD
	buffer_store_dword v2, off, s[0:3], s33 offset:192 ; 4-byte Folded Spill
.LBB6_770:                              ;   in Loop: Header=BB6_126 Depth=2
	s_or_b64 exec, exec, s[20:21]
	v_cmp_lt_u64_e32 vcc, s[62:63], v[32:33]
	v_mov_b32_e32 v2, 0
	v_mov_b32_e32 v3, 0
	s_and_saveexec_b64 s[20:21], vcc
	s_cbranch_execz .LBB6_776
; %bb.771:                              ;   in Loop: Header=BB6_126 Depth=2
	v_lshrrev_b32_e32 v31, 24, v33
	v_cmp_ne_u32_e32 vcc, s52, v31
	v_bfrev_b32_e32 v3, 1
	s_and_saveexec_b64 s[78:79], vcc
	s_cbranch_execz .LBB6_775
; %bb.772:                              ;   in Loop: Header=BB6_126 Depth=2
	v_bfe_u32 v4, v33, 24, 7
	v_cmp_ne_u32_e32 vcc, s53, v4
	v_mov_b32_e32 v3, 0x7f800001
	s_and_saveexec_b64 s[88:89], vcc
	s_cbranch_execz .LBB6_774
; %bb.773:                              ;   in Loop: Header=BB6_126 Depth=2
	v_and_b32_e32 v5, 7, v31
	v_ffbh_u32_e32 v3, v5
	v_min_u32_e32 v7, 32, v3
	v_subrev_u32_e32 v3, 28, v7
	v_lshrrev_b32_e32 v6, 3, v4
	v_cmp_gt_u32_e32 vcc, 8, v4
	v_lshlrev_b64 v[3:4], v3, v[31:32]
	v_sub_u32_e32 v4, 29, v7
	v_and_b32_e32 v3, 7, v3
	v_cndmask_b32_e32 v4, v6, v4, vcc
	v_cndmask_b32_e32 v3, v5, v3, vcc
	v_lshlrev_b32_e32 v5, 24, v31
	v_lshlrev_b32_e32 v3, 20, v3
	v_and_b32_e32 v5, 0x80000000, v5
	v_lshl_add_u32 v4, v4, 23, v62
	v_or3_b32 v3, v5, v4, v3
.LBB6_774:                              ;   in Loop: Header=BB6_126 Depth=2
	s_or_b64 exec, exec, s[88:89]
.LBB6_775:                              ;   in Loop: Header=BB6_126 Depth=2
	s_or_b64 exec, exec, s[78:79]
.LBB6_776:                              ;   in Loop: Header=BB6_126 Depth=2
	s_or_b64 exec, exec, s[20:21]
	v_cmp_lt_u64_e32 vcc, s[62:63], v[26:27]
	s_and_saveexec_b64 s[20:21], vcc
	s_cbranch_execz .LBB6_782
; %bb.777:                              ;   in Loop: Header=BB6_126 Depth=2
	v_lshrrev_b32_e32 v26, 24, v27
	v_cmp_ne_u32_e32 vcc, s52, v26
	v_bfrev_b32_e32 v2, 1
	s_and_saveexec_b64 s[78:79], vcc
	s_cbranch_execz .LBB6_781
; %bb.778:                              ;   in Loop: Header=BB6_126 Depth=2
	v_bfe_u32 v4, v27, 24, 7
	v_cmp_ne_u32_e32 vcc, s53, v4
	v_mov_b32_e32 v2, 0x7f800001
	s_and_saveexec_b64 s[88:89], vcc
	s_cbranch_execz .LBB6_780
; %bb.779:                              ;   in Loop: Header=BB6_126 Depth=2
	v_and_b32_e32 v2, 7, v26
	v_lshrrev_b32_e32 v6, 3, v4
	v_cmp_gt_u32_e32 vcc, 8, v4
	v_ffbh_u32_e32 v4, v2
	v_min_u32_e32 v7, 32, v4
	v_subrev_u32_e32 v4, 28, v7
	v_lshlrev_b64 v[4:5], v4, v[26:27]
	v_sub_u32_e32 v5, 29, v7
	v_and_b32_e32 v4, 7, v4
	v_cndmask_b32_e32 v5, v6, v5, vcc
	v_cndmask_b32_e32 v2, v2, v4, vcc
	v_lshlrev_b32_e32 v4, 24, v26
	v_lshlrev_b32_e32 v2, 20, v2
	v_and_b32_e32 v4, 0x80000000, v4
	v_lshl_add_u32 v5, v5, 23, v62
	v_or3_b32 v2, v4, v5, v2
.LBB6_780:                              ;   in Loop: Header=BB6_126 Depth=2
	s_or_b64 exec, exec, s[88:89]
.LBB6_781:                              ;   in Loop: Header=BB6_126 Depth=2
	s_or_b64 exec, exec, s[78:79]
.LBB6_782:                              ;   in Loop: Header=BB6_126 Depth=2
	s_or_b64 exec, exec, s[20:21]
	v_add_f32_e32 v3, v3, v2
	v_and_b32_e32 v60, 0x7f800000, v3
	v_cmp_ne_u64_e32 vcc, s[56:57], v[60:61]
                                        ; implicit-def: $vgpr36
	s_and_saveexec_b64 s[20:21], vcc
	s_xor_b64 s[78:79], exec, s[20:21]
	s_cbranch_execz .LBB6_796
; %bb.783:                              ;   in Loop: Header=BB6_126 Depth=2
	v_and_b32_e32 v60, 0x7fffffff, v3
	v_cmp_gt_u64_e32 vcc, s[58:59], v[60:61]
	v_and_b32_sdwa v2, v3, s52 dst_sel:DWORD dst_unused:UNUSED_PAD src0_sel:BYTE_3 src1_sel:DWORD
                                        ; implicit-def: $vgpr36
	s_and_saveexec_b64 s[20:21], vcc
	s_xor_b64 s[88:89], exec, s[20:21]
	s_cbranch_execz .LBB6_793
; %bb.784:                              ;   in Loop: Header=BB6_126 Depth=2
	v_mov_b32_e32 v36, 0
	v_cmp_ne_u32_e32 vcc, 0, v3
	s_and_saveexec_b64 s[90:91], vcc
	s_cbranch_execz .LBB6_792
; %bb.785:                              ;   in Loop: Header=BB6_126 Depth=2
	v_and_b32_e32 v5, 0x7fffff, v3
	v_bfe_u32 v3, v3, 23, 8
	v_cmp_gt_u32_e64 s[20:21], s54, v3
	v_sub_u32_e32 v4, 0x79, v3
	v_cmp_eq_u32_e32 vcc, 0, v3
	v_cndmask_b32_e64 v4, 0, v4, s[20:21]
	v_mov_b32_e32 v7, 0x78
	v_or_b32_e32 v6, 0x800000, v5
	v_cndmask_b32_e32 v4, v4, v7, vcc
	v_cndmask_b32_e32 v60, v6, v5, vcc
	v_add_u32_e32 v5, 20, v4
	v_lshlrev_b64 v[5:6], v5, -1
	v_add_u32_e32 v7, 19, v4
	v_lshlrev_b64 v[7:8], v7, 1
	v_lshrrev_b64 v[26:27], v4, v[60:61]
	v_bfi_b32 v6, v6, 0, 0
	v_bfi_b32 v5, v5, 0, v60
	v_cmp_eq_u64_e64 s[20:21], v[5:6], v[7:8]
	v_mov_b32_e32 v31, v27
	v_mov_b32_e32 v30, v26
	s_and_saveexec_b64 s[92:93], s[20:21]
; %bb.786:                              ;   in Loop: Header=BB6_126 Depth=2
	v_bfe_u32 v5, v26, 20, 1
	v_add_co_u32_e64 v5, s[20:21], v26, v5
	v_add_co_u32_e64 v30, s[20:21], -1, v5
; %bb.787:                              ;   in Loop: Header=BB6_126 Depth=2
	s_or_b64 exec, exec, s[92:93]
	v_add_u32_e32 v3, 0xffffff81, v3
	v_mov_b32_e32 v5, 0xffffff82
	v_cndmask_b32_e32 v3, v3, v5, vcc
	v_lshrrev_b32_e32 v5, 23, v26
	v_add3_u32 v5, v4, v3, v5
	v_add_u32_e32 v4, 6, v5
	v_and_b32_e32 v3, 0xfffff, v30
	v_add_u32_e32 v60, v3, v26
	v_cmp_ne_u32_e32 vcc, 0, v4
                                        ; implicit-def: $vgpr26_vgpr27
                                        ; implicit-def: $vgpr3
	s_and_saveexec_b64 s[20:21], vcc
	s_xor_b64 s[20:21], exec, s[20:21]
; %bb.788:                              ;   in Loop: Header=BB6_126 Depth=2
	v_cmp_lt_u64_e32 vcc, s[60:61], v[60:61]
	v_add_u32_e32 v3, 7, v5
	v_cndmask_b32_e32 v3, v4, v3, vcc
	v_cndmask_b32_e64 v4, 0, 1, vcc
	v_lshrrev_b64 v[26:27], v4, v[60:61]
; %bb.789:                              ;   in Loop: Header=BB6_126 Depth=2
	s_andn2_saveexec_b64 s[20:21], s[20:21]
; %bb.790:                              ;   in Loop: Header=BB6_126 Depth=2
	v_mov_b32_e32 v26, v60
	v_bfe_u32 v3, v60, 23, 1
	v_mov_b32_e32 v27, v61
; %bb.791:                              ;   in Loop: Header=BB6_126 Depth=2
	s_or_b64 exec, exec, s[20:21]
	v_lshrrev_b64 v[4:5], 20, v[26:27]
	v_cmp_gt_i32_e32 vcc, 16, v3
	v_cndmask_b32_e32 v5, 0, v5, vcc
	v_cndmask_b32_e32 v4, 7, v4, vcc
	v_cmp_eq_u32_e32 vcc, 0, v3
	v_min_i32_e32 v3, 15, v3
	v_cmp_eq_u64_e64 s[20:21], 0, v[4:5]
	v_lshlrev_b32_e32 v3, 3, v3
	v_and_b32_e32 v3, 0xf8, v3
	v_and_or_b32 v3, v4, 7, v3
	s_and_b64 s[20:21], vcc, s[20:21]
	v_cndmask_b32_e64 v3, v3, 0, s[20:21]
	v_or_b32_e32 v36, v3, v2
.LBB6_792:                              ;   in Loop: Header=BB6_126 Depth=2
	s_or_b64 exec, exec, s[90:91]
                                        ; implicit-def: $vgpr2
.LBB6_793:                              ;   in Loop: Header=BB6_126 Depth=2
	s_andn2_saveexec_b64 s[20:21], s[88:89]
; %bb.794:                              ;   in Loop: Header=BB6_126 Depth=2
	v_or_b32_e32 v36, 0x7e, v2
; %bb.795:                              ;   in Loop: Header=BB6_126 Depth=2
	s_or_b64 exec, exec, s[20:21]
                                        ; implicit-def: $vgpr3
.LBB6_796:                              ;   in Loop: Header=BB6_126 Depth=2
	s_andn2_saveexec_b64 s[20:21], s[78:79]
; %bb.797:                              ;   in Loop: Header=BB6_126 Depth=2
	v_or_b32_sdwa v36, v3, s53 dst_sel:DWORD dst_unused:UNUSED_PAD src0_sel:BYTE_3 src1_sel:DWORD
; %bb.798:                              ;   in Loop: Header=BB6_126 Depth=2
	s_or_b64 exec, exec, s[20:21]
	v_cmp_ne_u16_sdwa s[78:79], v34, v61 src0_sel:BYTE_0 src1_sel:DWORD
	v_mov_b32_e32 v2, 0
	v_mov_b32_e32 v3, 0
	s_and_saveexec_b64 s[20:21], s[78:79]
	s_cbranch_execz .LBB6_804
; %bb.799:                              ;   in Loop: Header=BB6_126 Depth=2
	v_cmp_ne_u16_sdwa s[88:89], v34, s52 src0_sel:BYTE_0 src1_sel:DWORD
	v_bfrev_b32_e32 v3, 1
	s_and_saveexec_b64 s[78:79], s[88:89]
	s_cbranch_execz .LBB6_803
; %bb.800:                              ;   in Loop: Header=BB6_126 Depth=2
	v_and_b32_e32 v4, 0x7f, v34
	v_cmp_ne_u32_e32 vcc, s53, v4
	v_mov_b32_e32 v3, 0x7f800001
	s_and_saveexec_b64 s[88:89], vcc
	s_cbranch_execz .LBB6_802
; %bb.801:                              ;   in Loop: Header=BB6_126 Depth=2
	v_and_b32_e32 v3, 7, v34
	v_ffbh_u32_e32 v3, v3
	v_min_u32_e32 v3, 32, v3
	v_lshrrev_b32_e32 v5, 3, v4
	v_cmp_gt_u32_e32 vcc, 8, v4
	v_subrev_u32_e32 v4, 28, v3
	v_sub_u32_e32 v3, 29, v3
	v_cndmask_b32_e32 v5, v5, v3, vcc
	v_cndmask_b32_e32 v3, 0, v4, vcc
	v_lshlrev_b64 v[3:4], v3, v[34:35]
	v_lshlrev_b32_e32 v4, 24, v34
	v_lshlrev_b32_e32 v3, 20, v3
	v_and_b32_e32 v3, 0x700000, v3
	v_and_b32_e32 v4, 0x80000000, v4
	v_lshl_add_u32 v5, v5, 23, v62
	v_or3_b32 v3, v4, v5, v3
.LBB6_802:                              ;   in Loop: Header=BB6_126 Depth=2
	s_or_b64 exec, exec, s[88:89]
.LBB6_803:                              ;   in Loop: Header=BB6_126 Depth=2
	s_or_b64 exec, exec, s[78:79]
.LBB6_804:                              ;   in Loop: Header=BB6_126 Depth=2
	s_or_b64 exec, exec, s[20:21]
	v_cmp_ne_u16_sdwa s[78:79], v28, v61 src0_sel:BYTE_0 src1_sel:DWORD
	s_and_saveexec_b64 s[20:21], s[78:79]
	s_cbranch_execz .LBB6_810
; %bb.805:                              ;   in Loop: Header=BB6_126 Depth=2
	v_cmp_ne_u16_sdwa s[88:89], v28, s52 src0_sel:BYTE_0 src1_sel:DWORD
	v_bfrev_b32_e32 v2, 1
	s_and_saveexec_b64 s[78:79], s[88:89]
	s_cbranch_execz .LBB6_809
; %bb.806:                              ;   in Loop: Header=BB6_126 Depth=2
	v_and_b32_e32 v4, 0x7f, v28
	v_cmp_ne_u32_e32 vcc, s53, v4
	v_mov_b32_e32 v2, 0x7f800001
	s_and_saveexec_b64 s[88:89], vcc
	s_cbranch_execz .LBB6_808
; %bb.807:                              ;   in Loop: Header=BB6_126 Depth=2
	v_and_b32_e32 v2, 7, v28
	v_ffbh_u32_e32 v2, v2
	v_min_u32_e32 v2, 32, v2
	v_lshrrev_b32_e32 v5, 3, v4
	v_cmp_gt_u32_e32 vcc, 8, v4
	v_subrev_u32_e32 v4, 28, v2
	v_sub_u32_e32 v2, 29, v2
	v_cndmask_b32_e32 v4, 0, v4, vcc
	v_cndmask_b32_e32 v2, v5, v2, vcc
	v_lshlrev_b64 v[4:5], v4, v[28:29]
	v_lshlrev_b32_e32 v5, 24, v28
	v_lshlrev_b32_e32 v4, 20, v4
	v_and_b32_e32 v4, 0x700000, v4
	v_and_b32_e32 v5, 0x80000000, v5
	v_lshl_add_u32 v2, v2, 23, v62
	v_or3_b32 v2, v5, v2, v4
.LBB6_808:                              ;   in Loop: Header=BB6_126 Depth=2
	s_or_b64 exec, exec, s[88:89]
.LBB6_809:                              ;   in Loop: Header=BB6_126 Depth=2
	s_or_b64 exec, exec, s[78:79]
.LBB6_810:                              ;   in Loop: Header=BB6_126 Depth=2
	s_or_b64 exec, exec, s[20:21]
	v_add_f32_e32 v3, v3, v2
	v_and_b32_e32 v60, 0x7f800000, v3
	v_cmp_ne_u64_e32 vcc, s[56:57], v[60:61]
                                        ; implicit-def: $vgpr2
                                        ; kill: killed $vgpr2
	s_and_saveexec_b64 s[20:21], vcc
	s_xor_b64 s[78:79], exec, s[20:21]
	s_cbranch_execz .LBB6_824
; %bb.811:                              ;   in Loop: Header=BB6_126 Depth=2
	v_and_b32_e32 v60, 0x7fffffff, v3
	v_cmp_gt_u64_e32 vcc, s[58:59], v[60:61]
	v_and_b32_sdwa v2, v3, s52 dst_sel:DWORD dst_unused:UNUSED_PAD src0_sel:BYTE_3 src1_sel:DWORD
                                        ; implicit-def: $vgpr4
                                        ; kill: killed $vgpr4
	s_and_saveexec_b64 s[20:21], vcc
	s_xor_b64 s[88:89], exec, s[20:21]
	s_cbranch_execz .LBB6_821
; %bb.812:                              ;   in Loop: Header=BB6_126 Depth=2
	v_mov_b32_e32 v4, 0
	v_cmp_ne_u32_e32 vcc, 0, v3
	buffer_store_dword v4, off, s[0:3], s33 offset:196 ; 4-byte Folded Spill
	s_and_saveexec_b64 s[90:91], vcc
	s_cbranch_execz .LBB6_820
; %bb.813:                              ;   in Loop: Header=BB6_126 Depth=2
	v_and_b32_e32 v5, 0x7fffff, v3
	v_bfe_u32 v3, v3, 23, 8
	v_cmp_gt_u32_e64 s[20:21], s54, v3
	v_sub_u32_e32 v4, 0x79, v3
	v_cmp_eq_u32_e32 vcc, 0, v3
	v_cndmask_b32_e64 v4, 0, v4, s[20:21]
	v_mov_b32_e32 v7, 0x78
	v_or_b32_e32 v6, 0x800000, v5
	v_cndmask_b32_e32 v4, v4, v7, vcc
	v_cndmask_b32_e32 v60, v6, v5, vcc
	v_add_u32_e32 v5, 20, v4
	v_lshlrev_b64 v[5:6], v5, -1
	v_add_u32_e32 v7, 19, v4
	v_lshlrev_b64 v[7:8], v7, 1
	v_lshrrev_b64 v[26:27], v4, v[60:61]
	v_bfi_b32 v6, v6, 0, 0
	v_bfi_b32 v5, v5, 0, v60
	v_cmp_eq_u64_e64 s[20:21], v[5:6], v[7:8]
	v_mov_b32_e32 v31, v27
	v_mov_b32_e32 v30, v26
	s_and_saveexec_b64 s[92:93], s[20:21]
; %bb.814:                              ;   in Loop: Header=BB6_126 Depth=2
	v_bfe_u32 v5, v26, 20, 1
	v_add_co_u32_e64 v5, s[20:21], v26, v5
	v_add_co_u32_e64 v30, s[20:21], -1, v5
; %bb.815:                              ;   in Loop: Header=BB6_126 Depth=2
	s_or_b64 exec, exec, s[92:93]
	v_add_u32_e32 v3, 0xffffff81, v3
	v_mov_b32_e32 v5, 0xffffff82
	v_cndmask_b32_e32 v3, v3, v5, vcc
	v_lshrrev_b32_e32 v5, 23, v26
	v_add3_u32 v5, v4, v3, v5
	v_add_u32_e32 v4, 6, v5
	v_and_b32_e32 v3, 0xfffff, v30
	v_add_u32_e32 v60, v3, v26
	v_cmp_ne_u32_e32 vcc, 0, v4
                                        ; implicit-def: $vgpr26_vgpr27
                                        ; implicit-def: $vgpr3
	s_and_saveexec_b64 s[20:21], vcc
	s_xor_b64 s[20:21], exec, s[20:21]
; %bb.816:                              ;   in Loop: Header=BB6_126 Depth=2
	v_cmp_lt_u64_e32 vcc, s[60:61], v[60:61]
	v_add_u32_e32 v3, 7, v5
	v_cndmask_b32_e32 v3, v4, v3, vcc
	v_cndmask_b32_e64 v4, 0, 1, vcc
	v_lshrrev_b64 v[26:27], v4, v[60:61]
; %bb.817:                              ;   in Loop: Header=BB6_126 Depth=2
	s_andn2_saveexec_b64 s[20:21], s[20:21]
; %bb.818:                              ;   in Loop: Header=BB6_126 Depth=2
	v_mov_b32_e32 v26, v60
	v_bfe_u32 v3, v60, 23, 1
	v_mov_b32_e32 v27, v61
; %bb.819:                              ;   in Loop: Header=BB6_126 Depth=2
	s_or_b64 exec, exec, s[20:21]
	v_lshrrev_b64 v[4:5], 20, v[26:27]
	v_cmp_gt_i32_e32 vcc, 16, v3
	v_cndmask_b32_e32 v5, 0, v5, vcc
	v_cndmask_b32_e32 v4, 7, v4, vcc
	v_cmp_eq_u32_e32 vcc, 0, v3
	v_min_i32_e32 v3, 15, v3
	v_cmp_eq_u64_e64 s[20:21], 0, v[4:5]
	v_lshlrev_b32_e32 v3, 3, v3
	v_and_b32_e32 v3, 0xf8, v3
	v_and_or_b32 v3, v4, 7, v3
	s_and_b64 s[20:21], vcc, s[20:21]
	v_cndmask_b32_e64 v3, v3, 0, s[20:21]
	v_or_b32_e32 v2, v3, v2
	buffer_store_dword v2, off, s[0:3], s33 offset:196 ; 4-byte Folded Spill
.LBB6_820:                              ;   in Loop: Header=BB6_126 Depth=2
	s_or_b64 exec, exec, s[90:91]
                                        ; implicit-def: $vgpr2
.LBB6_821:                              ;   in Loop: Header=BB6_126 Depth=2
	s_andn2_saveexec_b64 s[20:21], s[88:89]
	s_cbranch_execz .LBB6_823
; %bb.822:                              ;   in Loop: Header=BB6_126 Depth=2
	v_or_b32_e32 v2, 0x7e, v2
	buffer_store_dword v2, off, s[0:3], s33 offset:196 ; 4-byte Folded Spill
.LBB6_823:                              ;   in Loop: Header=BB6_126 Depth=2
	s_or_b64 exec, exec, s[20:21]
                                        ; implicit-def: $vgpr3
.LBB6_824:                              ;   in Loop: Header=BB6_126 Depth=2
	s_andn2_saveexec_b64 s[20:21], s[78:79]
	s_cbranch_execz .LBB6_826
; %bb.825:                              ;   in Loop: Header=BB6_126 Depth=2
	v_or_b32_sdwa v2, v3, s53 dst_sel:DWORD dst_unused:UNUSED_PAD src0_sel:BYTE_3 src1_sel:DWORD
	buffer_store_dword v2, off, s[0:3], s33 offset:196 ; 4-byte Folded Spill
.LBB6_826:                              ;   in Loop: Header=BB6_126 Depth=2
	s_or_b64 exec, exec, s[20:21]
	v_lshrrev_b16_e32 v26, 8, v34
	v_cmp_ne_u16_e32 vcc, 0, v26
	v_mov_b32_e32 v2, 0
	v_mov_b32_e32 v3, 0
	s_and_saveexec_b64 s[20:21], vcc
	s_cbranch_execz .LBB6_832
; %bb.827:                              ;   in Loop: Header=BB6_126 Depth=2
	v_cmp_ne_u16_e32 vcc, s52, v26
	v_bfrev_b32_e32 v3, 1
	s_and_saveexec_b64 s[78:79], vcc
	s_cbranch_execz .LBB6_831
; %bb.828:                              ;   in Loop: Header=BB6_126 Depth=2
	v_and_b32_e32 v4, 0x7f, v26
	v_cmp_ne_u32_e32 vcc, s53, v4
	v_mov_b32_e32 v3, 0x7f800001
	s_and_saveexec_b64 s[88:89], vcc
	s_cbranch_execz .LBB6_830
; %bb.829:                              ;   in Loop: Header=BB6_126 Depth=2
	v_and_b32_e32 v5, 7, v26
	v_ffbh_u32_e32 v3, v5
	v_min_u32_e32 v7, 32, v3
	v_subrev_u32_e32 v3, 28, v7
	v_lshrrev_b32_e32 v6, 3, v4
	v_cmp_gt_u32_e32 vcc, 8, v4
	v_lshlrev_b64 v[3:4], v3, v[26:27]
	v_sub_u32_e32 v4, 29, v7
	v_and_b32_e32 v3, 7, v3
	v_cndmask_b32_e32 v4, v6, v4, vcc
	v_cndmask_b32_e32 v3, v5, v3, vcc
	v_lshlrev_b32_e32 v5, 16, v34
	v_lshlrev_b32_e32 v3, 20, v3
	v_and_b32_e32 v5, 0x80000000, v5
	v_lshl_add_u32 v4, v4, 23, v62
	v_or3_b32 v3, v5, v4, v3
.LBB6_830:                              ;   in Loop: Header=BB6_126 Depth=2
	s_or_b64 exec, exec, s[88:89]
.LBB6_831:                              ;   in Loop: Header=BB6_126 Depth=2
	s_or_b64 exec, exec, s[78:79]
.LBB6_832:                              ;   in Loop: Header=BB6_126 Depth=2
	s_or_b64 exec, exec, s[20:21]
	v_lshrrev_b16_e32 v26, 8, v28
	v_cmp_ne_u16_e32 vcc, 0, v26
	s_and_saveexec_b64 s[20:21], vcc
	s_cbranch_execz .LBB6_838
; %bb.833:                              ;   in Loop: Header=BB6_126 Depth=2
	v_cmp_ne_u16_e32 vcc, s52, v26
	v_bfrev_b32_e32 v2, 1
	s_and_saveexec_b64 s[78:79], vcc
	s_cbranch_execz .LBB6_837
; %bb.834:                              ;   in Loop: Header=BB6_126 Depth=2
	v_and_b32_e32 v4, 0x7f, v26
	v_cmp_ne_u32_e32 vcc, s53, v4
	v_mov_b32_e32 v2, 0x7f800001
	s_and_saveexec_b64 s[88:89], vcc
	s_cbranch_execz .LBB6_836
; %bb.835:                              ;   in Loop: Header=BB6_126 Depth=2
	v_and_b32_e32 v2, 7, v26
	v_lshrrev_b32_e32 v6, 3, v4
	v_cmp_gt_u32_e32 vcc, 8, v4
	v_ffbh_u32_e32 v4, v2
	v_min_u32_e32 v7, 32, v4
	v_subrev_u32_e32 v4, 28, v7
	v_lshlrev_b64 v[4:5], v4, v[26:27]
	v_sub_u32_e32 v5, 29, v7
	v_and_b32_e32 v4, 7, v4
	v_cndmask_b32_e32 v5, v6, v5, vcc
	v_cndmask_b32_e32 v2, v2, v4, vcc
	v_lshlrev_b32_e32 v4, 16, v28
	v_lshlrev_b32_e32 v2, 20, v2
	v_and_b32_e32 v4, 0x80000000, v4
	v_lshl_add_u32 v5, v5, 23, v62
	v_or3_b32 v2, v4, v5, v2
.LBB6_836:                              ;   in Loop: Header=BB6_126 Depth=2
	s_or_b64 exec, exec, s[88:89]
.LBB6_837:                              ;   in Loop: Header=BB6_126 Depth=2
	s_or_b64 exec, exec, s[78:79]
.LBB6_838:                              ;   in Loop: Header=BB6_126 Depth=2
	s_or_b64 exec, exec, s[20:21]
	v_add_f32_e32 v3, v3, v2
	v_and_b32_e32 v60, 0x7f800000, v3
	v_cmp_ne_u64_e32 vcc, s[56:57], v[60:61]
                                        ; implicit-def: $vgpr37
	s_and_saveexec_b64 s[20:21], vcc
	s_xor_b64 s[78:79], exec, s[20:21]
	s_cbranch_execz .LBB6_852
; %bb.839:                              ;   in Loop: Header=BB6_126 Depth=2
	v_and_b32_e32 v60, 0x7fffffff, v3
	v_cmp_gt_u64_e32 vcc, s[58:59], v[60:61]
	v_and_b32_sdwa v2, v3, s52 dst_sel:DWORD dst_unused:UNUSED_PAD src0_sel:BYTE_3 src1_sel:DWORD
                                        ; implicit-def: $vgpr37
	s_and_saveexec_b64 s[20:21], vcc
	s_xor_b64 s[88:89], exec, s[20:21]
	s_cbranch_execz .LBB6_849
; %bb.840:                              ;   in Loop: Header=BB6_126 Depth=2
	v_mov_b32_e32 v37, 0
	v_cmp_ne_u32_e32 vcc, 0, v3
	s_and_saveexec_b64 s[90:91], vcc
	s_cbranch_execz .LBB6_848
; %bb.841:                              ;   in Loop: Header=BB6_126 Depth=2
	v_and_b32_e32 v5, 0x7fffff, v3
	v_bfe_u32 v3, v3, 23, 8
	v_cmp_gt_u32_e64 s[20:21], s54, v3
	v_sub_u32_e32 v4, 0x79, v3
	v_cmp_eq_u32_e32 vcc, 0, v3
	v_cndmask_b32_e64 v4, 0, v4, s[20:21]
	v_mov_b32_e32 v7, 0x78
	v_or_b32_e32 v6, 0x800000, v5
	v_cndmask_b32_e32 v4, v4, v7, vcc
	v_cndmask_b32_e32 v60, v6, v5, vcc
	v_add_u32_e32 v5, 20, v4
	v_lshlrev_b64 v[5:6], v5, -1
	v_add_u32_e32 v7, 19, v4
	v_lshlrev_b64 v[7:8], v7, 1
	v_lshrrev_b64 v[26:27], v4, v[60:61]
	v_bfi_b32 v6, v6, 0, 0
	v_bfi_b32 v5, v5, 0, v60
	v_cmp_eq_u64_e64 s[20:21], v[5:6], v[7:8]
	v_mov_b32_e32 v31, v27
	v_mov_b32_e32 v30, v26
	s_and_saveexec_b64 s[92:93], s[20:21]
; %bb.842:                              ;   in Loop: Header=BB6_126 Depth=2
	v_bfe_u32 v5, v26, 20, 1
	v_add_co_u32_e64 v5, s[20:21], v26, v5
	v_add_co_u32_e64 v30, s[20:21], -1, v5
; %bb.843:                              ;   in Loop: Header=BB6_126 Depth=2
	s_or_b64 exec, exec, s[92:93]
	v_add_u32_e32 v3, 0xffffff81, v3
	v_mov_b32_e32 v5, 0xffffff82
	v_cndmask_b32_e32 v3, v3, v5, vcc
	v_lshrrev_b32_e32 v5, 23, v26
	v_add3_u32 v5, v4, v3, v5
	v_add_u32_e32 v4, 6, v5
	v_and_b32_e32 v3, 0xfffff, v30
	v_add_u32_e32 v60, v3, v26
	v_cmp_ne_u32_e32 vcc, 0, v4
                                        ; implicit-def: $vgpr26_vgpr27
                                        ; implicit-def: $vgpr3
	s_and_saveexec_b64 s[20:21], vcc
	s_xor_b64 s[20:21], exec, s[20:21]
; %bb.844:                              ;   in Loop: Header=BB6_126 Depth=2
	v_cmp_lt_u64_e32 vcc, s[60:61], v[60:61]
	v_add_u32_e32 v3, 7, v5
	v_cndmask_b32_e32 v3, v4, v3, vcc
	v_cndmask_b32_e64 v4, 0, 1, vcc
	v_lshrrev_b64 v[26:27], v4, v[60:61]
; %bb.845:                              ;   in Loop: Header=BB6_126 Depth=2
	s_andn2_saveexec_b64 s[20:21], s[20:21]
; %bb.846:                              ;   in Loop: Header=BB6_126 Depth=2
	v_mov_b32_e32 v26, v60
	v_bfe_u32 v3, v60, 23, 1
	v_mov_b32_e32 v27, v61
; %bb.847:                              ;   in Loop: Header=BB6_126 Depth=2
	s_or_b64 exec, exec, s[20:21]
	v_lshrrev_b64 v[4:5], 20, v[26:27]
	v_cmp_gt_i32_e32 vcc, 16, v3
	v_cndmask_b32_e32 v5, 0, v5, vcc
	v_cndmask_b32_e32 v4, 7, v4, vcc
	v_cmp_eq_u32_e32 vcc, 0, v3
	v_min_i32_e32 v3, 15, v3
	v_cmp_eq_u64_e64 s[20:21], 0, v[4:5]
	v_lshlrev_b32_e32 v3, 3, v3
	v_and_b32_e32 v3, 0xf8, v3
	v_and_or_b32 v3, v4, 7, v3
	s_and_b64 s[20:21], vcc, s[20:21]
	v_cndmask_b32_e64 v3, v3, 0, s[20:21]
	v_or_b32_e32 v37, v3, v2
.LBB6_848:                              ;   in Loop: Header=BB6_126 Depth=2
	s_or_b64 exec, exec, s[90:91]
                                        ; implicit-def: $vgpr2
.LBB6_849:                              ;   in Loop: Header=BB6_126 Depth=2
	s_andn2_saveexec_b64 s[20:21], s[88:89]
; %bb.850:                              ;   in Loop: Header=BB6_126 Depth=2
	v_or_b32_e32 v37, 0x7e, v2
; %bb.851:                              ;   in Loop: Header=BB6_126 Depth=2
	s_or_b64 exec, exec, s[20:21]
                                        ; implicit-def: $vgpr3
.LBB6_852:                              ;   in Loop: Header=BB6_126 Depth=2
	s_andn2_saveexec_b64 s[20:21], s[78:79]
; %bb.853:                              ;   in Loop: Header=BB6_126 Depth=2
	v_or_b32_sdwa v37, v3, s53 dst_sel:DWORD dst_unused:UNUSED_PAD src0_sel:BYTE_3 src1_sel:DWORD
; %bb.854:                              ;   in Loop: Header=BB6_126 Depth=2
	s_or_b64 exec, exec, s[20:21]
	v_lshrrev_b32_e32 v26, 16, v34
	v_cmp_ne_u16_sdwa s[78:79], v26, v61 src0_sel:BYTE_0 src1_sel:DWORD
	v_mov_b32_e32 v2, 0
	v_mov_b32_e32 v3, 0
	s_and_saveexec_b64 s[20:21], s[78:79]
	s_cbranch_execz .LBB6_860
; %bb.855:                              ;   in Loop: Header=BB6_126 Depth=2
	v_cmp_ne_u16_sdwa s[88:89], v26, s52 src0_sel:BYTE_0 src1_sel:DWORD
	v_bfrev_b32_e32 v3, 1
	s_and_saveexec_b64 s[78:79], s[88:89]
	s_cbranch_execz .LBB6_859
; %bb.856:                              ;   in Loop: Header=BB6_126 Depth=2
	v_bfe_u32 v4, v34, 16, 7
	v_cmp_ne_u32_e32 vcc, s53, v4
	v_mov_b32_e32 v3, 0x7f800001
	s_and_saveexec_b64 s[88:89], vcc
	s_cbranch_execz .LBB6_858
; %bb.857:                              ;   in Loop: Header=BB6_126 Depth=2
	v_and_b32_e32 v5, 7, v26
	v_ffbh_u32_e32 v3, v5
	v_min_u32_e32 v7, 32, v3
	v_subrev_u32_e32 v3, 28, v7
	v_lshrrev_b32_e32 v6, 3, v4
	v_cmp_gt_u32_e32 vcc, 8, v4
	v_lshlrev_b64 v[3:4], v3, v[26:27]
	v_sub_u32_e32 v4, 29, v7
	v_and_b32_e32 v3, 7, v3
	v_cndmask_b32_e32 v4, v6, v4, vcc
	v_cndmask_b32_e32 v3, v5, v3, vcc
	v_lshlrev_b32_e32 v5, 24, v26
	v_lshlrev_b32_e32 v3, 20, v3
	v_and_b32_e32 v5, 0x80000000, v5
	v_lshl_add_u32 v4, v4, 23, v62
	v_or3_b32 v3, v5, v4, v3
.LBB6_858:                              ;   in Loop: Header=BB6_126 Depth=2
	s_or_b64 exec, exec, s[88:89]
.LBB6_859:                              ;   in Loop: Header=BB6_126 Depth=2
	s_or_b64 exec, exec, s[78:79]
.LBB6_860:                              ;   in Loop: Header=BB6_126 Depth=2
	s_or_b64 exec, exec, s[20:21]
	v_lshrrev_b32_e32 v26, 16, v28
	v_cmp_ne_u16_sdwa s[78:79], v26, v61 src0_sel:BYTE_0 src1_sel:DWORD
	s_and_saveexec_b64 s[20:21], s[78:79]
	s_cbranch_execz .LBB6_866
; %bb.861:                              ;   in Loop: Header=BB6_126 Depth=2
	v_cmp_ne_u16_sdwa s[88:89], v26, s52 src0_sel:BYTE_0 src1_sel:DWORD
	v_bfrev_b32_e32 v2, 1
	s_and_saveexec_b64 s[78:79], s[88:89]
	s_cbranch_execz .LBB6_865
; %bb.862:                              ;   in Loop: Header=BB6_126 Depth=2
	v_bfe_u32 v4, v28, 16, 7
	v_cmp_ne_u32_e32 vcc, s53, v4
	v_mov_b32_e32 v2, 0x7f800001
	s_and_saveexec_b64 s[88:89], vcc
	s_cbranch_execz .LBB6_864
; %bb.863:                              ;   in Loop: Header=BB6_126 Depth=2
	v_and_b32_e32 v2, 7, v26
	v_lshrrev_b32_e32 v6, 3, v4
	v_cmp_gt_u32_e32 vcc, 8, v4
	v_ffbh_u32_e32 v4, v2
	v_min_u32_e32 v7, 32, v4
	v_subrev_u32_e32 v4, 28, v7
	v_lshlrev_b64 v[4:5], v4, v[26:27]
	v_sub_u32_e32 v5, 29, v7
	v_and_b32_e32 v4, 7, v4
	v_cndmask_b32_e32 v5, v6, v5, vcc
	v_cndmask_b32_e32 v2, v2, v4, vcc
	v_lshlrev_b32_e32 v4, 8, v28
	v_lshlrev_b32_e32 v2, 20, v2
	v_and_b32_e32 v4, 0x80000000, v4
	v_lshl_add_u32 v5, v5, 23, v62
	v_or3_b32 v2, v4, v5, v2
.LBB6_864:                              ;   in Loop: Header=BB6_126 Depth=2
	s_or_b64 exec, exec, s[88:89]
.LBB6_865:                              ;   in Loop: Header=BB6_126 Depth=2
	s_or_b64 exec, exec, s[78:79]
.LBB6_866:                              ;   in Loop: Header=BB6_126 Depth=2
	s_or_b64 exec, exec, s[20:21]
	v_add_f32_e32 v3, v3, v2
	v_and_b32_e32 v60, 0x7f800000, v3
	v_cmp_ne_u64_e32 vcc, s[56:57], v[60:61]
                                        ; implicit-def: $vgpr4
	s_and_saveexec_b64 s[20:21], vcc
	s_xor_b64 s[78:79], exec, s[20:21]
	s_cbranch_execz .LBB6_880
; %bb.867:                              ;   in Loop: Header=BB6_126 Depth=2
	v_and_b32_e32 v60, 0x7fffffff, v3
	v_cmp_gt_u64_e32 vcc, s[58:59], v[60:61]
	v_and_b32_sdwa v2, v3, s52 dst_sel:DWORD dst_unused:UNUSED_PAD src0_sel:BYTE_3 src1_sel:DWORD
                                        ; implicit-def: $vgpr4
	s_and_saveexec_b64 s[20:21], vcc
	s_xor_b64 s[88:89], exec, s[20:21]
	s_cbranch_execz .LBB6_877
; %bb.868:                              ;   in Loop: Header=BB6_126 Depth=2
	v_mov_b32_e32 v4, 0
	v_cmp_ne_u32_e32 vcc, 0, v3
	s_and_saveexec_b64 s[90:91], vcc
	s_cbranch_execz .LBB6_876
; %bb.869:                              ;   in Loop: Header=BB6_126 Depth=2
	v_and_b32_e32 v5, 0x7fffff, v3
	v_bfe_u32 v3, v3, 23, 8
	v_cmp_gt_u32_e64 s[20:21], s54, v3
	v_sub_u32_e32 v4, 0x79, v3
	v_cmp_eq_u32_e32 vcc, 0, v3
	v_cndmask_b32_e64 v4, 0, v4, s[20:21]
	v_mov_b32_e32 v7, 0x78
	v_or_b32_e32 v6, 0x800000, v5
	v_cndmask_b32_e32 v4, v4, v7, vcc
	v_cndmask_b32_e32 v60, v6, v5, vcc
	v_add_u32_e32 v5, 20, v4
	v_lshlrev_b64 v[5:6], v5, -1
	v_add_u32_e32 v7, 19, v4
	v_lshlrev_b64 v[7:8], v7, 1
	v_lshrrev_b64 v[26:27], v4, v[60:61]
	v_bfi_b32 v6, v6, 0, 0
	v_bfi_b32 v5, v5, 0, v60
	v_cmp_eq_u64_e64 s[20:21], v[5:6], v[7:8]
	v_mov_b32_e32 v31, v27
	v_mov_b32_e32 v30, v26
	s_and_saveexec_b64 s[92:93], s[20:21]
; %bb.870:                              ;   in Loop: Header=BB6_126 Depth=2
	v_bfe_u32 v5, v26, 20, 1
	v_add_co_u32_e64 v5, s[20:21], v26, v5
	v_add_co_u32_e64 v30, s[20:21], -1, v5
; %bb.871:                              ;   in Loop: Header=BB6_126 Depth=2
	s_or_b64 exec, exec, s[92:93]
	v_add_u32_e32 v3, 0xffffff81, v3
	v_mov_b32_e32 v5, 0xffffff82
	v_cndmask_b32_e32 v3, v3, v5, vcc
	v_lshrrev_b32_e32 v5, 23, v26
	v_add3_u32 v5, v4, v3, v5
	v_add_u32_e32 v4, 6, v5
	v_and_b32_e32 v3, 0xfffff, v30
	v_add_u32_e32 v60, v3, v26
	v_cmp_ne_u32_e32 vcc, 0, v4
                                        ; implicit-def: $vgpr26_vgpr27
                                        ; implicit-def: $vgpr3
	s_and_saveexec_b64 s[20:21], vcc
	s_xor_b64 s[20:21], exec, s[20:21]
; %bb.872:                              ;   in Loop: Header=BB6_126 Depth=2
	v_cmp_lt_u64_e32 vcc, s[60:61], v[60:61]
	v_add_u32_e32 v3, 7, v5
	v_cndmask_b32_e32 v3, v4, v3, vcc
	v_cndmask_b32_e64 v4, 0, 1, vcc
	v_lshrrev_b64 v[26:27], v4, v[60:61]
; %bb.873:                              ;   in Loop: Header=BB6_126 Depth=2
	s_andn2_saveexec_b64 s[20:21], s[20:21]
; %bb.874:                              ;   in Loop: Header=BB6_126 Depth=2
	v_mov_b32_e32 v26, v60
	v_bfe_u32 v3, v60, 23, 1
	v_mov_b32_e32 v27, v61
; %bb.875:                              ;   in Loop: Header=BB6_126 Depth=2
	s_or_b64 exec, exec, s[20:21]
	v_lshrrev_b64 v[4:5], 20, v[26:27]
	v_cmp_gt_i32_e32 vcc, 16, v3
	v_cndmask_b32_e32 v5, 0, v5, vcc
	v_cndmask_b32_e32 v4, 7, v4, vcc
	v_cmp_eq_u32_e32 vcc, 0, v3
	v_min_i32_e32 v3, 15, v3
	v_cmp_eq_u64_e64 s[20:21], 0, v[4:5]
	v_lshlrev_b32_e32 v3, 3, v3
	v_and_b32_e32 v3, 0xf8, v3
	v_and_or_b32 v3, v4, 7, v3
	s_and_b64 s[20:21], vcc, s[20:21]
	v_cndmask_b32_e64 v3, v3, 0, s[20:21]
	v_or_b32_e32 v4, v3, v2
.LBB6_876:                              ;   in Loop: Header=BB6_126 Depth=2
	s_or_b64 exec, exec, s[90:91]
                                        ; implicit-def: $vgpr2
.LBB6_877:                              ;   in Loop: Header=BB6_126 Depth=2
	s_andn2_saveexec_b64 s[20:21], s[88:89]
; %bb.878:                              ;   in Loop: Header=BB6_126 Depth=2
	v_or_b32_e32 v4, 0x7e, v2
; %bb.879:                              ;   in Loop: Header=BB6_126 Depth=2
	s_or_b64 exec, exec, s[20:21]
                                        ; implicit-def: $vgpr3
.LBB6_880:                              ;   in Loop: Header=BB6_126 Depth=2
	s_andn2_saveexec_b64 s[20:21], s[78:79]
; %bb.881:                              ;   in Loop: Header=BB6_126 Depth=2
	v_or_b32_sdwa v4, v3, s53 dst_sel:DWORD dst_unused:UNUSED_PAD src0_sel:BYTE_3 src1_sel:DWORD
; %bb.882:                              ;   in Loop: Header=BB6_126 Depth=2
	s_or_b64 exec, exec, s[20:21]
	v_cmp_lt_u32_e32 vcc, s63, v34
	v_mov_b32_e32 v2, 0
	v_mov_b32_e32 v3, 0
	s_and_saveexec_b64 s[20:21], vcc
	s_cbranch_execz .LBB6_888
; %bb.883:                              ;   in Loop: Header=BB6_126 Depth=2
	v_lshrrev_b32_e32 v26, 24, v34
	v_cmp_ne_u32_e32 vcc, s52, v26
	v_bfrev_b32_e32 v3, 1
	s_and_saveexec_b64 s[78:79], vcc
	s_cbranch_execz .LBB6_887
; %bb.884:                              ;   in Loop: Header=BB6_126 Depth=2
	v_bfe_u32 v5, v34, 24, 7
	v_cmp_ne_u32_e32 vcc, s53, v5
	v_mov_b32_e32 v3, 0x7f800001
	s_and_saveexec_b64 s[88:89], vcc
	s_cbranch_execz .LBB6_886
; %bb.885:                              ;   in Loop: Header=BB6_126 Depth=2
	v_and_b32_e32 v3, 7, v26
	v_lshrrev_b32_e32 v7, 3, v5
	v_cmp_gt_u32_e32 vcc, 8, v5
	v_ffbh_u32_e32 v5, v3
	v_min_u32_e32 v8, 32, v5
	v_subrev_u32_e32 v5, 28, v8
	v_lshlrev_b64 v[5:6], v5, v[26:27]
	v_sub_u32_e32 v6, 29, v8
	v_and_b32_e32 v5, 7, v5
	v_cndmask_b32_e32 v6, v7, v6, vcc
	v_cndmask_b32_e32 v3, v3, v5, vcc
	v_lshlrev_b32_e32 v5, 24, v26
	v_lshlrev_b32_e32 v3, 20, v3
	v_and_b32_e32 v5, 0x80000000, v5
	v_lshl_add_u32 v6, v6, 23, v62
	v_or3_b32 v3, v5, v6, v3
.LBB6_886:                              ;   in Loop: Header=BB6_126 Depth=2
	s_or_b64 exec, exec, s[88:89]
.LBB6_887:                              ;   in Loop: Header=BB6_126 Depth=2
	s_or_b64 exec, exec, s[78:79]
.LBB6_888:                              ;   in Loop: Header=BB6_126 Depth=2
	s_or_b64 exec, exec, s[20:21]
	v_cmp_lt_u32_e32 vcc, s63, v28
	s_and_saveexec_b64 s[20:21], vcc
	s_cbranch_execz .LBB6_894
; %bb.889:                              ;   in Loop: Header=BB6_126 Depth=2
	v_lshrrev_b32_e32 v26, 24, v28
	v_cmp_ne_u32_e32 vcc, s52, v26
	v_bfrev_b32_e32 v2, 1
	s_and_saveexec_b64 s[78:79], vcc
	s_cbranch_execz .LBB6_893
; %bb.890:                              ;   in Loop: Header=BB6_126 Depth=2
	v_bfe_u32 v5, v28, 24, 7
	v_cmp_ne_u32_e32 vcc, s53, v5
	v_mov_b32_e32 v2, 0x7f800001
	s_and_saveexec_b64 s[88:89], vcc
	s_cbranch_execz .LBB6_892
; %bb.891:                              ;   in Loop: Header=BB6_126 Depth=2
	v_and_b32_e32 v2, 7, v26
	v_lshrrev_b32_e32 v7, 3, v5
	v_cmp_gt_u32_e32 vcc, 8, v5
	v_ffbh_u32_e32 v5, v2
	v_min_u32_e32 v8, 32, v5
	v_subrev_u32_e32 v5, 28, v8
	v_lshlrev_b64 v[5:6], v5, v[26:27]
	v_sub_u32_e32 v6, 29, v8
	v_and_b32_e32 v5, 7, v5
	v_cndmask_b32_e32 v6, v7, v6, vcc
	v_cndmask_b32_e32 v2, v2, v5, vcc
	v_lshlrev_b32_e32 v5, 24, v26
	v_lshlrev_b32_e32 v2, 20, v2
	v_and_b32_e32 v5, 0x80000000, v5
	v_lshl_add_u32 v6, v6, 23, v62
	v_or3_b32 v2, v5, v6, v2
.LBB6_892:                              ;   in Loop: Header=BB6_126 Depth=2
	s_or_b64 exec, exec, s[88:89]
.LBB6_893:                              ;   in Loop: Header=BB6_126 Depth=2
	s_or_b64 exec, exec, s[78:79]
.LBB6_894:                              ;   in Loop: Header=BB6_126 Depth=2
	s_or_b64 exec, exec, s[20:21]
	v_add_f32_e32 v3, v3, v2
	v_and_b32_e32 v60, 0x7f800000, v3
	v_cmp_ne_u64_e32 vcc, s[56:57], v[60:61]
                                        ; implicit-def: $vgpr5
	s_and_saveexec_b64 s[20:21], vcc
	s_xor_b64 s[78:79], exec, s[20:21]
	s_cbranch_execz .LBB6_908
; %bb.895:                              ;   in Loop: Header=BB6_126 Depth=2
	v_and_b32_e32 v60, 0x7fffffff, v3
	v_cmp_gt_u64_e32 vcc, s[58:59], v[60:61]
	v_and_b32_sdwa v2, v3, s52 dst_sel:DWORD dst_unused:UNUSED_PAD src0_sel:BYTE_3 src1_sel:DWORD
                                        ; implicit-def: $vgpr5
	s_and_saveexec_b64 s[20:21], vcc
	s_xor_b64 s[88:89], exec, s[20:21]
	s_cbranch_execz .LBB6_905
; %bb.896:                              ;   in Loop: Header=BB6_126 Depth=2
	v_mov_b32_e32 v5, 0
	v_cmp_ne_u32_e32 vcc, 0, v3
	s_and_saveexec_b64 s[90:91], vcc
	s_cbranch_execz .LBB6_904
; %bb.897:                              ;   in Loop: Header=BB6_126 Depth=2
	v_and_b32_e32 v6, 0x7fffff, v3
	v_bfe_u32 v3, v3, 23, 8
	v_cmp_gt_u32_e64 s[20:21], s54, v3
	v_sub_u32_e32 v5, 0x79, v3
	v_cmp_eq_u32_e32 vcc, 0, v3
	v_cndmask_b32_e64 v5, 0, v5, s[20:21]
	v_mov_b32_e32 v8, 0x78
	v_or_b32_e32 v7, 0x800000, v6
	v_cndmask_b32_e32 v5, v5, v8, vcc
	v_cndmask_b32_e32 v60, v7, v6, vcc
	v_add_u32_e32 v6, 20, v5
	v_lshlrev_b64 v[6:7], v6, -1
	v_add_u32_e32 v8, 19, v5
	v_lshlrev_b64 v[8:9], v8, 1
	v_lshrrev_b64 v[26:27], v5, v[60:61]
	v_bfi_b32 v7, v7, 0, 0
	v_bfi_b32 v6, v6, 0, v60
	v_cmp_eq_u64_e64 s[20:21], v[6:7], v[8:9]
	v_mov_b32_e32 v31, v27
	v_mov_b32_e32 v30, v26
	s_and_saveexec_b64 s[92:93], s[20:21]
; %bb.898:                              ;   in Loop: Header=BB6_126 Depth=2
	v_bfe_u32 v6, v26, 20, 1
	v_add_co_u32_e64 v6, s[20:21], v26, v6
	v_add_co_u32_e64 v30, s[20:21], -1, v6
; %bb.899:                              ;   in Loop: Header=BB6_126 Depth=2
	s_or_b64 exec, exec, s[92:93]
	v_add_u32_e32 v3, 0xffffff81, v3
	v_mov_b32_e32 v6, 0xffffff82
	v_cndmask_b32_e32 v3, v3, v6, vcc
	v_lshrrev_b32_e32 v6, 23, v26
	v_add3_u32 v6, v5, v3, v6
	v_add_u32_e32 v5, 6, v6
	v_and_b32_e32 v3, 0xfffff, v30
	v_add_u32_e32 v60, v3, v26
	v_cmp_ne_u32_e32 vcc, 0, v5
                                        ; implicit-def: $vgpr26_vgpr27
                                        ; implicit-def: $vgpr3
	s_and_saveexec_b64 s[20:21], vcc
	s_xor_b64 s[20:21], exec, s[20:21]
; %bb.900:                              ;   in Loop: Header=BB6_126 Depth=2
	v_cmp_lt_u64_e32 vcc, s[60:61], v[60:61]
	v_add_u32_e32 v3, 7, v6
	v_cndmask_b32_e32 v3, v5, v3, vcc
	v_cndmask_b32_e64 v5, 0, 1, vcc
	v_lshrrev_b64 v[26:27], v5, v[60:61]
; %bb.901:                              ;   in Loop: Header=BB6_126 Depth=2
	s_andn2_saveexec_b64 s[20:21], s[20:21]
; %bb.902:                              ;   in Loop: Header=BB6_126 Depth=2
	v_mov_b32_e32 v26, v60
	v_bfe_u32 v3, v60, 23, 1
	v_mov_b32_e32 v27, v61
; %bb.903:                              ;   in Loop: Header=BB6_126 Depth=2
	s_or_b64 exec, exec, s[20:21]
	v_lshrrev_b64 v[5:6], 20, v[26:27]
	v_cmp_gt_i32_e32 vcc, 16, v3
	v_cndmask_b32_e32 v6, 0, v6, vcc
	v_cndmask_b32_e32 v5, 7, v5, vcc
	v_cmp_eq_u32_e32 vcc, 0, v3
	v_min_i32_e32 v3, 15, v3
	v_cmp_eq_u64_e64 s[20:21], 0, v[5:6]
	v_lshlrev_b32_e32 v3, 3, v3
	v_and_b32_e32 v3, 0xf8, v3
	v_and_or_b32 v3, v5, 7, v3
	s_and_b64 s[20:21], vcc, s[20:21]
	v_cndmask_b32_e64 v3, v3, 0, s[20:21]
	v_or_b32_e32 v5, v3, v2
.LBB6_904:                              ;   in Loop: Header=BB6_126 Depth=2
	s_or_b64 exec, exec, s[90:91]
                                        ; implicit-def: $vgpr2
.LBB6_905:                              ;   in Loop: Header=BB6_126 Depth=2
	s_andn2_saveexec_b64 s[20:21], s[88:89]
; %bb.906:                              ;   in Loop: Header=BB6_126 Depth=2
	v_or_b32_e32 v5, 0x7e, v2
; %bb.907:                              ;   in Loop: Header=BB6_126 Depth=2
	s_or_b64 exec, exec, s[20:21]
                                        ; implicit-def: $vgpr3
.LBB6_908:                              ;   in Loop: Header=BB6_126 Depth=2
	s_andn2_saveexec_b64 s[20:21], s[78:79]
; %bb.909:                              ;   in Loop: Header=BB6_126 Depth=2
	v_or_b32_sdwa v5, v3, s53 dst_sel:DWORD dst_unused:UNUSED_PAD src0_sel:BYTE_3 src1_sel:DWORD
; %bb.910:                              ;   in Loop: Header=BB6_126 Depth=2
	s_or_b64 exec, exec, s[20:21]
	v_mov_b32_e32 v60, v35
	v_cmp_ne_u16_sdwa s[78:79], v35, v61 src0_sel:BYTE_0 src1_sel:DWORD
	v_mov_b32_e32 v3, 0
	v_mov_b32_e32 v2, 0
	s_and_saveexec_b64 s[20:21], s[78:79]
	s_cbranch_execz .LBB6_916
; %bb.911:                              ;   in Loop: Header=BB6_126 Depth=2
	v_cmp_ne_u16_sdwa s[88:89], v35, s52 src0_sel:BYTE_0 src1_sel:DWORD
	v_bfrev_b32_e32 v2, 1
	s_and_saveexec_b64 s[78:79], s[88:89]
	s_cbranch_execz .LBB6_915
; %bb.912:                              ;   in Loop: Header=BB6_126 Depth=2
	v_and_b32_e32 v6, 0x7f, v35
	v_cmp_ne_u32_e32 vcc, s53, v6
	v_mov_b32_e32 v2, 0x7f800001
	s_and_saveexec_b64 s[88:89], vcc
	s_cbranch_execz .LBB6_914
; %bb.913:                              ;   in Loop: Header=BB6_126 Depth=2
	v_and_b32_e32 v2, 7, v35
	v_ffbh_u32_e32 v2, v2
	v_min_u32_e32 v2, 32, v2
	v_lshrrev_b32_e32 v7, 3, v6
	v_cmp_gt_u32_e32 vcc, 8, v6
	v_subrev_u32_e32 v6, 28, v2
	v_sub_u32_e32 v2, 29, v2
	v_cndmask_b32_e32 v6, 0, v6, vcc
	v_cndmask_b32_e32 v2, v7, v2, vcc
	v_lshlrev_b64 v[6:7], v6, v[60:61]
	v_lshlrev_b32_e32 v7, 24, v60
	v_lshlrev_b32_e32 v6, 20, v6
	v_and_b32_e32 v6, 0x700000, v6
	v_and_b32_e32 v7, 0x80000000, v7
	v_lshl_add_u32 v2, v2, 23, v62
	v_or3_b32 v2, v7, v2, v6
.LBB6_914:                              ;   in Loop: Header=BB6_126 Depth=2
	s_or_b64 exec, exec, s[88:89]
.LBB6_915:                              ;   in Loop: Header=BB6_126 Depth=2
	s_or_b64 exec, exec, s[78:79]
.LBB6_916:                              ;   in Loop: Header=BB6_126 Depth=2
	s_or_b64 exec, exec, s[20:21]
	v_cmp_ne_u16_sdwa s[78:79], v29, v61 src0_sel:BYTE_0 src1_sel:DWORD
	s_and_saveexec_b64 s[20:21], s[78:79]
	s_cbranch_execz .LBB6_922
; %bb.917:                              ;   in Loop: Header=BB6_126 Depth=2
	v_cmp_ne_u16_sdwa s[88:89], v29, s52 src0_sel:BYTE_0 src1_sel:DWORD
	v_bfrev_b32_e32 v3, 1
	s_and_saveexec_b64 s[78:79], s[88:89]
	s_cbranch_execz .LBB6_921
; %bb.918:                              ;   in Loop: Header=BB6_126 Depth=2
	v_and_b32_e32 v6, 0x7f, v29
	v_cmp_ne_u32_e32 vcc, s53, v6
	v_mov_b32_e32 v3, 0x7f800001
	s_and_saveexec_b64 s[88:89], vcc
	s_cbranch_execz .LBB6_920
; %bb.919:                              ;   in Loop: Header=BB6_126 Depth=2
	v_and_b32_e32 v3, 7, v29
	v_ffbh_u32_e32 v3, v3
	v_min_u32_e32 v3, 32, v3
	v_lshrrev_b32_e32 v9, 3, v6
	v_cmp_gt_u32_e32 vcc, 8, v6
	v_subrev_u32_e32 v6, 28, v3
	v_mov_b32_e32 v7, v29
	v_mov_b32_e32 v8, v61
	v_sub_u32_e32 v3, 29, v3
	v_cndmask_b32_e32 v6, 0, v6, vcc
	v_cndmask_b32_e32 v3, v9, v3, vcc
	v_lshlrev_b64 v[8:9], v6, v[7:8]
	v_lshlrev_b32_e32 v7, 24, v7
	v_lshlrev_b32_e32 v6, 20, v8
	v_and_b32_e32 v6, 0x700000, v6
	v_and_b32_e32 v7, 0x80000000, v7
	v_lshl_add_u32 v3, v3, 23, v62
	v_or3_b32 v3, v7, v3, v6
.LBB6_920:                              ;   in Loop: Header=BB6_126 Depth=2
	s_or_b64 exec, exec, s[88:89]
.LBB6_921:                              ;   in Loop: Header=BB6_126 Depth=2
	s_or_b64 exec, exec, s[78:79]
.LBB6_922:                              ;   in Loop: Header=BB6_126 Depth=2
	s_or_b64 exec, exec, s[20:21]
	v_add_f32_e32 v3, v2, v3
	v_and_b32_e32 v6, 0x7f800000, v3
	v_mov_b32_e32 v7, v61
	v_cmp_ne_u64_e32 vcc, s[56:57], v[6:7]
                                        ; implicit-def: $vgpr42
	s_and_saveexec_b64 s[20:21], vcc
	s_xor_b64 s[78:79], exec, s[20:21]
	s_cbranch_execz .LBB6_936
; %bb.923:                              ;   in Loop: Header=BB6_126 Depth=2
	v_and_b32_e32 v6, 0x7fffffff, v3
	v_mov_b32_e32 v7, v61
	v_cmp_gt_u64_e32 vcc, s[58:59], v[6:7]
	v_and_b32_sdwa v2, v3, s52 dst_sel:DWORD dst_unused:UNUSED_PAD src0_sel:BYTE_3 src1_sel:DWORD
                                        ; implicit-def: $vgpr42
	s_and_saveexec_b64 s[20:21], vcc
	s_xor_b64 s[88:89], exec, s[20:21]
	s_cbranch_execz .LBB6_933
; %bb.924:                              ;   in Loop: Header=BB6_126 Depth=2
	v_mov_b32_e32 v42, 0
	v_cmp_ne_u32_e32 vcc, 0, v3
	s_and_saveexec_b64 s[90:91], vcc
	s_cbranch_execz .LBB6_932
; %bb.925:                              ;   in Loop: Header=BB6_126 Depth=2
	v_and_b32_e32 v7, 0x7fffff, v3
	v_bfe_u32 v3, v3, 23, 8
	v_cmp_gt_u32_e64 s[20:21], s54, v3
	v_sub_u32_e32 v6, 0x79, v3
	v_cmp_eq_u32_e32 vcc, 0, v3
	v_cndmask_b32_e64 v6, 0, v6, s[20:21]
	v_mov_b32_e32 v9, 0x78
	v_cndmask_b32_e32 v6, v6, v9, vcc
	v_add_u32_e32 v9, 20, v6
	v_or_b32_e32 v8, 0x800000, v7
	v_lshlrev_b64 v[26:27], v9, -1
	v_add_u32_e32 v9, 19, v6
	v_cndmask_b32_e32 v7, v8, v7, vcc
	v_lshlrev_b64 v[30:31], v9, 1
	v_mov_b32_e32 v8, v61
	v_bfi_b32 v27, v27, 0, 0
	v_bfi_b32 v26, v26, 0, v7
	v_cmp_eq_u64_e64 s[20:21], v[26:27], v[30:31]
	v_lshrrev_b64 v[26:27], v6, v[7:8]
	v_mov_b32_e32 v31, v27
	v_mov_b32_e32 v30, v26
	s_and_saveexec_b64 s[92:93], s[20:21]
; %bb.926:                              ;   in Loop: Header=BB6_126 Depth=2
	v_bfe_u32 v7, v26, 20, 1
	v_add_co_u32_e64 v7, s[20:21], v26, v7
	v_add_co_u32_e64 v30, s[20:21], -1, v7
; %bb.927:                              ;   in Loop: Header=BB6_126 Depth=2
	s_or_b64 exec, exec, s[92:93]
	v_add_u32_e32 v3, 0xffffff81, v3
	v_mov_b32_e32 v7, 0xffffff82
	v_cndmask_b32_e32 v3, v3, v7, vcc
	v_lshrrev_b32_e32 v7, 23, v26
	v_add3_u32 v7, v6, v3, v7
	v_add_u32_e32 v6, 6, v7
	v_and_b32_e32 v3, 0xfffff, v30
	v_add_u32_e32 v26, v3, v26
	v_mov_b32_e32 v27, v61
	v_cmp_ne_u32_e32 vcc, 0, v6
                                        ; implicit-def: $vgpr3
	s_and_saveexec_b64 s[20:21], vcc
	s_xor_b64 s[20:21], exec, s[20:21]
; %bb.928:                              ;   in Loop: Header=BB6_126 Depth=2
	v_cmp_lt_u64_e32 vcc, s[60:61], v[26:27]
	v_add_u32_e32 v3, 7, v7
	v_cndmask_b32_e32 v3, v6, v3, vcc
	v_cndmask_b32_e64 v6, 0, 1, vcc
	v_lshrrev_b64 v[26:27], v6, v[26:27]
; %bb.929:                              ;   in Loop: Header=BB6_126 Depth=2
	s_andn2_saveexec_b64 s[20:21], s[20:21]
; %bb.930:                              ;   in Loop: Header=BB6_126 Depth=2
	v_bfe_u32 v3, v26, 23, 1
; %bb.931:                              ;   in Loop: Header=BB6_126 Depth=2
	s_or_b64 exec, exec, s[20:21]
	v_lshrrev_b64 v[6:7], 20, v[26:27]
	v_cmp_gt_i32_e32 vcc, 16, v3
	v_cndmask_b32_e32 v7, 0, v7, vcc
	v_cndmask_b32_e32 v6, 7, v6, vcc
	v_cmp_eq_u32_e32 vcc, 0, v3
	v_min_i32_e32 v3, 15, v3
	v_cmp_eq_u64_e64 s[20:21], 0, v[6:7]
	v_lshlrev_b32_e32 v3, 3, v3
	v_and_b32_e32 v3, 0xf8, v3
	v_and_or_b32 v3, v6, 7, v3
	s_and_b64 s[20:21], vcc, s[20:21]
	v_cndmask_b32_e64 v3, v3, 0, s[20:21]
	v_or_b32_e32 v42, v3, v2
.LBB6_932:                              ;   in Loop: Header=BB6_126 Depth=2
	s_or_b64 exec, exec, s[90:91]
                                        ; implicit-def: $vgpr2
.LBB6_933:                              ;   in Loop: Header=BB6_126 Depth=2
	s_andn2_saveexec_b64 s[20:21], s[88:89]
; %bb.934:                              ;   in Loop: Header=BB6_126 Depth=2
	v_or_b32_e32 v42, 0x7e, v2
; %bb.935:                              ;   in Loop: Header=BB6_126 Depth=2
	s_or_b64 exec, exec, s[20:21]
                                        ; implicit-def: $vgpr3
.LBB6_936:                              ;   in Loop: Header=BB6_126 Depth=2
	s_andn2_saveexec_b64 s[20:21], s[78:79]
; %bb.937:                              ;   in Loop: Header=BB6_126 Depth=2
	v_or_b32_sdwa v42, v3, s53 dst_sel:DWORD dst_unused:UNUSED_PAD src0_sel:BYTE_3 src1_sel:DWORD
; %bb.938:                              ;   in Loop: Header=BB6_126 Depth=2
	s_or_b64 exec, exec, s[20:21]
	v_lshrrev_b16_e32 v26, 8, v60
	v_cmp_ne_u16_e32 vcc, 0, v26
	v_mov_b32_e32 v2, 0
	v_mov_b32_e32 v3, 0
	s_and_saveexec_b64 s[20:21], vcc
	s_cbranch_execz .LBB6_944
; %bb.939:                              ;   in Loop: Header=BB6_126 Depth=2
	v_cmp_ne_u16_e32 vcc, s52, v26
	v_bfrev_b32_e32 v3, 1
	s_and_saveexec_b64 s[78:79], vcc
	s_cbranch_execz .LBB6_943
; %bb.940:                              ;   in Loop: Header=BB6_126 Depth=2
	v_and_b32_e32 v6, 0x7f, v26
	v_cmp_ne_u32_e32 vcc, s53, v6
	v_mov_b32_e32 v3, 0x7f800001
	s_and_saveexec_b64 s[88:89], vcc
	s_cbranch_execz .LBB6_942
; %bb.941:                              ;   in Loop: Header=BB6_126 Depth=2
	v_and_b32_e32 v3, 7, v26
	v_lshrrev_b32_e32 v8, 3, v6
	v_cmp_gt_u32_e32 vcc, 8, v6
	v_ffbh_u32_e32 v6, v3
	v_min_u32_e32 v9, 32, v6
	v_subrev_u32_e32 v6, 28, v9
	v_lshlrev_b64 v[6:7], v6, v[26:27]
	v_sub_u32_e32 v7, 29, v9
	v_and_b32_e32 v6, 7, v6
	v_cndmask_b32_e32 v7, v8, v7, vcc
	v_cndmask_b32_e32 v3, v3, v6, vcc
	v_lshlrev_b32_e32 v6, 16, v60
	v_lshlrev_b32_e32 v3, 20, v3
	v_and_b32_e32 v6, 0x80000000, v6
	v_lshl_add_u32 v7, v7, 23, v62
	v_or3_b32 v3, v6, v7, v3
.LBB6_942:                              ;   in Loop: Header=BB6_126 Depth=2
	s_or_b64 exec, exec, s[88:89]
.LBB6_943:                              ;   in Loop: Header=BB6_126 Depth=2
	s_or_b64 exec, exec, s[78:79]
.LBB6_944:                              ;   in Loop: Header=BB6_126 Depth=2
	s_or_b64 exec, exec, s[20:21]
	v_lshrrev_b16_e32 v26, 8, v29
	v_cmp_ne_u16_e32 vcc, 0, v26
	s_and_saveexec_b64 s[20:21], vcc
	s_cbranch_execz .LBB6_950
; %bb.945:                              ;   in Loop: Header=BB6_126 Depth=2
	v_cmp_ne_u16_e32 vcc, s52, v26
	v_bfrev_b32_e32 v2, 1
	s_and_saveexec_b64 s[78:79], vcc
	s_cbranch_execz .LBB6_949
; %bb.946:                              ;   in Loop: Header=BB6_126 Depth=2
	v_and_b32_e32 v6, 0x7f, v26
	v_cmp_ne_u32_e32 vcc, s53, v6
	v_mov_b32_e32 v2, 0x7f800001
	s_and_saveexec_b64 s[88:89], vcc
	s_cbranch_execz .LBB6_948
; %bb.947:                              ;   in Loop: Header=BB6_126 Depth=2
	v_and_b32_e32 v2, 7, v26
	v_lshrrev_b32_e32 v8, 3, v6
	v_cmp_gt_u32_e32 vcc, 8, v6
	v_ffbh_u32_e32 v6, v2
	v_min_u32_e32 v9, 32, v6
	v_subrev_u32_e32 v6, 28, v9
	v_lshlrev_b64 v[6:7], v6, v[26:27]
	v_sub_u32_e32 v7, 29, v9
	v_and_b32_e32 v6, 7, v6
	v_cndmask_b32_e32 v7, v8, v7, vcc
	v_cndmask_b32_e32 v2, v2, v6, vcc
	v_lshlrev_b32_e32 v6, 16, v29
	v_lshlrev_b32_e32 v2, 20, v2
	v_and_b32_e32 v6, 0x80000000, v6
	v_lshl_add_u32 v7, v7, 23, v62
	v_or3_b32 v2, v6, v7, v2
.LBB6_948:                              ;   in Loop: Header=BB6_126 Depth=2
	s_or_b64 exec, exec, s[88:89]
.LBB6_949:                              ;   in Loop: Header=BB6_126 Depth=2
	s_or_b64 exec, exec, s[78:79]
.LBB6_950:                              ;   in Loop: Header=BB6_126 Depth=2
	s_or_b64 exec, exec, s[20:21]
	v_add_f32_e32 v3, v3, v2
	v_and_b32_e32 v60, 0x7f800000, v3
	v_cmp_ne_u64_e32 vcc, s[56:57], v[60:61]
                                        ; implicit-def: $vgpr38
	s_and_saveexec_b64 s[20:21], vcc
	s_xor_b64 s[78:79], exec, s[20:21]
	s_cbranch_execz .LBB6_964
; %bb.951:                              ;   in Loop: Header=BB6_126 Depth=2
	v_and_b32_e32 v60, 0x7fffffff, v3
	v_cmp_gt_u64_e32 vcc, s[58:59], v[60:61]
	v_and_b32_sdwa v2, v3, s52 dst_sel:DWORD dst_unused:UNUSED_PAD src0_sel:BYTE_3 src1_sel:DWORD
                                        ; implicit-def: $vgpr38
	s_and_saveexec_b64 s[20:21], vcc
	s_xor_b64 s[88:89], exec, s[20:21]
	s_cbranch_execz .LBB6_961
; %bb.952:                              ;   in Loop: Header=BB6_126 Depth=2
	v_mov_b32_e32 v38, 0
	v_cmp_ne_u32_e32 vcc, 0, v3
	s_and_saveexec_b64 s[90:91], vcc
	s_cbranch_execz .LBB6_960
; %bb.953:                              ;   in Loop: Header=BB6_126 Depth=2
	v_and_b32_e32 v7, 0x7fffff, v3
	v_bfe_u32 v3, v3, 23, 8
	v_cmp_gt_u32_e64 s[20:21], s54, v3
	v_sub_u32_e32 v6, 0x79, v3
	v_cmp_eq_u32_e32 vcc, 0, v3
	v_cndmask_b32_e64 v6, 0, v6, s[20:21]
	v_mov_b32_e32 v9, 0x78
	v_or_b32_e32 v8, 0x800000, v7
	v_cndmask_b32_e32 v6, v6, v9, vcc
	v_cndmask_b32_e32 v60, v8, v7, vcc
	v_add_u32_e32 v7, 20, v6
	v_lshlrev_b64 v[7:8], v7, -1
	v_add_u32_e32 v9, 19, v6
	v_lshlrev_b64 v[26:27], v9, 1
	v_bfi_b32 v8, v8, 0, 0
	v_bfi_b32 v7, v7, 0, v60
	v_cmp_eq_u64_e64 s[20:21], v[7:8], v[26:27]
	v_lshrrev_b64 v[26:27], v6, v[60:61]
	v_mov_b32_e32 v31, v27
	v_mov_b32_e32 v30, v26
	s_and_saveexec_b64 s[92:93], s[20:21]
; %bb.954:                              ;   in Loop: Header=BB6_126 Depth=2
	v_bfe_u32 v7, v26, 20, 1
	v_add_co_u32_e64 v7, s[20:21], v26, v7
	v_add_co_u32_e64 v30, s[20:21], -1, v7
; %bb.955:                              ;   in Loop: Header=BB6_126 Depth=2
	s_or_b64 exec, exec, s[92:93]
	v_add_u32_e32 v3, 0xffffff81, v3
	v_mov_b32_e32 v7, 0xffffff82
	v_cndmask_b32_e32 v3, v3, v7, vcc
	v_lshrrev_b32_e32 v7, 23, v26
	v_add3_u32 v7, v6, v3, v7
	v_add_u32_e32 v6, 6, v7
	v_and_b32_e32 v3, 0xfffff, v30
	v_add_u32_e32 v60, v3, v26
	v_cmp_ne_u32_e32 vcc, 0, v6
                                        ; implicit-def: $vgpr26_vgpr27
                                        ; implicit-def: $vgpr3
	s_and_saveexec_b64 s[20:21], vcc
	s_xor_b64 s[20:21], exec, s[20:21]
; %bb.956:                              ;   in Loop: Header=BB6_126 Depth=2
	v_cmp_lt_u64_e32 vcc, s[60:61], v[60:61]
	v_add_u32_e32 v3, 7, v7
	v_cndmask_b32_e32 v3, v6, v3, vcc
	v_cndmask_b32_e64 v6, 0, 1, vcc
	v_lshrrev_b64 v[26:27], v6, v[60:61]
; %bb.957:                              ;   in Loop: Header=BB6_126 Depth=2
	s_andn2_saveexec_b64 s[20:21], s[20:21]
; %bb.958:                              ;   in Loop: Header=BB6_126 Depth=2
	v_mov_b32_e32 v26, v60
	v_bfe_u32 v3, v60, 23, 1
	v_mov_b32_e32 v27, v61
; %bb.959:                              ;   in Loop: Header=BB6_126 Depth=2
	s_or_b64 exec, exec, s[20:21]
	v_lshrrev_b64 v[6:7], 20, v[26:27]
	v_cmp_gt_i32_e32 vcc, 16, v3
	v_cndmask_b32_e32 v7, 0, v7, vcc
	v_cndmask_b32_e32 v6, 7, v6, vcc
	v_cmp_eq_u32_e32 vcc, 0, v3
	v_min_i32_e32 v3, 15, v3
	v_cmp_eq_u64_e64 s[20:21], 0, v[6:7]
	v_lshlrev_b32_e32 v3, 3, v3
	v_and_b32_e32 v3, 0xf8, v3
	v_and_or_b32 v3, v6, 7, v3
	s_and_b64 s[20:21], vcc, s[20:21]
	v_cndmask_b32_e64 v3, v3, 0, s[20:21]
	v_or_b32_e32 v38, v3, v2
.LBB6_960:                              ;   in Loop: Header=BB6_126 Depth=2
	s_or_b64 exec, exec, s[90:91]
                                        ; implicit-def: $vgpr2
.LBB6_961:                              ;   in Loop: Header=BB6_126 Depth=2
	s_andn2_saveexec_b64 s[20:21], s[88:89]
; %bb.962:                              ;   in Loop: Header=BB6_126 Depth=2
	v_or_b32_e32 v38, 0x7e, v2
; %bb.963:                              ;   in Loop: Header=BB6_126 Depth=2
	s_or_b64 exec, exec, s[20:21]
                                        ; implicit-def: $vgpr3
.LBB6_964:                              ;   in Loop: Header=BB6_126 Depth=2
	s_andn2_saveexec_b64 s[20:21], s[78:79]
; %bb.965:                              ;   in Loop: Header=BB6_126 Depth=2
	v_or_b32_sdwa v38, v3, s53 dst_sel:DWORD dst_unused:UNUSED_PAD src0_sel:BYTE_3 src1_sel:DWORD
; %bb.966:                              ;   in Loop: Header=BB6_126 Depth=2
	s_or_b64 exec, exec, s[20:21]
	v_lshrrev_b32_e32 v26, 16, v35
	v_cmp_ne_u16_sdwa s[78:79], v26, v61 src0_sel:BYTE_0 src1_sel:DWORD
	v_mov_b32_e32 v2, 0
	v_mov_b32_e32 v3, 0
	s_and_saveexec_b64 s[20:21], s[78:79]
	s_cbranch_execz .LBB6_972
; %bb.967:                              ;   in Loop: Header=BB6_126 Depth=2
	v_cmp_ne_u16_sdwa s[88:89], v26, s52 src0_sel:BYTE_0 src1_sel:DWORD
	v_bfrev_b32_e32 v3, 1
	s_and_saveexec_b64 s[78:79], s[88:89]
	s_cbranch_execz .LBB6_971
; %bb.968:                              ;   in Loop: Header=BB6_126 Depth=2
	v_bfe_u32 v6, v35, 16, 7
	v_cmp_ne_u32_e32 vcc, s53, v6
	v_mov_b32_e32 v3, 0x7f800001
	s_and_saveexec_b64 s[88:89], vcc
	s_cbranch_execz .LBB6_970
; %bb.969:                              ;   in Loop: Header=BB6_126 Depth=2
	v_and_b32_e32 v3, 7, v26
	v_lshrrev_b32_e32 v8, 3, v6
	v_cmp_gt_u32_e32 vcc, 8, v6
	v_ffbh_u32_e32 v6, v3
	v_min_u32_e32 v9, 32, v6
	v_subrev_u32_e32 v6, 28, v9
	v_lshlrev_b64 v[6:7], v6, v[26:27]
	v_sub_u32_e32 v7, 29, v9
	v_and_b32_e32 v6, 7, v6
	v_cndmask_b32_e32 v7, v8, v7, vcc
	v_cndmask_b32_e32 v3, v3, v6, vcc
	v_lshlrev_b32_e32 v6, 24, v26
	v_lshlrev_b32_e32 v3, 20, v3
	v_and_b32_e32 v6, 0x80000000, v6
	v_lshl_add_u32 v7, v7, 23, v62
	v_or3_b32 v3, v6, v7, v3
.LBB6_970:                              ;   in Loop: Header=BB6_126 Depth=2
	s_or_b64 exec, exec, s[88:89]
.LBB6_971:                              ;   in Loop: Header=BB6_126 Depth=2
	s_or_b64 exec, exec, s[78:79]
.LBB6_972:                              ;   in Loop: Header=BB6_126 Depth=2
	s_or_b64 exec, exec, s[20:21]
	v_lshrrev_b32_e32 v26, 16, v29
	v_cmp_ne_u16_sdwa s[78:79], v26, v61 src0_sel:BYTE_0 src1_sel:DWORD
	s_and_saveexec_b64 s[20:21], s[78:79]
	s_cbranch_execz .LBB6_978
; %bb.973:                              ;   in Loop: Header=BB6_126 Depth=2
	v_cmp_ne_u16_sdwa s[88:89], v26, s52 src0_sel:BYTE_0 src1_sel:DWORD
	v_bfrev_b32_e32 v2, 1
	s_and_saveexec_b64 s[78:79], s[88:89]
	s_cbranch_execz .LBB6_977
; %bb.974:                              ;   in Loop: Header=BB6_126 Depth=2
	v_bfe_u32 v6, v29, 16, 7
	v_cmp_ne_u32_e32 vcc, s53, v6
	v_mov_b32_e32 v2, 0x7f800001
	s_and_saveexec_b64 s[88:89], vcc
	s_cbranch_execz .LBB6_976
; %bb.975:                              ;   in Loop: Header=BB6_126 Depth=2
	v_and_b32_e32 v2, 7, v26
	v_lshrrev_b32_e32 v8, 3, v6
	v_cmp_gt_u32_e32 vcc, 8, v6
	v_ffbh_u32_e32 v6, v2
	v_min_u32_e32 v9, 32, v6
	v_subrev_u32_e32 v6, 28, v9
	v_lshlrev_b64 v[6:7], v6, v[26:27]
	v_sub_u32_e32 v7, 29, v9
	v_and_b32_e32 v6, 7, v6
	v_cndmask_b32_e32 v7, v8, v7, vcc
	v_cndmask_b32_e32 v2, v2, v6, vcc
	v_lshlrev_b32_e32 v6, 8, v29
	v_lshlrev_b32_e32 v2, 20, v2
	v_and_b32_e32 v6, 0x80000000, v6
	v_lshl_add_u32 v7, v7, 23, v62
	v_or3_b32 v2, v6, v7, v2
.LBB6_976:                              ;   in Loop: Header=BB6_126 Depth=2
	s_or_b64 exec, exec, s[88:89]
.LBB6_977:                              ;   in Loop: Header=BB6_126 Depth=2
	s_or_b64 exec, exec, s[78:79]
.LBB6_978:                              ;   in Loop: Header=BB6_126 Depth=2
	s_or_b64 exec, exec, s[20:21]
	v_add_f32_e32 v3, v3, v2
	v_and_b32_e32 v60, 0x7f800000, v3
	v_cmp_ne_u64_e32 vcc, s[56:57], v[60:61]
                                        ; implicit-def: $vgpr30
	s_and_saveexec_b64 s[20:21], vcc
	s_xor_b64 s[78:79], exec, s[20:21]
	s_cbranch_execz .LBB6_992
; %bb.979:                              ;   in Loop: Header=BB6_126 Depth=2
	v_and_b32_e32 v60, 0x7fffffff, v3
	v_cmp_gt_u64_e32 vcc, s[58:59], v[60:61]
	v_and_b32_sdwa v2, v3, s52 dst_sel:DWORD dst_unused:UNUSED_PAD src0_sel:BYTE_3 src1_sel:DWORD
                                        ; implicit-def: $vgpr30
	s_and_saveexec_b64 s[20:21], vcc
	s_xor_b64 s[88:89], exec, s[20:21]
	s_cbranch_execz .LBB6_989
; %bb.980:                              ;   in Loop: Header=BB6_126 Depth=2
	v_mov_b32_e32 v30, 0
	v_cmp_ne_u32_e32 vcc, 0, v3
	s_and_saveexec_b64 s[90:91], vcc
	s_cbranch_execz .LBB6_988
; %bb.981:                              ;   in Loop: Header=BB6_126 Depth=2
	v_and_b32_e32 v7, 0x7fffff, v3
	v_bfe_u32 v3, v3, 23, 8
	v_cmp_gt_u32_e64 s[20:21], s54, v3
	v_sub_u32_e32 v6, 0x79, v3
	v_cmp_eq_u32_e32 vcc, 0, v3
	v_cndmask_b32_e64 v6, 0, v6, s[20:21]
	v_mov_b32_e32 v9, 0x78
	v_or_b32_e32 v8, 0x800000, v7
	v_cndmask_b32_e32 v6, v6, v9, vcc
	v_cndmask_b32_e32 v60, v8, v7, vcc
	v_add_u32_e32 v7, 20, v6
	v_lshlrev_b64 v[7:8], v7, -1
	v_add_u32_e32 v9, 19, v6
	v_lshlrev_b64 v[26:27], v9, 1
	v_bfi_b32 v8, v8, 0, 0
	v_bfi_b32 v7, v7, 0, v60
	v_cmp_eq_u64_e64 s[20:21], v[7:8], v[26:27]
	v_lshrrev_b64 v[26:27], v6, v[60:61]
	v_mov_b32_e32 v31, v27
	v_mov_b32_e32 v30, v26
	s_and_saveexec_b64 s[92:93], s[20:21]
; %bb.982:                              ;   in Loop: Header=BB6_126 Depth=2
	v_bfe_u32 v7, v26, 20, 1
	v_add_co_u32_e64 v7, s[20:21], v26, v7
	v_add_co_u32_e64 v30, s[20:21], -1, v7
; %bb.983:                              ;   in Loop: Header=BB6_126 Depth=2
	s_or_b64 exec, exec, s[92:93]
	v_add_u32_e32 v3, 0xffffff81, v3
	v_mov_b32_e32 v7, 0xffffff82
	v_cndmask_b32_e32 v3, v3, v7, vcc
	v_lshrrev_b32_e32 v7, 23, v26
	v_add3_u32 v7, v6, v3, v7
	v_add_u32_e32 v6, 6, v7
	v_and_b32_e32 v3, 0xfffff, v30
	v_add_u32_e32 v60, v3, v26
	v_cmp_ne_u32_e32 vcc, 0, v6
                                        ; implicit-def: $vgpr26_vgpr27
                                        ; implicit-def: $vgpr3
	s_and_saveexec_b64 s[20:21], vcc
	s_xor_b64 s[20:21], exec, s[20:21]
; %bb.984:                              ;   in Loop: Header=BB6_126 Depth=2
	v_cmp_lt_u64_e32 vcc, s[60:61], v[60:61]
	v_add_u32_e32 v3, 7, v7
	v_cndmask_b32_e32 v3, v6, v3, vcc
	v_cndmask_b32_e64 v6, 0, 1, vcc
	v_lshrrev_b64 v[26:27], v6, v[60:61]
; %bb.985:                              ;   in Loop: Header=BB6_126 Depth=2
	s_andn2_saveexec_b64 s[20:21], s[20:21]
; %bb.986:                              ;   in Loop: Header=BB6_126 Depth=2
	v_mov_b32_e32 v26, v60
	v_bfe_u32 v3, v60, 23, 1
	v_mov_b32_e32 v27, v61
; %bb.987:                              ;   in Loop: Header=BB6_126 Depth=2
	s_or_b64 exec, exec, s[20:21]
	v_lshrrev_b64 v[6:7], 20, v[26:27]
	v_cmp_gt_i32_e32 vcc, 16, v3
	v_cndmask_b32_e32 v7, 0, v7, vcc
	v_cndmask_b32_e32 v6, 7, v6, vcc
	v_cmp_eq_u32_e32 vcc, 0, v3
	v_min_i32_e32 v3, 15, v3
	v_cmp_eq_u64_e64 s[20:21], 0, v[6:7]
	v_lshlrev_b32_e32 v3, 3, v3
	v_and_b32_e32 v3, 0xf8, v3
	v_and_or_b32 v3, v6, 7, v3
	s_and_b64 s[20:21], vcc, s[20:21]
	v_cndmask_b32_e64 v3, v3, 0, s[20:21]
	v_or_b32_e32 v30, v3, v2
.LBB6_988:                              ;   in Loop: Header=BB6_126 Depth=2
	s_or_b64 exec, exec, s[90:91]
                                        ; implicit-def: $vgpr2
.LBB6_989:                              ;   in Loop: Header=BB6_126 Depth=2
	s_andn2_saveexec_b64 s[20:21], s[88:89]
; %bb.990:                              ;   in Loop: Header=BB6_126 Depth=2
	v_or_b32_e32 v30, 0x7e, v2
; %bb.991:                              ;   in Loop: Header=BB6_126 Depth=2
	s_or_b64 exec, exec, s[20:21]
                                        ; implicit-def: $vgpr3
.LBB6_992:                              ;   in Loop: Header=BB6_126 Depth=2
	s_andn2_saveexec_b64 s[20:21], s[78:79]
; %bb.993:                              ;   in Loop: Header=BB6_126 Depth=2
	v_or_b32_sdwa v30, v3, s53 dst_sel:DWORD dst_unused:UNUSED_PAD src0_sel:BYTE_3 src1_sel:DWORD
; %bb.994:                              ;   in Loop: Header=BB6_126 Depth=2
	s_or_b64 exec, exec, s[20:21]
	v_cmp_lt_u64_e32 vcc, s[62:63], v[34:35]
	v_mov_b32_e32 v2, 0
	v_mov_b32_e32 v3, 0
	s_and_saveexec_b64 s[20:21], vcc
	s_cbranch_execz .LBB6_1000
; %bb.995:                              ;   in Loop: Header=BB6_126 Depth=2
	v_lshrrev_b32_e32 v26, 24, v35
	v_cmp_ne_u32_e32 vcc, s52, v26
	v_bfrev_b32_e32 v3, 1
	s_and_saveexec_b64 s[78:79], vcc
	s_cbranch_execz .LBB6_999
; %bb.996:                              ;   in Loop: Header=BB6_126 Depth=2
	v_bfe_u32 v6, v35, 24, 7
	v_cmp_ne_u32_e32 vcc, s53, v6
	v_mov_b32_e32 v3, 0x7f800001
	s_and_saveexec_b64 s[88:89], vcc
	s_cbranch_execz .LBB6_998
; %bb.997:                              ;   in Loop: Header=BB6_126 Depth=2
	v_and_b32_e32 v3, 7, v26
	v_lshrrev_b32_e32 v8, 3, v6
	v_cmp_gt_u32_e32 vcc, 8, v6
	v_ffbh_u32_e32 v6, v3
	v_min_u32_e32 v9, 32, v6
	v_subrev_u32_e32 v6, 28, v9
	v_lshlrev_b64 v[6:7], v6, v[26:27]
	v_sub_u32_e32 v7, 29, v9
	v_and_b32_e32 v6, 7, v6
	v_cndmask_b32_e32 v7, v8, v7, vcc
	v_cndmask_b32_e32 v3, v3, v6, vcc
	v_lshlrev_b32_e32 v6, 24, v26
	v_lshlrev_b32_e32 v3, 20, v3
	v_and_b32_e32 v6, 0x80000000, v6
	v_lshl_add_u32 v7, v7, 23, v62
	v_or3_b32 v3, v6, v7, v3
.LBB6_998:                              ;   in Loop: Header=BB6_126 Depth=2
	s_or_b64 exec, exec, s[88:89]
.LBB6_999:                              ;   in Loop: Header=BB6_126 Depth=2
	s_or_b64 exec, exec, s[78:79]
.LBB6_1000:                             ;   in Loop: Header=BB6_126 Depth=2
	s_or_b64 exec, exec, s[20:21]
	v_cmp_lt_u64_e32 vcc, s[62:63], v[28:29]
	s_and_saveexec_b64 s[20:21], vcc
	s_cbranch_execz .LBB6_1006
; %bb.1001:                             ;   in Loop: Header=BB6_126 Depth=2
	v_lshrrev_b32_e32 v26, 24, v29
	v_cmp_ne_u32_e32 vcc, s52, v26
	v_bfrev_b32_e32 v2, 1
	s_and_saveexec_b64 s[78:79], vcc
	s_cbranch_execz .LBB6_1005
; %bb.1002:                             ;   in Loop: Header=BB6_126 Depth=2
	v_bfe_u32 v6, v29, 24, 7
	v_cmp_ne_u32_e32 vcc, s53, v6
	v_mov_b32_e32 v2, 0x7f800001
	s_and_saveexec_b64 s[88:89], vcc
	s_cbranch_execz .LBB6_1004
; %bb.1003:                             ;   in Loop: Header=BB6_126 Depth=2
	v_and_b32_e32 v2, 7, v26
	v_lshrrev_b32_e32 v8, 3, v6
	v_cmp_gt_u32_e32 vcc, 8, v6
	v_ffbh_u32_e32 v6, v2
	v_min_u32_e32 v9, 32, v6
	v_subrev_u32_e32 v6, 28, v9
	v_lshlrev_b64 v[6:7], v6, v[26:27]
	v_sub_u32_e32 v7, 29, v9
	v_and_b32_e32 v6, 7, v6
	v_cndmask_b32_e32 v7, v8, v7, vcc
	v_cndmask_b32_e32 v2, v2, v6, vcc
	v_lshlrev_b32_e32 v6, 24, v26
	v_lshlrev_b32_e32 v2, 20, v2
	v_and_b32_e32 v6, 0x80000000, v6
	v_lshl_add_u32 v7, v7, 23, v62
	v_or3_b32 v2, v6, v7, v2
.LBB6_1004:                             ;   in Loop: Header=BB6_126 Depth=2
	s_or_b64 exec, exec, s[88:89]
.LBB6_1005:                             ;   in Loop: Header=BB6_126 Depth=2
	s_or_b64 exec, exec, s[78:79]
.LBB6_1006:                             ;   in Loop: Header=BB6_126 Depth=2
	s_or_b64 exec, exec, s[20:21]
	v_add_f32_e32 v3, v3, v2
	v_and_b32_e32 v60, 0x7f800000, v3
	v_cmp_ne_u64_e32 vcc, s[56:57], v[60:61]
                                        ; implicit-def: $vgpr29
	s_and_saveexec_b64 s[20:21], vcc
	s_xor_b64 s[78:79], exec, s[20:21]
	s_cbranch_execz .LBB6_1020
; %bb.1007:                             ;   in Loop: Header=BB6_126 Depth=2
	v_and_b32_e32 v60, 0x7fffffff, v3
	v_cmp_gt_u64_e32 vcc, s[58:59], v[60:61]
	v_and_b32_sdwa v2, v3, s52 dst_sel:DWORD dst_unused:UNUSED_PAD src0_sel:BYTE_3 src1_sel:DWORD
                                        ; implicit-def: $vgpr29
	s_and_saveexec_b64 s[20:21], vcc
	s_xor_b64 s[88:89], exec, s[20:21]
	s_cbranch_execz .LBB6_1017
; %bb.1008:                             ;   in Loop: Header=BB6_126 Depth=2
	v_mov_b32_e32 v29, 0
	v_cmp_ne_u32_e32 vcc, 0, v3
	s_and_saveexec_b64 s[90:91], vcc
	s_cbranch_execz .LBB6_1016
; %bb.1009:                             ;   in Loop: Header=BB6_126 Depth=2
	v_and_b32_e32 v7, 0x7fffff, v3
	v_bfe_u32 v3, v3, 23, 8
	v_cmp_gt_u32_e64 s[20:21], s54, v3
	v_sub_u32_e32 v6, 0x79, v3
	v_cmp_eq_u32_e32 vcc, 0, v3
	v_cndmask_b32_e64 v6, 0, v6, s[20:21]
	v_mov_b32_e32 v9, 0x78
	v_or_b32_e32 v8, 0x800000, v7
	v_cndmask_b32_e32 v6, v6, v9, vcc
	v_cndmask_b32_e32 v60, v8, v7, vcc
	v_add_u32_e32 v7, 20, v6
	v_lshlrev_b64 v[7:8], v7, -1
	v_add_u32_e32 v9, 19, v6
	v_lshlrev_b64 v[26:27], v9, 1
	v_bfi_b32 v8, v8, 0, 0
	v_bfi_b32 v7, v7, 0, v60
	v_cmp_eq_u64_e64 s[20:21], v[7:8], v[26:27]
	v_lshrrev_b64 v[26:27], v6, v[60:61]
	v_mov_b32_e32 v28, v27
	v_mov_b32_e32 v27, v26
	s_and_saveexec_b64 s[92:93], s[20:21]
; %bb.1010:                             ;   in Loop: Header=BB6_126 Depth=2
	v_bfe_u32 v7, v26, 20, 1
	v_add_co_u32_e64 v7, s[20:21], v26, v7
	v_add_co_u32_e64 v27, s[20:21], -1, v7
; %bb.1011:                             ;   in Loop: Header=BB6_126 Depth=2
	s_or_b64 exec, exec, s[92:93]
	v_add_u32_e32 v3, 0xffffff81, v3
	v_mov_b32_e32 v7, 0xffffff82
	v_cndmask_b32_e32 v3, v3, v7, vcc
	v_lshrrev_b32_e32 v7, 23, v26
	v_add3_u32 v7, v6, v3, v7
	v_add_u32_e32 v6, 6, v7
	v_and_b32_e32 v3, 0xfffff, v27
	v_add_u32_e32 v60, v3, v26
	v_cmp_ne_u32_e32 vcc, 0, v6
                                        ; implicit-def: $vgpr26_vgpr27
                                        ; implicit-def: $vgpr3
	s_and_saveexec_b64 s[20:21], vcc
	s_xor_b64 s[20:21], exec, s[20:21]
; %bb.1012:                             ;   in Loop: Header=BB6_126 Depth=2
	v_cmp_lt_u64_e32 vcc, s[60:61], v[60:61]
	v_add_u32_e32 v3, 7, v7
	v_cndmask_b32_e32 v3, v6, v3, vcc
	v_cndmask_b32_e64 v6, 0, 1, vcc
	v_lshrrev_b64 v[26:27], v6, v[60:61]
; %bb.1013:                             ;   in Loop: Header=BB6_126 Depth=2
	s_andn2_saveexec_b64 s[20:21], s[20:21]
; %bb.1014:                             ;   in Loop: Header=BB6_126 Depth=2
	v_mov_b32_e32 v26, v60
	v_bfe_u32 v3, v60, 23, 1
	v_mov_b32_e32 v27, v61
; %bb.1015:                             ;   in Loop: Header=BB6_126 Depth=2
	s_or_b64 exec, exec, s[20:21]
	v_lshrrev_b64 v[6:7], 20, v[26:27]
	v_cmp_gt_i32_e32 vcc, 16, v3
	v_cndmask_b32_e32 v7, 0, v7, vcc
	v_cndmask_b32_e32 v6, 7, v6, vcc
	v_cmp_eq_u32_e32 vcc, 0, v3
	v_min_i32_e32 v3, 15, v3
	v_cmp_eq_u64_e64 s[20:21], 0, v[6:7]
	v_lshlrev_b32_e32 v3, 3, v3
	v_and_b32_e32 v3, 0xf8, v3
	v_and_or_b32 v3, v6, 7, v3
	s_and_b64 s[20:21], vcc, s[20:21]
	v_cndmask_b32_e64 v3, v3, 0, s[20:21]
	v_or_b32_e32 v29, v3, v2
.LBB6_1016:                             ;   in Loop: Header=BB6_126 Depth=2
	s_or_b64 exec, exec, s[90:91]
                                        ; implicit-def: $vgpr2
.LBB6_1017:                             ;   in Loop: Header=BB6_126 Depth=2
	s_andn2_saveexec_b64 s[20:21], s[88:89]
; %bb.1018:                             ;   in Loop: Header=BB6_126 Depth=2
	v_or_b32_e32 v29, 0x7e, v2
; %bb.1019:                             ;   in Loop: Header=BB6_126 Depth=2
	s_or_b64 exec, exec, s[20:21]
                                        ; implicit-def: $vgpr3
.LBB6_1020:                             ;   in Loop: Header=BB6_126 Depth=2
	s_andn2_saveexec_b64 s[20:21], s[78:79]
; %bb.1021:                             ;   in Loop: Header=BB6_126 Depth=2
	v_or_b32_sdwa v29, v3, s53 dst_sel:DWORD dst_unused:UNUSED_PAD src0_sel:BYTE_3 src1_sel:DWORD
; %bb.1022:                             ;   in Loop: Header=BB6_126 Depth=2
	s_or_b64 exec, exec, s[20:21]
	v_cmp_ne_u16_sdwa s[78:79], v22, v61 src0_sel:BYTE_0 src1_sel:DWORD
	v_mov_b32_e32 v2, 0
	v_mov_b32_e32 v3, 0
	s_and_saveexec_b64 s[20:21], s[78:79]
	s_cbranch_execz .LBB6_1028
; %bb.1023:                             ;   in Loop: Header=BB6_126 Depth=2
	v_cmp_ne_u16_sdwa s[88:89], v22, s52 src0_sel:BYTE_0 src1_sel:DWORD
	v_bfrev_b32_e32 v3, 1
	s_and_saveexec_b64 s[78:79], s[88:89]
	s_cbranch_execz .LBB6_1027
; %bb.1024:                             ;   in Loop: Header=BB6_126 Depth=2
	v_and_b32_e32 v6, 0x7f, v22
	v_cmp_ne_u32_e32 vcc, s53, v6
	v_mov_b32_e32 v3, 0x7f800001
	s_and_saveexec_b64 s[88:89], vcc
	s_cbranch_execz .LBB6_1026
; %bb.1025:                             ;   in Loop: Header=BB6_126 Depth=2
	v_and_b32_e32 v3, 7, v22
	v_ffbh_u32_e32 v3, v3
	v_min_u32_e32 v3, 32, v3
	v_lshrrev_b32_e32 v7, 3, v6
	v_cmp_gt_u32_e32 vcc, 8, v6
	v_subrev_u32_e32 v6, 28, v3
	v_sub_u32_e32 v3, 29, v3
	v_cndmask_b32_e32 v6, 0, v6, vcc
	v_cndmask_b32_e32 v3, v7, v3, vcc
	v_lshlrev_b64 v[6:7], v6, v[22:23]
	v_lshlrev_b32_e32 v7, 24, v22
	v_lshlrev_b32_e32 v6, 20, v6
	v_and_b32_e32 v6, 0x700000, v6
	v_and_b32_e32 v7, 0x80000000, v7
	v_lshl_add_u32 v3, v3, 23, v62
	v_or3_b32 v3, v7, v3, v6
.LBB6_1026:                             ;   in Loop: Header=BB6_126 Depth=2
	s_or_b64 exec, exec, s[88:89]
.LBB6_1027:                             ;   in Loop: Header=BB6_126 Depth=2
	s_or_b64 exec, exec, s[78:79]
.LBB6_1028:                             ;   in Loop: Header=BB6_126 Depth=2
	s_or_b64 exec, exec, s[20:21]
	s_waitcnt vmcnt(1)
	v_cmp_ne_u16_sdwa s[78:79], v18, v61 src0_sel:BYTE_0 src1_sel:DWORD
	s_and_saveexec_b64 s[20:21], s[78:79]
	s_cbranch_execz .LBB6_1034
; %bb.1029:                             ;   in Loop: Header=BB6_126 Depth=2
	v_cmp_ne_u16_sdwa s[88:89], v18, s52 src0_sel:BYTE_0 src1_sel:DWORD
	v_bfrev_b32_e32 v2, 1
	s_and_saveexec_b64 s[78:79], s[88:89]
	s_cbranch_execz .LBB6_1033
; %bb.1030:                             ;   in Loop: Header=BB6_126 Depth=2
	v_and_b32_e32 v6, 0x7f, v18
	v_cmp_ne_u32_e32 vcc, s53, v6
	v_mov_b32_e32 v2, 0x7f800001
	s_and_saveexec_b64 s[88:89], vcc
	s_cbranch_execz .LBB6_1032
; %bb.1031:                             ;   in Loop: Header=BB6_126 Depth=2
	v_and_b32_e32 v2, 7, v18
	v_ffbh_u32_e32 v2, v2
	v_min_u32_e32 v2, 32, v2
	v_lshrrev_b32_e32 v7, 3, v6
	v_cmp_gt_u32_e32 vcc, 8, v6
	v_subrev_u32_e32 v6, 28, v2
	v_sub_u32_e32 v2, 29, v2
	v_cndmask_b32_e32 v6, 0, v6, vcc
	v_cndmask_b32_e32 v2, v7, v2, vcc
	v_lshlrev_b64 v[6:7], v6, v[18:19]
	v_lshlrev_b32_e32 v7, 24, v18
	v_lshlrev_b32_e32 v6, 20, v6
	v_and_b32_e32 v6, 0x700000, v6
	v_and_b32_e32 v7, 0x80000000, v7
	v_lshl_add_u32 v2, v2, 23, v62
	v_or3_b32 v2, v7, v2, v6
.LBB6_1032:                             ;   in Loop: Header=BB6_126 Depth=2
	s_or_b64 exec, exec, s[88:89]
.LBB6_1033:                             ;   in Loop: Header=BB6_126 Depth=2
	s_or_b64 exec, exec, s[78:79]
.LBB6_1034:                             ;   in Loop: Header=BB6_126 Depth=2
	s_or_b64 exec, exec, s[20:21]
	v_add_f32_e32 v3, v3, v2
	v_and_b32_e32 v60, 0x7f800000, v3
	v_cmp_ne_u64_e32 vcc, s[56:57], v[60:61]
                                        ; implicit-def: $vgpr31
	s_and_saveexec_b64 s[20:21], vcc
	s_xor_b64 s[78:79], exec, s[20:21]
	s_cbranch_execz .LBB6_1048
; %bb.1035:                             ;   in Loop: Header=BB6_126 Depth=2
	v_and_b32_e32 v60, 0x7fffffff, v3
	v_cmp_gt_u64_e32 vcc, s[58:59], v[60:61]
	v_and_b32_sdwa v2, v3, s52 dst_sel:DWORD dst_unused:UNUSED_PAD src0_sel:BYTE_3 src1_sel:DWORD
                                        ; implicit-def: $vgpr31
	s_and_saveexec_b64 s[20:21], vcc
	s_xor_b64 s[88:89], exec, s[20:21]
	s_cbranch_execz .LBB6_1045
; %bb.1036:                             ;   in Loop: Header=BB6_126 Depth=2
	v_mov_b32_e32 v31, 0
	v_cmp_ne_u32_e32 vcc, 0, v3
	s_and_saveexec_b64 s[90:91], vcc
	s_cbranch_execz .LBB6_1044
; %bb.1037:                             ;   in Loop: Header=BB6_126 Depth=2
	v_and_b32_e32 v7, 0x7fffff, v3
	v_bfe_u32 v3, v3, 23, 8
	v_cmp_gt_u32_e64 s[20:21], s54, v3
	v_sub_u32_e32 v6, 0x79, v3
	v_cmp_eq_u32_e32 vcc, 0, v3
	v_cndmask_b32_e64 v6, 0, v6, s[20:21]
	v_mov_b32_e32 v9, 0x78
	v_or_b32_e32 v8, 0x800000, v7
	v_cndmask_b32_e32 v6, v6, v9, vcc
	v_cndmask_b32_e32 v60, v8, v7, vcc
	v_add_u32_e32 v7, 20, v6
	v_lshlrev_b64 v[7:8], v7, -1
	v_add_u32_e32 v9, 19, v6
	v_lshlrev_b64 v[26:27], v9, 1
	v_bfi_b32 v8, v8, 0, 0
	v_bfi_b32 v7, v7, 0, v60
	v_cmp_eq_u64_e64 s[20:21], v[7:8], v[26:27]
	v_lshrrev_b64 v[26:27], v6, v[60:61]
	v_mov_b32_e32 v28, v27
	v_mov_b32_e32 v27, v26
	s_and_saveexec_b64 s[92:93], s[20:21]
; %bb.1038:                             ;   in Loop: Header=BB6_126 Depth=2
	v_bfe_u32 v7, v26, 20, 1
	v_add_co_u32_e64 v7, s[20:21], v26, v7
	v_add_co_u32_e64 v27, s[20:21], -1, v7
; %bb.1039:                             ;   in Loop: Header=BB6_126 Depth=2
	s_or_b64 exec, exec, s[92:93]
	v_add_u32_e32 v3, 0xffffff81, v3
	v_mov_b32_e32 v7, 0xffffff82
	v_cndmask_b32_e32 v3, v3, v7, vcc
	v_lshrrev_b32_e32 v7, 23, v26
	v_add3_u32 v7, v6, v3, v7
	v_add_u32_e32 v6, 6, v7
	v_and_b32_e32 v3, 0xfffff, v27
	v_add_u32_e32 v60, v3, v26
	v_cmp_ne_u32_e32 vcc, 0, v6
                                        ; implicit-def: $vgpr26_vgpr27
                                        ; implicit-def: $vgpr3
	s_and_saveexec_b64 s[20:21], vcc
	s_xor_b64 s[20:21], exec, s[20:21]
; %bb.1040:                             ;   in Loop: Header=BB6_126 Depth=2
	v_cmp_lt_u64_e32 vcc, s[60:61], v[60:61]
	v_add_u32_e32 v3, 7, v7
	v_cndmask_b32_e32 v3, v6, v3, vcc
	v_cndmask_b32_e64 v6, 0, 1, vcc
	v_lshrrev_b64 v[26:27], v6, v[60:61]
; %bb.1041:                             ;   in Loop: Header=BB6_126 Depth=2
	s_andn2_saveexec_b64 s[20:21], s[20:21]
; %bb.1042:                             ;   in Loop: Header=BB6_126 Depth=2
	v_mov_b32_e32 v26, v60
	v_bfe_u32 v3, v60, 23, 1
	v_mov_b32_e32 v27, v61
; %bb.1043:                             ;   in Loop: Header=BB6_126 Depth=2
	s_or_b64 exec, exec, s[20:21]
	v_lshrrev_b64 v[6:7], 20, v[26:27]
	v_cmp_gt_i32_e32 vcc, 16, v3
	v_cndmask_b32_e32 v7, 0, v7, vcc
	v_cndmask_b32_e32 v6, 7, v6, vcc
	v_cmp_eq_u32_e32 vcc, 0, v3
	v_min_i32_e32 v3, 15, v3
	v_cmp_eq_u64_e64 s[20:21], 0, v[6:7]
	v_lshlrev_b32_e32 v3, 3, v3
	v_and_b32_e32 v3, 0xf8, v3
	v_and_or_b32 v3, v6, 7, v3
	s_and_b64 s[20:21], vcc, s[20:21]
	v_cndmask_b32_e64 v3, v3, 0, s[20:21]
	v_or_b32_e32 v31, v3, v2
.LBB6_1044:                             ;   in Loop: Header=BB6_126 Depth=2
	s_or_b64 exec, exec, s[90:91]
                                        ; implicit-def: $vgpr2
.LBB6_1045:                             ;   in Loop: Header=BB6_126 Depth=2
	s_andn2_saveexec_b64 s[20:21], s[88:89]
; %bb.1046:                             ;   in Loop: Header=BB6_126 Depth=2
	v_or_b32_e32 v31, 0x7e, v2
; %bb.1047:                             ;   in Loop: Header=BB6_126 Depth=2
	s_or_b64 exec, exec, s[20:21]
                                        ; implicit-def: $vgpr3
.LBB6_1048:                             ;   in Loop: Header=BB6_126 Depth=2
	s_andn2_saveexec_b64 s[20:21], s[78:79]
; %bb.1049:                             ;   in Loop: Header=BB6_126 Depth=2
	v_or_b32_sdwa v31, v3, s53 dst_sel:DWORD dst_unused:UNUSED_PAD src0_sel:BYTE_3 src1_sel:DWORD
; %bb.1050:                             ;   in Loop: Header=BB6_126 Depth=2
	s_or_b64 exec, exec, s[20:21]
	v_lshrrev_b16_e32 v26, 8, v22
	v_cmp_ne_u16_e32 vcc, 0, v26
	v_mov_b32_e32 v2, 0
	v_mov_b32_e32 v3, 0
	s_and_saveexec_b64 s[20:21], vcc
	s_cbranch_execz .LBB6_1056
; %bb.1051:                             ;   in Loop: Header=BB6_126 Depth=2
	v_cmp_ne_u16_e32 vcc, s52, v26
	v_bfrev_b32_e32 v3, 1
	s_and_saveexec_b64 s[78:79], vcc
	s_cbranch_execz .LBB6_1055
; %bb.1052:                             ;   in Loop: Header=BB6_126 Depth=2
	v_and_b32_e32 v6, 0x7f, v26
	v_cmp_ne_u32_e32 vcc, s53, v6
	v_mov_b32_e32 v3, 0x7f800001
	s_and_saveexec_b64 s[88:89], vcc
	s_cbranch_execz .LBB6_1054
; %bb.1053:                             ;   in Loop: Header=BB6_126 Depth=2
	v_and_b32_e32 v3, 7, v26
	v_lshrrev_b32_e32 v8, 3, v6
	v_cmp_gt_u32_e32 vcc, 8, v6
	v_ffbh_u32_e32 v6, v3
	v_min_u32_e32 v9, 32, v6
	v_subrev_u32_e32 v6, 28, v9
	v_lshlrev_b64 v[6:7], v6, v[26:27]
	v_sub_u32_e32 v7, 29, v9
	v_and_b32_e32 v6, 7, v6
	v_cndmask_b32_e32 v7, v8, v7, vcc
	v_cndmask_b32_e32 v3, v3, v6, vcc
	v_lshlrev_b32_e32 v6, 16, v22
	v_lshlrev_b32_e32 v3, 20, v3
	v_and_b32_e32 v6, 0x80000000, v6
	v_lshl_add_u32 v7, v7, 23, v62
	v_or3_b32 v3, v6, v7, v3
.LBB6_1054:                             ;   in Loop: Header=BB6_126 Depth=2
	s_or_b64 exec, exec, s[88:89]
.LBB6_1055:                             ;   in Loop: Header=BB6_126 Depth=2
	s_or_b64 exec, exec, s[78:79]
.LBB6_1056:                             ;   in Loop: Header=BB6_126 Depth=2
	s_or_b64 exec, exec, s[20:21]
	v_lshrrev_b16_e32 v26, 8, v18
	v_cmp_ne_u16_e32 vcc, 0, v26
	s_and_saveexec_b64 s[20:21], vcc
	s_cbranch_execz .LBB6_1062
; %bb.1057:                             ;   in Loop: Header=BB6_126 Depth=2
	v_cmp_ne_u16_e32 vcc, s52, v26
	v_bfrev_b32_e32 v2, 1
	s_and_saveexec_b64 s[78:79], vcc
	s_cbranch_execz .LBB6_1061
; %bb.1058:                             ;   in Loop: Header=BB6_126 Depth=2
	v_and_b32_e32 v6, 0x7f, v26
	v_cmp_ne_u32_e32 vcc, s53, v6
	v_mov_b32_e32 v2, 0x7f800001
	s_and_saveexec_b64 s[88:89], vcc
	s_cbranch_execz .LBB6_1060
; %bb.1059:                             ;   in Loop: Header=BB6_126 Depth=2
	v_and_b32_e32 v2, 7, v26
	v_lshrrev_b32_e32 v8, 3, v6
	v_cmp_gt_u32_e32 vcc, 8, v6
	v_ffbh_u32_e32 v6, v2
	v_min_u32_e32 v9, 32, v6
	v_subrev_u32_e32 v6, 28, v9
	v_lshlrev_b64 v[6:7], v6, v[26:27]
	v_sub_u32_e32 v7, 29, v9
	v_and_b32_e32 v6, 7, v6
	v_cndmask_b32_e32 v7, v8, v7, vcc
	v_cndmask_b32_e32 v2, v2, v6, vcc
	v_lshlrev_b32_e32 v6, 16, v18
	v_lshlrev_b32_e32 v2, 20, v2
	v_and_b32_e32 v6, 0x80000000, v6
	v_lshl_add_u32 v7, v7, 23, v62
	v_or3_b32 v2, v6, v7, v2
.LBB6_1060:                             ;   in Loop: Header=BB6_126 Depth=2
	s_or_b64 exec, exec, s[88:89]
.LBB6_1061:                             ;   in Loop: Header=BB6_126 Depth=2
	s_or_b64 exec, exec, s[78:79]
.LBB6_1062:                             ;   in Loop: Header=BB6_126 Depth=2
	s_or_b64 exec, exec, s[20:21]
	v_add_f32_e32 v3, v3, v2
	v_and_b32_e32 v60, 0x7f800000, v3
	v_cmp_ne_u64_e32 vcc, s[56:57], v[60:61]
                                        ; implicit-def: $vgpr34
	s_and_saveexec_b64 s[20:21], vcc
	s_xor_b64 s[78:79], exec, s[20:21]
	s_cbranch_execz .LBB6_1076
; %bb.1063:                             ;   in Loop: Header=BB6_126 Depth=2
	v_and_b32_e32 v60, 0x7fffffff, v3
	v_cmp_gt_u64_e32 vcc, s[58:59], v[60:61]
	v_and_b32_sdwa v2, v3, s52 dst_sel:DWORD dst_unused:UNUSED_PAD src0_sel:BYTE_3 src1_sel:DWORD
                                        ; implicit-def: $vgpr34
	s_and_saveexec_b64 s[20:21], vcc
	s_xor_b64 s[88:89], exec, s[20:21]
	s_cbranch_execz .LBB6_1073
; %bb.1064:                             ;   in Loop: Header=BB6_126 Depth=2
	v_mov_b32_e32 v34, 0
	v_cmp_ne_u32_e32 vcc, 0, v3
	s_and_saveexec_b64 s[90:91], vcc
	s_cbranch_execz .LBB6_1072
; %bb.1065:                             ;   in Loop: Header=BB6_126 Depth=2
	v_and_b32_e32 v7, 0x7fffff, v3
	v_bfe_u32 v3, v3, 23, 8
	v_cmp_gt_u32_e64 s[20:21], s54, v3
	v_sub_u32_e32 v6, 0x79, v3
	v_cmp_eq_u32_e32 vcc, 0, v3
	v_cndmask_b32_e64 v6, 0, v6, s[20:21]
	v_mov_b32_e32 v9, 0x78
	v_or_b32_e32 v8, 0x800000, v7
	v_cndmask_b32_e32 v6, v6, v9, vcc
	v_cndmask_b32_e32 v60, v8, v7, vcc
	v_add_u32_e32 v7, 20, v6
	v_lshlrev_b64 v[7:8], v7, -1
	v_add_u32_e32 v9, 19, v6
	v_lshlrev_b64 v[26:27], v9, 1
	v_bfi_b32 v8, v8, 0, 0
	v_bfi_b32 v7, v7, 0, v60
	v_cmp_eq_u64_e64 s[20:21], v[7:8], v[26:27]
	v_lshrrev_b64 v[26:27], v6, v[60:61]
	v_mov_b32_e32 v28, v27
	v_mov_b32_e32 v27, v26
	s_and_saveexec_b64 s[92:93], s[20:21]
; %bb.1066:                             ;   in Loop: Header=BB6_126 Depth=2
	v_bfe_u32 v7, v26, 20, 1
	v_add_co_u32_e64 v7, s[20:21], v26, v7
	v_add_co_u32_e64 v27, s[20:21], -1, v7
; %bb.1067:                             ;   in Loop: Header=BB6_126 Depth=2
	s_or_b64 exec, exec, s[92:93]
	v_add_u32_e32 v3, 0xffffff81, v3
	v_mov_b32_e32 v7, 0xffffff82
	v_cndmask_b32_e32 v3, v3, v7, vcc
	v_lshrrev_b32_e32 v7, 23, v26
	v_add3_u32 v7, v6, v3, v7
	v_add_u32_e32 v6, 6, v7
	v_and_b32_e32 v3, 0xfffff, v27
	v_add_u32_e32 v60, v3, v26
	v_cmp_ne_u32_e32 vcc, 0, v6
                                        ; implicit-def: $vgpr26_vgpr27
                                        ; implicit-def: $vgpr3
	s_and_saveexec_b64 s[20:21], vcc
	s_xor_b64 s[20:21], exec, s[20:21]
; %bb.1068:                             ;   in Loop: Header=BB6_126 Depth=2
	v_cmp_lt_u64_e32 vcc, s[60:61], v[60:61]
	v_add_u32_e32 v3, 7, v7
	v_cndmask_b32_e32 v3, v6, v3, vcc
	v_cndmask_b32_e64 v6, 0, 1, vcc
	v_lshrrev_b64 v[26:27], v6, v[60:61]
; %bb.1069:                             ;   in Loop: Header=BB6_126 Depth=2
	s_andn2_saveexec_b64 s[20:21], s[20:21]
; %bb.1070:                             ;   in Loop: Header=BB6_126 Depth=2
	v_mov_b32_e32 v26, v60
	v_bfe_u32 v3, v60, 23, 1
	v_mov_b32_e32 v27, v61
; %bb.1071:                             ;   in Loop: Header=BB6_126 Depth=2
	s_or_b64 exec, exec, s[20:21]
	v_lshrrev_b64 v[6:7], 20, v[26:27]
	v_cmp_gt_i32_e32 vcc, 16, v3
	v_cndmask_b32_e32 v7, 0, v7, vcc
	v_cndmask_b32_e32 v6, 7, v6, vcc
	v_cmp_eq_u32_e32 vcc, 0, v3
	v_min_i32_e32 v3, 15, v3
	v_cmp_eq_u64_e64 s[20:21], 0, v[6:7]
	v_lshlrev_b32_e32 v3, 3, v3
	v_and_b32_e32 v3, 0xf8, v3
	v_and_or_b32 v3, v6, 7, v3
	s_and_b64 s[20:21], vcc, s[20:21]
	v_cndmask_b32_e64 v3, v3, 0, s[20:21]
	v_or_b32_e32 v34, v3, v2
.LBB6_1072:                             ;   in Loop: Header=BB6_126 Depth=2
	s_or_b64 exec, exec, s[90:91]
                                        ; implicit-def: $vgpr2
.LBB6_1073:                             ;   in Loop: Header=BB6_126 Depth=2
	s_andn2_saveexec_b64 s[20:21], s[88:89]
; %bb.1074:                             ;   in Loop: Header=BB6_126 Depth=2
	v_or_b32_e32 v34, 0x7e, v2
; %bb.1075:                             ;   in Loop: Header=BB6_126 Depth=2
	s_or_b64 exec, exec, s[20:21]
                                        ; implicit-def: $vgpr3
.LBB6_1076:                             ;   in Loop: Header=BB6_126 Depth=2
	s_andn2_saveexec_b64 s[20:21], s[78:79]
; %bb.1077:                             ;   in Loop: Header=BB6_126 Depth=2
	v_or_b32_sdwa v34, v3, s53 dst_sel:DWORD dst_unused:UNUSED_PAD src0_sel:BYTE_3 src1_sel:DWORD
; %bb.1078:                             ;   in Loop: Header=BB6_126 Depth=2
	s_or_b64 exec, exec, s[20:21]
	v_lshrrev_b32_e32 v26, 16, v22
	v_cmp_ne_u16_sdwa s[78:79], v26, v61 src0_sel:BYTE_0 src1_sel:DWORD
	v_mov_b32_e32 v2, 0
	v_mov_b32_e32 v3, 0
	s_and_saveexec_b64 s[20:21], s[78:79]
	s_cbranch_execz .LBB6_1084
; %bb.1079:                             ;   in Loop: Header=BB6_126 Depth=2
	v_cmp_ne_u16_sdwa s[88:89], v26, s52 src0_sel:BYTE_0 src1_sel:DWORD
	v_bfrev_b32_e32 v3, 1
	s_and_saveexec_b64 s[78:79], s[88:89]
	s_cbranch_execz .LBB6_1083
; %bb.1080:                             ;   in Loop: Header=BB6_126 Depth=2
	v_bfe_u32 v6, v22, 16, 7
	v_cmp_ne_u32_e32 vcc, s53, v6
	v_mov_b32_e32 v3, 0x7f800001
	s_and_saveexec_b64 s[88:89], vcc
	s_cbranch_execz .LBB6_1082
; %bb.1081:                             ;   in Loop: Header=BB6_126 Depth=2
	v_and_b32_e32 v3, 7, v26
	v_lshrrev_b32_e32 v8, 3, v6
	v_cmp_gt_u32_e32 vcc, 8, v6
	v_ffbh_u32_e32 v6, v3
	v_min_u32_e32 v9, 32, v6
	v_subrev_u32_e32 v6, 28, v9
	v_lshlrev_b64 v[6:7], v6, v[26:27]
	v_sub_u32_e32 v7, 29, v9
	v_and_b32_e32 v6, 7, v6
	v_cndmask_b32_e32 v7, v8, v7, vcc
	v_cndmask_b32_e32 v3, v3, v6, vcc
	v_lshlrev_b32_e32 v6, 24, v26
	v_lshlrev_b32_e32 v3, 20, v3
	v_and_b32_e32 v6, 0x80000000, v6
	v_lshl_add_u32 v7, v7, 23, v62
	v_or3_b32 v3, v6, v7, v3
.LBB6_1082:                             ;   in Loop: Header=BB6_126 Depth=2
	s_or_b64 exec, exec, s[88:89]
.LBB6_1083:                             ;   in Loop: Header=BB6_126 Depth=2
	s_or_b64 exec, exec, s[78:79]
.LBB6_1084:                             ;   in Loop: Header=BB6_126 Depth=2
	s_or_b64 exec, exec, s[20:21]
	v_lshrrev_b32_e32 v26, 16, v18
	v_cmp_ne_u16_sdwa s[78:79], v26, v61 src0_sel:BYTE_0 src1_sel:DWORD
	s_and_saveexec_b64 s[20:21], s[78:79]
	s_cbranch_execz .LBB6_1090
; %bb.1085:                             ;   in Loop: Header=BB6_126 Depth=2
	v_cmp_ne_u16_sdwa s[88:89], v26, s52 src0_sel:BYTE_0 src1_sel:DWORD
	v_bfrev_b32_e32 v2, 1
	s_and_saveexec_b64 s[78:79], s[88:89]
	s_cbranch_execz .LBB6_1089
; %bb.1086:                             ;   in Loop: Header=BB6_126 Depth=2
	v_bfe_u32 v6, v18, 16, 7
	v_cmp_ne_u32_e32 vcc, s53, v6
	v_mov_b32_e32 v2, 0x7f800001
	s_and_saveexec_b64 s[88:89], vcc
	s_cbranch_execz .LBB6_1088
; %bb.1087:                             ;   in Loop: Header=BB6_126 Depth=2
	v_and_b32_e32 v2, 7, v26
	v_lshrrev_b32_e32 v8, 3, v6
	v_cmp_gt_u32_e32 vcc, 8, v6
	v_ffbh_u32_e32 v6, v2
	v_min_u32_e32 v9, 32, v6
	v_subrev_u32_e32 v6, 28, v9
	v_lshlrev_b64 v[6:7], v6, v[26:27]
	v_sub_u32_e32 v7, 29, v9
	v_and_b32_e32 v6, 7, v6
	v_cndmask_b32_e32 v7, v8, v7, vcc
	v_cndmask_b32_e32 v2, v2, v6, vcc
	v_lshlrev_b32_e32 v6, 8, v18
	v_lshlrev_b32_e32 v2, 20, v2
	v_and_b32_e32 v6, 0x80000000, v6
	v_lshl_add_u32 v7, v7, 23, v62
	v_or3_b32 v2, v6, v7, v2
.LBB6_1088:                             ;   in Loop: Header=BB6_126 Depth=2
	s_or_b64 exec, exec, s[88:89]
.LBB6_1089:                             ;   in Loop: Header=BB6_126 Depth=2
	s_or_b64 exec, exec, s[78:79]
.LBB6_1090:                             ;   in Loop: Header=BB6_126 Depth=2
	s_or_b64 exec, exec, s[20:21]
	v_add_f32_e32 v3, v3, v2
	v_and_b32_e32 v60, 0x7f800000, v3
	v_cmp_ne_u64_e32 vcc, s[56:57], v[60:61]
                                        ; implicit-def: $vgpr35
	s_and_saveexec_b64 s[20:21], vcc
	s_xor_b64 s[78:79], exec, s[20:21]
	s_cbranch_execz .LBB6_1104
; %bb.1091:                             ;   in Loop: Header=BB6_126 Depth=2
	v_and_b32_e32 v60, 0x7fffffff, v3
	v_cmp_gt_u64_e32 vcc, s[58:59], v[60:61]
	v_and_b32_sdwa v2, v3, s52 dst_sel:DWORD dst_unused:UNUSED_PAD src0_sel:BYTE_3 src1_sel:DWORD
                                        ; implicit-def: $vgpr35
	s_and_saveexec_b64 s[20:21], vcc
	s_xor_b64 s[88:89], exec, s[20:21]
	s_cbranch_execz .LBB6_1101
; %bb.1092:                             ;   in Loop: Header=BB6_126 Depth=2
	v_mov_b32_e32 v35, 0
	v_cmp_ne_u32_e32 vcc, 0, v3
	s_and_saveexec_b64 s[90:91], vcc
	s_cbranch_execz .LBB6_1100
; %bb.1093:                             ;   in Loop: Header=BB6_126 Depth=2
	v_and_b32_e32 v7, 0x7fffff, v3
	v_bfe_u32 v3, v3, 23, 8
	v_cmp_gt_u32_e64 s[20:21], s54, v3
	v_sub_u32_e32 v6, 0x79, v3
	v_cmp_eq_u32_e32 vcc, 0, v3
	v_cndmask_b32_e64 v6, 0, v6, s[20:21]
	v_mov_b32_e32 v9, 0x78
	v_or_b32_e32 v8, 0x800000, v7
	v_cndmask_b32_e32 v6, v6, v9, vcc
	v_cndmask_b32_e32 v60, v8, v7, vcc
	v_add_u32_e32 v7, 20, v6
	v_lshlrev_b64 v[7:8], v7, -1
	v_add_u32_e32 v9, 19, v6
	v_lshlrev_b64 v[26:27], v9, 1
	v_bfi_b32 v8, v8, 0, 0
	v_bfi_b32 v7, v7, 0, v60
	v_cmp_eq_u64_e64 s[20:21], v[7:8], v[26:27]
	v_lshrrev_b64 v[26:27], v6, v[60:61]
	v_mov_b32_e32 v28, v27
	v_mov_b32_e32 v27, v26
	s_and_saveexec_b64 s[92:93], s[20:21]
; %bb.1094:                             ;   in Loop: Header=BB6_126 Depth=2
	v_bfe_u32 v7, v26, 20, 1
	v_add_co_u32_e64 v7, s[20:21], v26, v7
	v_add_co_u32_e64 v27, s[20:21], -1, v7
; %bb.1095:                             ;   in Loop: Header=BB6_126 Depth=2
	s_or_b64 exec, exec, s[92:93]
	v_add_u32_e32 v3, 0xffffff81, v3
	v_mov_b32_e32 v7, 0xffffff82
	v_cndmask_b32_e32 v3, v3, v7, vcc
	v_lshrrev_b32_e32 v7, 23, v26
	v_add3_u32 v7, v6, v3, v7
	v_add_u32_e32 v6, 6, v7
	v_and_b32_e32 v3, 0xfffff, v27
	v_add_u32_e32 v60, v3, v26
	v_cmp_ne_u32_e32 vcc, 0, v6
                                        ; implicit-def: $vgpr26_vgpr27
                                        ; implicit-def: $vgpr3
	s_and_saveexec_b64 s[20:21], vcc
	s_xor_b64 s[20:21], exec, s[20:21]
; %bb.1096:                             ;   in Loop: Header=BB6_126 Depth=2
	v_cmp_lt_u64_e32 vcc, s[60:61], v[60:61]
	v_add_u32_e32 v3, 7, v7
	v_cndmask_b32_e32 v3, v6, v3, vcc
	v_cndmask_b32_e64 v6, 0, 1, vcc
	v_lshrrev_b64 v[26:27], v6, v[60:61]
; %bb.1097:                             ;   in Loop: Header=BB6_126 Depth=2
	s_andn2_saveexec_b64 s[20:21], s[20:21]
; %bb.1098:                             ;   in Loop: Header=BB6_126 Depth=2
	v_mov_b32_e32 v26, v60
	v_bfe_u32 v3, v60, 23, 1
	v_mov_b32_e32 v27, v61
; %bb.1099:                             ;   in Loop: Header=BB6_126 Depth=2
	s_or_b64 exec, exec, s[20:21]
	v_lshrrev_b64 v[6:7], 20, v[26:27]
	v_cmp_gt_i32_e32 vcc, 16, v3
	v_cndmask_b32_e32 v7, 0, v7, vcc
	v_cndmask_b32_e32 v6, 7, v6, vcc
	v_cmp_eq_u32_e32 vcc, 0, v3
	v_min_i32_e32 v3, 15, v3
	v_cmp_eq_u64_e64 s[20:21], 0, v[6:7]
	v_lshlrev_b32_e32 v3, 3, v3
	v_and_b32_e32 v3, 0xf8, v3
	v_and_or_b32 v3, v6, 7, v3
	s_and_b64 s[20:21], vcc, s[20:21]
	v_cndmask_b32_e64 v3, v3, 0, s[20:21]
	v_or_b32_e32 v35, v3, v2
.LBB6_1100:                             ;   in Loop: Header=BB6_126 Depth=2
	s_or_b64 exec, exec, s[90:91]
                                        ; implicit-def: $vgpr2
.LBB6_1101:                             ;   in Loop: Header=BB6_126 Depth=2
	s_andn2_saveexec_b64 s[20:21], s[88:89]
; %bb.1102:                             ;   in Loop: Header=BB6_126 Depth=2
	v_or_b32_e32 v35, 0x7e, v2
; %bb.1103:                             ;   in Loop: Header=BB6_126 Depth=2
	s_or_b64 exec, exec, s[20:21]
                                        ; implicit-def: $vgpr3
.LBB6_1104:                             ;   in Loop: Header=BB6_126 Depth=2
	s_andn2_saveexec_b64 s[20:21], s[78:79]
; %bb.1105:                             ;   in Loop: Header=BB6_126 Depth=2
	v_or_b32_sdwa v35, v3, s53 dst_sel:DWORD dst_unused:UNUSED_PAD src0_sel:BYTE_3 src1_sel:DWORD
; %bb.1106:                             ;   in Loop: Header=BB6_126 Depth=2
	s_or_b64 exec, exec, s[20:21]
	v_cmp_lt_u32_e32 vcc, s63, v22
	v_mov_b32_e32 v2, 0
	v_mov_b32_e32 v3, 0
	s_and_saveexec_b64 s[20:21], vcc
	s_cbranch_execz .LBB6_1112
; %bb.1107:                             ;   in Loop: Header=BB6_126 Depth=2
	v_lshrrev_b32_e32 v26, 24, v22
	v_cmp_ne_u32_e32 vcc, s52, v26
	v_bfrev_b32_e32 v3, 1
	s_and_saveexec_b64 s[78:79], vcc
	s_cbranch_execz .LBB6_1111
; %bb.1108:                             ;   in Loop: Header=BB6_126 Depth=2
	v_bfe_u32 v6, v22, 24, 7
	v_cmp_ne_u32_e32 vcc, s53, v6
	v_mov_b32_e32 v3, 0x7f800001
	s_and_saveexec_b64 s[88:89], vcc
	s_cbranch_execz .LBB6_1110
; %bb.1109:                             ;   in Loop: Header=BB6_126 Depth=2
	v_and_b32_e32 v3, 7, v26
	v_lshrrev_b32_e32 v8, 3, v6
	v_cmp_gt_u32_e32 vcc, 8, v6
	v_ffbh_u32_e32 v6, v3
	v_min_u32_e32 v9, 32, v6
	v_subrev_u32_e32 v6, 28, v9
	v_lshlrev_b64 v[6:7], v6, v[26:27]
	v_sub_u32_e32 v7, 29, v9
	v_and_b32_e32 v6, 7, v6
	v_cndmask_b32_e32 v7, v8, v7, vcc
	v_cndmask_b32_e32 v3, v3, v6, vcc
	v_lshlrev_b32_e32 v6, 24, v26
	v_lshlrev_b32_e32 v3, 20, v3
	v_and_b32_e32 v6, 0x80000000, v6
	v_lshl_add_u32 v7, v7, 23, v62
	v_or3_b32 v3, v6, v7, v3
.LBB6_1110:                             ;   in Loop: Header=BB6_126 Depth=2
	s_or_b64 exec, exec, s[88:89]
.LBB6_1111:                             ;   in Loop: Header=BB6_126 Depth=2
	s_or_b64 exec, exec, s[78:79]
.LBB6_1112:                             ;   in Loop: Header=BB6_126 Depth=2
	s_or_b64 exec, exec, s[20:21]
	v_cmp_lt_u32_e32 vcc, s63, v18
	s_and_saveexec_b64 s[20:21], vcc
	s_cbranch_execz .LBB6_1118
; %bb.1113:                             ;   in Loop: Header=BB6_126 Depth=2
	v_lshrrev_b32_e32 v26, 24, v18
	v_cmp_ne_u32_e32 vcc, s52, v26
	v_bfrev_b32_e32 v2, 1
	s_and_saveexec_b64 s[78:79], vcc
	s_cbranch_execz .LBB6_1117
; %bb.1114:                             ;   in Loop: Header=BB6_126 Depth=2
	v_bfe_u32 v6, v18, 24, 7
	v_cmp_ne_u32_e32 vcc, s53, v6
	v_mov_b32_e32 v2, 0x7f800001
	s_and_saveexec_b64 s[88:89], vcc
	s_cbranch_execz .LBB6_1116
; %bb.1115:                             ;   in Loop: Header=BB6_126 Depth=2
	v_and_b32_e32 v2, 7, v26
	v_lshrrev_b32_e32 v8, 3, v6
	v_cmp_gt_u32_e32 vcc, 8, v6
	v_ffbh_u32_e32 v6, v2
	v_min_u32_e32 v9, 32, v6
	v_subrev_u32_e32 v6, 28, v9
	v_lshlrev_b64 v[6:7], v6, v[26:27]
	v_sub_u32_e32 v7, 29, v9
	v_and_b32_e32 v6, 7, v6
	v_cndmask_b32_e32 v7, v8, v7, vcc
	v_cndmask_b32_e32 v2, v2, v6, vcc
	v_lshlrev_b32_e32 v6, 24, v26
	v_lshlrev_b32_e32 v2, 20, v2
	v_and_b32_e32 v6, 0x80000000, v6
	v_lshl_add_u32 v7, v7, 23, v62
	v_or3_b32 v2, v6, v7, v2
.LBB6_1116:                             ;   in Loop: Header=BB6_126 Depth=2
	s_or_b64 exec, exec, s[88:89]
.LBB6_1117:                             ;   in Loop: Header=BB6_126 Depth=2
	s_or_b64 exec, exec, s[78:79]
.LBB6_1118:                             ;   in Loop: Header=BB6_126 Depth=2
	s_or_b64 exec, exec, s[20:21]
	v_add_f32_e32 v3, v3, v2
	v_and_b32_e32 v60, 0x7f800000, v3
	v_cmp_ne_u64_e32 vcc, s[56:57], v[60:61]
                                        ; implicit-def: $vgpr39
	s_and_saveexec_b64 s[20:21], vcc
	s_xor_b64 s[78:79], exec, s[20:21]
	s_cbranch_execz .LBB6_1132
; %bb.1119:                             ;   in Loop: Header=BB6_126 Depth=2
	v_and_b32_e32 v60, 0x7fffffff, v3
	v_cmp_gt_u64_e32 vcc, s[58:59], v[60:61]
	v_and_b32_sdwa v2, v3, s52 dst_sel:DWORD dst_unused:UNUSED_PAD src0_sel:BYTE_3 src1_sel:DWORD
                                        ; implicit-def: $vgpr39
	s_and_saveexec_b64 s[20:21], vcc
	s_xor_b64 s[88:89], exec, s[20:21]
	s_cbranch_execz .LBB6_1129
; %bb.1120:                             ;   in Loop: Header=BB6_126 Depth=2
	v_mov_b32_e32 v39, 0
	v_cmp_ne_u32_e32 vcc, 0, v3
	s_and_saveexec_b64 s[90:91], vcc
	s_cbranch_execz .LBB6_1128
; %bb.1121:                             ;   in Loop: Header=BB6_126 Depth=2
	v_and_b32_e32 v7, 0x7fffff, v3
	v_bfe_u32 v3, v3, 23, 8
	v_cmp_gt_u32_e64 s[20:21], s54, v3
	v_sub_u32_e32 v6, 0x79, v3
	v_cmp_eq_u32_e32 vcc, 0, v3
	v_cndmask_b32_e64 v6, 0, v6, s[20:21]
	v_mov_b32_e32 v9, 0x78
	v_or_b32_e32 v8, 0x800000, v7
	v_cndmask_b32_e32 v6, v6, v9, vcc
	v_cndmask_b32_e32 v60, v8, v7, vcc
	v_add_u32_e32 v7, 20, v6
	v_lshlrev_b64 v[7:8], v7, -1
	v_add_u32_e32 v9, 19, v6
	v_lshlrev_b64 v[26:27], v9, 1
	v_bfi_b32 v8, v8, 0, 0
	v_bfi_b32 v7, v7, 0, v60
	v_cmp_eq_u64_e64 s[20:21], v[7:8], v[26:27]
	v_lshrrev_b64 v[26:27], v6, v[60:61]
	v_mov_b32_e32 v28, v27
	v_mov_b32_e32 v27, v26
	s_and_saveexec_b64 s[92:93], s[20:21]
; %bb.1122:                             ;   in Loop: Header=BB6_126 Depth=2
	v_bfe_u32 v7, v26, 20, 1
	v_add_co_u32_e64 v7, s[20:21], v26, v7
	v_add_co_u32_e64 v27, s[20:21], -1, v7
; %bb.1123:                             ;   in Loop: Header=BB6_126 Depth=2
	s_or_b64 exec, exec, s[92:93]
	v_add_u32_e32 v3, 0xffffff81, v3
	v_mov_b32_e32 v7, 0xffffff82
	v_cndmask_b32_e32 v3, v3, v7, vcc
	v_lshrrev_b32_e32 v7, 23, v26
	v_add3_u32 v7, v6, v3, v7
	v_add_u32_e32 v6, 6, v7
	v_and_b32_e32 v3, 0xfffff, v27
	v_add_u32_e32 v60, v3, v26
	v_cmp_ne_u32_e32 vcc, 0, v6
                                        ; implicit-def: $vgpr26_vgpr27
                                        ; implicit-def: $vgpr3
	s_and_saveexec_b64 s[20:21], vcc
	s_xor_b64 s[20:21], exec, s[20:21]
; %bb.1124:                             ;   in Loop: Header=BB6_126 Depth=2
	v_cmp_lt_u64_e32 vcc, s[60:61], v[60:61]
	v_add_u32_e32 v3, 7, v7
	v_cndmask_b32_e32 v3, v6, v3, vcc
	v_cndmask_b32_e64 v6, 0, 1, vcc
	v_lshrrev_b64 v[26:27], v6, v[60:61]
; %bb.1125:                             ;   in Loop: Header=BB6_126 Depth=2
	s_andn2_saveexec_b64 s[20:21], s[20:21]
; %bb.1126:                             ;   in Loop: Header=BB6_126 Depth=2
	v_mov_b32_e32 v26, v60
	v_bfe_u32 v3, v60, 23, 1
	v_mov_b32_e32 v27, v61
; %bb.1127:                             ;   in Loop: Header=BB6_126 Depth=2
	s_or_b64 exec, exec, s[20:21]
	v_lshrrev_b64 v[6:7], 20, v[26:27]
	v_cmp_gt_i32_e32 vcc, 16, v3
	v_cndmask_b32_e32 v7, 0, v7, vcc
	v_cndmask_b32_e32 v6, 7, v6, vcc
	v_cmp_eq_u32_e32 vcc, 0, v3
	v_min_i32_e32 v3, 15, v3
	v_cmp_eq_u64_e64 s[20:21], 0, v[6:7]
	v_lshlrev_b32_e32 v3, 3, v3
	v_and_b32_e32 v3, 0xf8, v3
	v_and_or_b32 v3, v6, 7, v3
	s_and_b64 s[20:21], vcc, s[20:21]
	v_cndmask_b32_e64 v3, v3, 0, s[20:21]
	v_or_b32_e32 v39, v3, v2
.LBB6_1128:                             ;   in Loop: Header=BB6_126 Depth=2
	s_or_b64 exec, exec, s[90:91]
                                        ; implicit-def: $vgpr2
.LBB6_1129:                             ;   in Loop: Header=BB6_126 Depth=2
	s_andn2_saveexec_b64 s[20:21], s[88:89]
; %bb.1130:                             ;   in Loop: Header=BB6_126 Depth=2
	v_or_b32_e32 v39, 0x7e, v2
; %bb.1131:                             ;   in Loop: Header=BB6_126 Depth=2
	s_or_b64 exec, exec, s[20:21]
                                        ; implicit-def: $vgpr3
.LBB6_1132:                             ;   in Loop: Header=BB6_126 Depth=2
	s_andn2_saveexec_b64 s[20:21], s[78:79]
; %bb.1133:                             ;   in Loop: Header=BB6_126 Depth=2
	v_or_b32_sdwa v39, v3, s53 dst_sel:DWORD dst_unused:UNUSED_PAD src0_sel:BYTE_3 src1_sel:DWORD
; %bb.1134:                             ;   in Loop: Header=BB6_126 Depth=2
	s_or_b64 exec, exec, s[20:21]
	v_mov_b32_e32 v60, v23
	v_cmp_ne_u16_sdwa s[78:79], v23, v61 src0_sel:BYTE_0 src1_sel:DWORD
	v_mov_b32_e32 v3, 0
	v_mov_b32_e32 v2, 0
	s_and_saveexec_b64 s[20:21], s[78:79]
	s_cbranch_execz .LBB6_1140
; %bb.1135:                             ;   in Loop: Header=BB6_126 Depth=2
	v_cmp_ne_u16_sdwa s[88:89], v23, s52 src0_sel:BYTE_0 src1_sel:DWORD
	v_bfrev_b32_e32 v2, 1
	s_and_saveexec_b64 s[78:79], s[88:89]
	s_cbranch_execz .LBB6_1139
; %bb.1136:                             ;   in Loop: Header=BB6_126 Depth=2
	v_and_b32_e32 v6, 0x7f, v23
	v_cmp_ne_u32_e32 vcc, s53, v6
	v_mov_b32_e32 v2, 0x7f800001
	s_and_saveexec_b64 s[88:89], vcc
	s_cbranch_execz .LBB6_1138
; %bb.1137:                             ;   in Loop: Header=BB6_126 Depth=2
	v_and_b32_e32 v2, 7, v23
	v_ffbh_u32_e32 v2, v2
	v_min_u32_e32 v2, 32, v2
	v_lshrrev_b32_e32 v7, 3, v6
	v_cmp_gt_u32_e32 vcc, 8, v6
	v_subrev_u32_e32 v6, 28, v2
	v_sub_u32_e32 v2, 29, v2
	v_cndmask_b32_e32 v6, 0, v6, vcc
	v_cndmask_b32_e32 v2, v7, v2, vcc
	v_lshlrev_b64 v[6:7], v6, v[60:61]
	v_lshlrev_b32_e32 v7, 24, v60
	v_lshlrev_b32_e32 v6, 20, v6
	v_and_b32_e32 v6, 0x700000, v6
	v_and_b32_e32 v7, 0x80000000, v7
	v_lshl_add_u32 v2, v2, 23, v62
	v_or3_b32 v2, v7, v2, v6
.LBB6_1138:                             ;   in Loop: Header=BB6_126 Depth=2
	s_or_b64 exec, exec, s[88:89]
.LBB6_1139:                             ;   in Loop: Header=BB6_126 Depth=2
	s_or_b64 exec, exec, s[78:79]
.LBB6_1140:                             ;   in Loop: Header=BB6_126 Depth=2
	s_or_b64 exec, exec, s[20:21]
	v_cmp_ne_u16_sdwa s[78:79], v19, v61 src0_sel:BYTE_0 src1_sel:DWORD
	s_and_saveexec_b64 s[20:21], s[78:79]
	s_cbranch_execz .LBB6_1146
; %bb.1141:                             ;   in Loop: Header=BB6_126 Depth=2
	v_cmp_ne_u16_sdwa s[88:89], v19, s52 src0_sel:BYTE_0 src1_sel:DWORD
	v_bfrev_b32_e32 v3, 1
	s_and_saveexec_b64 s[78:79], s[88:89]
	s_cbranch_execz .LBB6_1145
; %bb.1142:                             ;   in Loop: Header=BB6_126 Depth=2
	v_and_b32_e32 v6, 0x7f, v19
	v_cmp_ne_u32_e32 vcc, s53, v6
	v_mov_b32_e32 v3, 0x7f800001
	s_and_saveexec_b64 s[88:89], vcc
	s_cbranch_execz .LBB6_1144
; %bb.1143:                             ;   in Loop: Header=BB6_126 Depth=2
	v_and_b32_e32 v3, 7, v19
	v_ffbh_u32_e32 v3, v3
	v_min_u32_e32 v3, 32, v3
	v_lshrrev_b32_e32 v9, 3, v6
	v_cmp_gt_u32_e32 vcc, 8, v6
	v_subrev_u32_e32 v6, 28, v3
	v_mov_b32_e32 v7, v19
	v_mov_b32_e32 v8, v61
	v_sub_u32_e32 v3, 29, v3
	v_cndmask_b32_e32 v6, 0, v6, vcc
	v_cndmask_b32_e32 v3, v9, v3, vcc
	v_lshlrev_b64 v[8:9], v6, v[7:8]
	v_lshlrev_b32_e32 v7, 24, v7
	v_lshlrev_b32_e32 v6, 20, v8
	v_and_b32_e32 v6, 0x700000, v6
	v_and_b32_e32 v7, 0x80000000, v7
	v_lshl_add_u32 v3, v3, 23, v62
	v_or3_b32 v3, v7, v3, v6
.LBB6_1144:                             ;   in Loop: Header=BB6_126 Depth=2
	s_or_b64 exec, exec, s[88:89]
.LBB6_1145:                             ;   in Loop: Header=BB6_126 Depth=2
	s_or_b64 exec, exec, s[78:79]
.LBB6_1146:                             ;   in Loop: Header=BB6_126 Depth=2
	s_or_b64 exec, exec, s[20:21]
	v_add_f32_e32 v3, v2, v3
	v_and_b32_e32 v6, 0x7f800000, v3
	v_mov_b32_e32 v7, v61
	v_cmp_ne_u64_e32 vcc, s[56:57], v[6:7]
                                        ; implicit-def: $vgpr44
	s_and_saveexec_b64 s[20:21], vcc
	s_xor_b64 s[78:79], exec, s[20:21]
	s_cbranch_execz .LBB6_1160
; %bb.1147:                             ;   in Loop: Header=BB6_126 Depth=2
	v_and_b32_e32 v6, 0x7fffffff, v3
	v_mov_b32_e32 v7, v61
	v_cmp_gt_u64_e32 vcc, s[58:59], v[6:7]
	v_and_b32_sdwa v2, v3, s52 dst_sel:DWORD dst_unused:UNUSED_PAD src0_sel:BYTE_3 src1_sel:DWORD
                                        ; implicit-def: $vgpr44
	s_and_saveexec_b64 s[20:21], vcc
	s_xor_b64 s[88:89], exec, s[20:21]
	s_cbranch_execz .LBB6_1157
; %bb.1148:                             ;   in Loop: Header=BB6_126 Depth=2
	v_mov_b32_e32 v44, 0
	v_cmp_ne_u32_e32 vcc, 0, v3
	s_and_saveexec_b64 s[90:91], vcc
	s_cbranch_execz .LBB6_1156
; %bb.1149:                             ;   in Loop: Header=BB6_126 Depth=2
	v_and_b32_e32 v7, 0x7fffff, v3
	v_bfe_u32 v3, v3, 23, 8
	v_cmp_gt_u32_e64 s[20:21], s54, v3
	v_sub_u32_e32 v6, 0x79, v3
	v_cmp_eq_u32_e32 vcc, 0, v3
	v_cndmask_b32_e64 v6, 0, v6, s[20:21]
	v_mov_b32_e32 v9, 0x78
	v_cndmask_b32_e32 v6, v6, v9, vcc
	v_add_u32_e32 v9, 20, v6
	v_or_b32_e32 v8, 0x800000, v7
	v_lshlrev_b64 v[26:27], v9, -1
	v_add_u32_e32 v9, 19, v6
	v_cndmask_b32_e32 v7, v8, v7, vcc
	v_lshlrev_b64 v[32:33], v9, 1
	v_mov_b32_e32 v8, v61
	v_bfi_b32 v27, v27, 0, 0
	v_bfi_b32 v26, v26, 0, v7
	v_cmp_eq_u64_e64 s[20:21], v[26:27], v[32:33]
	v_lshrrev_b64 v[26:27], v6, v[7:8]
	v_mov_b32_e32 v28, v27
	v_mov_b32_e32 v27, v26
	s_and_saveexec_b64 s[92:93], s[20:21]
; %bb.1150:                             ;   in Loop: Header=BB6_126 Depth=2
	v_bfe_u32 v7, v26, 20, 1
	v_add_co_u32_e64 v7, s[20:21], v26, v7
	v_add_co_u32_e64 v27, s[20:21], -1, v7
; %bb.1151:                             ;   in Loop: Header=BB6_126 Depth=2
	s_or_b64 exec, exec, s[92:93]
	v_add_u32_e32 v3, 0xffffff81, v3
	v_mov_b32_e32 v7, 0xffffff82
	v_cndmask_b32_e32 v3, v3, v7, vcc
	v_lshrrev_b32_e32 v7, 23, v26
	v_add3_u32 v7, v6, v3, v7
	v_add_u32_e32 v6, 6, v7
	v_and_b32_e32 v3, 0xfffff, v27
	v_add_u32_e32 v26, v3, v26
	v_mov_b32_e32 v27, v61
	v_cmp_ne_u32_e32 vcc, 0, v6
                                        ; implicit-def: $vgpr3
	s_and_saveexec_b64 s[20:21], vcc
	s_xor_b64 s[20:21], exec, s[20:21]
; %bb.1152:                             ;   in Loop: Header=BB6_126 Depth=2
	v_cmp_lt_u64_e32 vcc, s[60:61], v[26:27]
	v_add_u32_e32 v3, 7, v7
	v_cndmask_b32_e32 v3, v6, v3, vcc
	v_cndmask_b32_e64 v6, 0, 1, vcc
	v_lshrrev_b64 v[26:27], v6, v[26:27]
; %bb.1153:                             ;   in Loop: Header=BB6_126 Depth=2
	s_andn2_saveexec_b64 s[20:21], s[20:21]
; %bb.1154:                             ;   in Loop: Header=BB6_126 Depth=2
	v_bfe_u32 v3, v26, 23, 1
; %bb.1155:                             ;   in Loop: Header=BB6_126 Depth=2
	s_or_b64 exec, exec, s[20:21]
	v_lshrrev_b64 v[6:7], 20, v[26:27]
	v_cmp_gt_i32_e32 vcc, 16, v3
	v_cndmask_b32_e32 v7, 0, v7, vcc
	v_cndmask_b32_e32 v6, 7, v6, vcc
	v_cmp_eq_u32_e32 vcc, 0, v3
	v_min_i32_e32 v3, 15, v3
	v_cmp_eq_u64_e64 s[20:21], 0, v[6:7]
	v_lshlrev_b32_e32 v3, 3, v3
	v_and_b32_e32 v3, 0xf8, v3
	v_and_or_b32 v3, v6, 7, v3
	s_and_b64 s[20:21], vcc, s[20:21]
	v_cndmask_b32_e64 v3, v3, 0, s[20:21]
	v_or_b32_e32 v44, v3, v2
.LBB6_1156:                             ;   in Loop: Header=BB6_126 Depth=2
	s_or_b64 exec, exec, s[90:91]
                                        ; implicit-def: $vgpr2
.LBB6_1157:                             ;   in Loop: Header=BB6_126 Depth=2
	s_andn2_saveexec_b64 s[20:21], s[88:89]
; %bb.1158:                             ;   in Loop: Header=BB6_126 Depth=2
	v_or_b32_e32 v44, 0x7e, v2
; %bb.1159:                             ;   in Loop: Header=BB6_126 Depth=2
	s_or_b64 exec, exec, s[20:21]
                                        ; implicit-def: $vgpr3
.LBB6_1160:                             ;   in Loop: Header=BB6_126 Depth=2
	s_andn2_saveexec_b64 s[20:21], s[78:79]
; %bb.1161:                             ;   in Loop: Header=BB6_126 Depth=2
	v_or_b32_sdwa v44, v3, s53 dst_sel:DWORD dst_unused:UNUSED_PAD src0_sel:BYTE_3 src1_sel:DWORD
; %bb.1162:                             ;   in Loop: Header=BB6_126 Depth=2
	s_or_b64 exec, exec, s[20:21]
	v_lshrrev_b16_e32 v26, 8, v60
	v_cmp_ne_u16_e32 vcc, 0, v26
	v_mov_b32_e32 v2, 0
	v_mov_b32_e32 v3, 0
	s_and_saveexec_b64 s[20:21], vcc
	s_cbranch_execz .LBB6_1168
; %bb.1163:                             ;   in Loop: Header=BB6_126 Depth=2
	v_cmp_ne_u16_e32 vcc, s52, v26
	v_bfrev_b32_e32 v3, 1
	s_and_saveexec_b64 s[78:79], vcc
	s_cbranch_execz .LBB6_1167
; %bb.1164:                             ;   in Loop: Header=BB6_126 Depth=2
	v_and_b32_e32 v6, 0x7f, v26
	v_cmp_ne_u32_e32 vcc, s53, v6
	v_mov_b32_e32 v3, 0x7f800001
	s_and_saveexec_b64 s[88:89], vcc
	s_cbranch_execz .LBB6_1166
; %bb.1165:                             ;   in Loop: Header=BB6_126 Depth=2
	v_and_b32_e32 v3, 7, v26
	v_lshrrev_b32_e32 v8, 3, v6
	v_cmp_gt_u32_e32 vcc, 8, v6
	v_ffbh_u32_e32 v6, v3
	v_min_u32_e32 v9, 32, v6
	v_subrev_u32_e32 v6, 28, v9
	v_lshlrev_b64 v[6:7], v6, v[26:27]
	v_sub_u32_e32 v7, 29, v9
	v_and_b32_e32 v6, 7, v6
	v_cndmask_b32_e32 v7, v8, v7, vcc
	v_cndmask_b32_e32 v3, v3, v6, vcc
	v_lshlrev_b32_e32 v6, 16, v60
	v_lshlrev_b32_e32 v3, 20, v3
	v_and_b32_e32 v6, 0x80000000, v6
	v_lshl_add_u32 v7, v7, 23, v62
	v_or3_b32 v3, v6, v7, v3
.LBB6_1166:                             ;   in Loop: Header=BB6_126 Depth=2
	s_or_b64 exec, exec, s[88:89]
.LBB6_1167:                             ;   in Loop: Header=BB6_126 Depth=2
	s_or_b64 exec, exec, s[78:79]
.LBB6_1168:                             ;   in Loop: Header=BB6_126 Depth=2
	s_or_b64 exec, exec, s[20:21]
	v_lshrrev_b16_e32 v26, 8, v19
	v_cmp_ne_u16_e32 vcc, 0, v26
	s_and_saveexec_b64 s[20:21], vcc
	s_cbranch_execz .LBB6_1174
; %bb.1169:                             ;   in Loop: Header=BB6_126 Depth=2
	v_cmp_ne_u16_e32 vcc, s52, v26
	v_bfrev_b32_e32 v2, 1
	s_and_saveexec_b64 s[78:79], vcc
	s_cbranch_execz .LBB6_1173
; %bb.1170:                             ;   in Loop: Header=BB6_126 Depth=2
	v_and_b32_e32 v6, 0x7f, v26
	v_cmp_ne_u32_e32 vcc, s53, v6
	v_mov_b32_e32 v2, 0x7f800001
	s_and_saveexec_b64 s[88:89], vcc
	s_cbranch_execz .LBB6_1172
; %bb.1171:                             ;   in Loop: Header=BB6_126 Depth=2
	v_and_b32_e32 v2, 7, v26
	v_lshrrev_b32_e32 v8, 3, v6
	v_cmp_gt_u32_e32 vcc, 8, v6
	v_ffbh_u32_e32 v6, v2
	v_min_u32_e32 v9, 32, v6
	v_subrev_u32_e32 v6, 28, v9
	v_lshlrev_b64 v[6:7], v6, v[26:27]
	v_sub_u32_e32 v7, 29, v9
	v_and_b32_e32 v6, 7, v6
	v_cndmask_b32_e32 v7, v8, v7, vcc
	v_cndmask_b32_e32 v2, v2, v6, vcc
	v_lshlrev_b32_e32 v6, 16, v19
	v_lshlrev_b32_e32 v2, 20, v2
	v_and_b32_e32 v6, 0x80000000, v6
	v_lshl_add_u32 v7, v7, 23, v62
	v_or3_b32 v2, v6, v7, v2
.LBB6_1172:                             ;   in Loop: Header=BB6_126 Depth=2
	s_or_b64 exec, exec, s[88:89]
.LBB6_1173:                             ;   in Loop: Header=BB6_126 Depth=2
	s_or_b64 exec, exec, s[78:79]
.LBB6_1174:                             ;   in Loop: Header=BB6_126 Depth=2
	s_or_b64 exec, exec, s[20:21]
	v_add_f32_e32 v3, v3, v2
	v_and_b32_e32 v60, 0x7f800000, v3
	v_cmp_ne_u64_e32 vcc, s[56:57], v[60:61]
                                        ; implicit-def: $vgpr45
	s_and_saveexec_b64 s[20:21], vcc
	s_xor_b64 s[78:79], exec, s[20:21]
	s_cbranch_execz .LBB6_1188
; %bb.1175:                             ;   in Loop: Header=BB6_126 Depth=2
	v_and_b32_e32 v60, 0x7fffffff, v3
	v_cmp_gt_u64_e32 vcc, s[58:59], v[60:61]
	v_and_b32_sdwa v2, v3, s52 dst_sel:DWORD dst_unused:UNUSED_PAD src0_sel:BYTE_3 src1_sel:DWORD
                                        ; implicit-def: $vgpr45
	s_and_saveexec_b64 s[20:21], vcc
	s_xor_b64 s[88:89], exec, s[20:21]
	s_cbranch_execz .LBB6_1185
; %bb.1176:                             ;   in Loop: Header=BB6_126 Depth=2
	v_mov_b32_e32 v45, 0
	v_cmp_ne_u32_e32 vcc, 0, v3
	s_and_saveexec_b64 s[90:91], vcc
	s_cbranch_execz .LBB6_1184
; %bb.1177:                             ;   in Loop: Header=BB6_126 Depth=2
	v_and_b32_e32 v7, 0x7fffff, v3
	v_bfe_u32 v3, v3, 23, 8
	v_cmp_gt_u32_e64 s[20:21], s54, v3
	v_sub_u32_e32 v6, 0x79, v3
	v_cmp_eq_u32_e32 vcc, 0, v3
	v_cndmask_b32_e64 v6, 0, v6, s[20:21]
	v_mov_b32_e32 v9, 0x78
	v_or_b32_e32 v8, 0x800000, v7
	v_cndmask_b32_e32 v6, v6, v9, vcc
	v_cndmask_b32_e32 v60, v8, v7, vcc
	v_add_u32_e32 v7, 20, v6
	v_lshlrev_b64 v[7:8], v7, -1
	v_add_u32_e32 v9, 19, v6
	v_lshlrev_b64 v[26:27], v9, 1
	v_bfi_b32 v8, v8, 0, 0
	v_bfi_b32 v7, v7, 0, v60
	v_cmp_eq_u64_e64 s[20:21], v[7:8], v[26:27]
	v_lshrrev_b64 v[26:27], v6, v[60:61]
	v_mov_b32_e32 v28, v27
	v_mov_b32_e32 v27, v26
	s_and_saveexec_b64 s[92:93], s[20:21]
; %bb.1178:                             ;   in Loop: Header=BB6_126 Depth=2
	v_bfe_u32 v7, v26, 20, 1
	v_add_co_u32_e64 v7, s[20:21], v26, v7
	v_add_co_u32_e64 v27, s[20:21], -1, v7
; %bb.1179:                             ;   in Loop: Header=BB6_126 Depth=2
	s_or_b64 exec, exec, s[92:93]
	v_add_u32_e32 v3, 0xffffff81, v3
	v_mov_b32_e32 v7, 0xffffff82
	v_cndmask_b32_e32 v3, v3, v7, vcc
	v_lshrrev_b32_e32 v7, 23, v26
	v_add3_u32 v7, v6, v3, v7
	v_add_u32_e32 v6, 6, v7
	v_and_b32_e32 v3, 0xfffff, v27
	v_add_u32_e32 v60, v3, v26
	v_cmp_ne_u32_e32 vcc, 0, v6
                                        ; implicit-def: $vgpr26_vgpr27
                                        ; implicit-def: $vgpr3
	s_and_saveexec_b64 s[20:21], vcc
	s_xor_b64 s[20:21], exec, s[20:21]
; %bb.1180:                             ;   in Loop: Header=BB6_126 Depth=2
	v_cmp_lt_u64_e32 vcc, s[60:61], v[60:61]
	v_add_u32_e32 v3, 7, v7
	v_cndmask_b32_e32 v3, v6, v3, vcc
	v_cndmask_b32_e64 v6, 0, 1, vcc
	v_lshrrev_b64 v[26:27], v6, v[60:61]
; %bb.1181:                             ;   in Loop: Header=BB6_126 Depth=2
	s_andn2_saveexec_b64 s[20:21], s[20:21]
; %bb.1182:                             ;   in Loop: Header=BB6_126 Depth=2
	v_mov_b32_e32 v26, v60
	v_bfe_u32 v3, v60, 23, 1
	v_mov_b32_e32 v27, v61
; %bb.1183:                             ;   in Loop: Header=BB6_126 Depth=2
	s_or_b64 exec, exec, s[20:21]
	v_lshrrev_b64 v[6:7], 20, v[26:27]
	v_cmp_gt_i32_e32 vcc, 16, v3
	v_cndmask_b32_e32 v7, 0, v7, vcc
	v_cndmask_b32_e32 v6, 7, v6, vcc
	v_cmp_eq_u32_e32 vcc, 0, v3
	v_min_i32_e32 v3, 15, v3
	v_cmp_eq_u64_e64 s[20:21], 0, v[6:7]
	v_lshlrev_b32_e32 v3, 3, v3
	v_and_b32_e32 v3, 0xf8, v3
	v_and_or_b32 v3, v6, 7, v3
	s_and_b64 s[20:21], vcc, s[20:21]
	v_cndmask_b32_e64 v3, v3, 0, s[20:21]
	v_or_b32_e32 v45, v3, v2
.LBB6_1184:                             ;   in Loop: Header=BB6_126 Depth=2
	s_or_b64 exec, exec, s[90:91]
                                        ; implicit-def: $vgpr2
.LBB6_1185:                             ;   in Loop: Header=BB6_126 Depth=2
	s_andn2_saveexec_b64 s[20:21], s[88:89]
; %bb.1186:                             ;   in Loop: Header=BB6_126 Depth=2
	v_or_b32_e32 v45, 0x7e, v2
; %bb.1187:                             ;   in Loop: Header=BB6_126 Depth=2
	s_or_b64 exec, exec, s[20:21]
                                        ; implicit-def: $vgpr3
.LBB6_1188:                             ;   in Loop: Header=BB6_126 Depth=2
	s_andn2_saveexec_b64 s[20:21], s[78:79]
; %bb.1189:                             ;   in Loop: Header=BB6_126 Depth=2
	v_or_b32_sdwa v45, v3, s53 dst_sel:DWORD dst_unused:UNUSED_PAD src0_sel:BYTE_3 src1_sel:DWORD
; %bb.1190:                             ;   in Loop: Header=BB6_126 Depth=2
	s_or_b64 exec, exec, s[20:21]
	v_lshrrev_b32_e32 v26, 16, v23
	v_cmp_ne_u16_sdwa s[78:79], v26, v61 src0_sel:BYTE_0 src1_sel:DWORD
	v_mov_b32_e32 v2, 0
	v_mov_b32_e32 v3, 0
	s_and_saveexec_b64 s[20:21], s[78:79]
	s_cbranch_execz .LBB6_1196
; %bb.1191:                             ;   in Loop: Header=BB6_126 Depth=2
	v_cmp_ne_u16_sdwa s[88:89], v26, s52 src0_sel:BYTE_0 src1_sel:DWORD
	v_bfrev_b32_e32 v3, 1
	s_and_saveexec_b64 s[78:79], s[88:89]
	s_cbranch_execz .LBB6_1195
; %bb.1192:                             ;   in Loop: Header=BB6_126 Depth=2
	v_bfe_u32 v6, v23, 16, 7
	v_cmp_ne_u32_e32 vcc, s53, v6
	v_mov_b32_e32 v3, 0x7f800001
	s_and_saveexec_b64 s[88:89], vcc
	s_cbranch_execz .LBB6_1194
; %bb.1193:                             ;   in Loop: Header=BB6_126 Depth=2
	v_and_b32_e32 v3, 7, v26
	v_lshrrev_b32_e32 v8, 3, v6
	v_cmp_gt_u32_e32 vcc, 8, v6
	v_ffbh_u32_e32 v6, v3
	v_min_u32_e32 v9, 32, v6
	v_subrev_u32_e32 v6, 28, v9
	v_lshlrev_b64 v[6:7], v6, v[26:27]
	v_sub_u32_e32 v7, 29, v9
	v_and_b32_e32 v6, 7, v6
	v_cndmask_b32_e32 v7, v8, v7, vcc
	v_cndmask_b32_e32 v3, v3, v6, vcc
	v_lshlrev_b32_e32 v6, 24, v26
	v_lshlrev_b32_e32 v3, 20, v3
	v_and_b32_e32 v6, 0x80000000, v6
	v_lshl_add_u32 v7, v7, 23, v62
	v_or3_b32 v3, v6, v7, v3
.LBB6_1194:                             ;   in Loop: Header=BB6_126 Depth=2
	s_or_b64 exec, exec, s[88:89]
.LBB6_1195:                             ;   in Loop: Header=BB6_126 Depth=2
	s_or_b64 exec, exec, s[78:79]
.LBB6_1196:                             ;   in Loop: Header=BB6_126 Depth=2
	s_or_b64 exec, exec, s[20:21]
	v_lshrrev_b32_e32 v26, 16, v19
	v_cmp_ne_u16_sdwa s[78:79], v26, v61 src0_sel:BYTE_0 src1_sel:DWORD
	s_and_saveexec_b64 s[20:21], s[78:79]
	s_cbranch_execz .LBB6_1202
; %bb.1197:                             ;   in Loop: Header=BB6_126 Depth=2
	v_cmp_ne_u16_sdwa s[88:89], v26, s52 src0_sel:BYTE_0 src1_sel:DWORD
	v_bfrev_b32_e32 v2, 1
	s_and_saveexec_b64 s[78:79], s[88:89]
	s_cbranch_execz .LBB6_1201
; %bb.1198:                             ;   in Loop: Header=BB6_126 Depth=2
	v_bfe_u32 v6, v19, 16, 7
	v_cmp_ne_u32_e32 vcc, s53, v6
	v_mov_b32_e32 v2, 0x7f800001
	s_and_saveexec_b64 s[88:89], vcc
	s_cbranch_execz .LBB6_1200
; %bb.1199:                             ;   in Loop: Header=BB6_126 Depth=2
	v_and_b32_e32 v2, 7, v26
	v_lshrrev_b32_e32 v8, 3, v6
	v_cmp_gt_u32_e32 vcc, 8, v6
	v_ffbh_u32_e32 v6, v2
	v_min_u32_e32 v9, 32, v6
	v_subrev_u32_e32 v6, 28, v9
	v_lshlrev_b64 v[6:7], v6, v[26:27]
	v_sub_u32_e32 v7, 29, v9
	v_and_b32_e32 v6, 7, v6
	v_cndmask_b32_e32 v7, v8, v7, vcc
	v_cndmask_b32_e32 v2, v2, v6, vcc
	v_lshlrev_b32_e32 v6, 8, v19
	v_lshlrev_b32_e32 v2, 20, v2
	v_and_b32_e32 v6, 0x80000000, v6
	v_lshl_add_u32 v7, v7, 23, v62
	v_or3_b32 v2, v6, v7, v2
.LBB6_1200:                             ;   in Loop: Header=BB6_126 Depth=2
	s_or_b64 exec, exec, s[88:89]
.LBB6_1201:                             ;   in Loop: Header=BB6_126 Depth=2
	s_or_b64 exec, exec, s[78:79]
.LBB6_1202:                             ;   in Loop: Header=BB6_126 Depth=2
	s_or_b64 exec, exec, s[20:21]
	v_add_f32_e32 v3, v3, v2
	v_and_b32_e32 v60, 0x7f800000, v3
	v_cmp_ne_u64_e32 vcc, s[56:57], v[60:61]
                                        ; implicit-def: $vgpr26
	s_and_saveexec_b64 s[20:21], vcc
	s_xor_b64 s[78:79], exec, s[20:21]
	s_cbranch_execz .LBB6_1216
; %bb.1203:                             ;   in Loop: Header=BB6_126 Depth=2
	v_and_b32_e32 v60, 0x7fffffff, v3
	v_cmp_gt_u64_e32 vcc, s[58:59], v[60:61]
	v_and_b32_sdwa v2, v3, s52 dst_sel:DWORD dst_unused:UNUSED_PAD src0_sel:BYTE_3 src1_sel:DWORD
                                        ; implicit-def: $vgpr26
	s_and_saveexec_b64 s[20:21], vcc
	s_xor_b64 s[88:89], exec, s[20:21]
	s_cbranch_execz .LBB6_1213
; %bb.1204:                             ;   in Loop: Header=BB6_126 Depth=2
	v_mov_b32_e32 v26, 0
	v_cmp_ne_u32_e32 vcc, 0, v3
	s_and_saveexec_b64 s[90:91], vcc
	s_cbranch_execz .LBB6_1212
; %bb.1205:                             ;   in Loop: Header=BB6_126 Depth=2
	v_and_b32_e32 v7, 0x7fffff, v3
	v_bfe_u32 v3, v3, 23, 8
	v_cmp_gt_u32_e64 s[20:21], s54, v3
	v_sub_u32_e32 v6, 0x79, v3
	v_cmp_eq_u32_e32 vcc, 0, v3
	v_cndmask_b32_e64 v6, 0, v6, s[20:21]
	v_mov_b32_e32 v9, 0x78
	v_or_b32_e32 v8, 0x800000, v7
	v_cndmask_b32_e32 v6, v6, v9, vcc
	v_cndmask_b32_e32 v60, v8, v7, vcc
	v_add_u32_e32 v7, 20, v6
	v_lshlrev_b64 v[7:8], v7, -1
	v_add_u32_e32 v9, 19, v6
	v_lshlrev_b64 v[26:27], v9, 1
	v_bfi_b32 v8, v8, 0, 0
	v_bfi_b32 v7, v7, 0, v60
	v_cmp_eq_u64_e64 s[20:21], v[7:8], v[26:27]
	v_lshrrev_b64 v[26:27], v6, v[60:61]
	v_mov_b32_e32 v28, v27
	v_mov_b32_e32 v27, v26
	s_and_saveexec_b64 s[92:93], s[20:21]
; %bb.1206:                             ;   in Loop: Header=BB6_126 Depth=2
	v_bfe_u32 v7, v26, 20, 1
	v_add_co_u32_e64 v7, s[20:21], v26, v7
	v_add_co_u32_e64 v27, s[20:21], -1, v7
; %bb.1207:                             ;   in Loop: Header=BB6_126 Depth=2
	s_or_b64 exec, exec, s[92:93]
	v_add_u32_e32 v3, 0xffffff81, v3
	v_mov_b32_e32 v7, 0xffffff82
	v_cndmask_b32_e32 v3, v3, v7, vcc
	v_lshrrev_b32_e32 v7, 23, v26
	v_add3_u32 v7, v6, v3, v7
	v_add_u32_e32 v6, 6, v7
	v_and_b32_e32 v3, 0xfffff, v27
	v_add_u32_e32 v60, v3, v26
	v_cmp_ne_u32_e32 vcc, 0, v6
                                        ; implicit-def: $vgpr26_vgpr27
                                        ; implicit-def: $vgpr3
	s_and_saveexec_b64 s[20:21], vcc
	s_xor_b64 s[20:21], exec, s[20:21]
; %bb.1208:                             ;   in Loop: Header=BB6_126 Depth=2
	v_cmp_lt_u64_e32 vcc, s[60:61], v[60:61]
	v_add_u32_e32 v3, 7, v7
	v_cndmask_b32_e32 v3, v6, v3, vcc
	v_cndmask_b32_e64 v6, 0, 1, vcc
	v_lshrrev_b64 v[26:27], v6, v[60:61]
; %bb.1209:                             ;   in Loop: Header=BB6_126 Depth=2
	s_andn2_saveexec_b64 s[20:21], s[20:21]
; %bb.1210:                             ;   in Loop: Header=BB6_126 Depth=2
	v_mov_b32_e32 v26, v60
	v_bfe_u32 v3, v60, 23, 1
	v_mov_b32_e32 v27, v61
; %bb.1211:                             ;   in Loop: Header=BB6_126 Depth=2
	s_or_b64 exec, exec, s[20:21]
	v_lshrrev_b64 v[6:7], 20, v[26:27]
	v_cmp_gt_i32_e32 vcc, 16, v3
	v_cndmask_b32_e32 v7, 0, v7, vcc
	v_cndmask_b32_e32 v6, 7, v6, vcc
	v_cmp_eq_u32_e32 vcc, 0, v3
	v_min_i32_e32 v3, 15, v3
	v_cmp_eq_u64_e64 s[20:21], 0, v[6:7]
	v_lshlrev_b32_e32 v3, 3, v3
	v_and_b32_e32 v3, 0xf8, v3
	v_and_or_b32 v3, v6, 7, v3
	s_and_b64 s[20:21], vcc, s[20:21]
	v_cndmask_b32_e64 v3, v3, 0, s[20:21]
	v_or_b32_e32 v26, v3, v2
.LBB6_1212:                             ;   in Loop: Header=BB6_126 Depth=2
	s_or_b64 exec, exec, s[90:91]
                                        ; implicit-def: $vgpr2
.LBB6_1213:                             ;   in Loop: Header=BB6_126 Depth=2
	s_andn2_saveexec_b64 s[20:21], s[88:89]
; %bb.1214:                             ;   in Loop: Header=BB6_126 Depth=2
	v_or_b32_e32 v26, 0x7e, v2
; %bb.1215:                             ;   in Loop: Header=BB6_126 Depth=2
	s_or_b64 exec, exec, s[20:21]
                                        ; implicit-def: $vgpr3
.LBB6_1216:                             ;   in Loop: Header=BB6_126 Depth=2
	s_andn2_saveexec_b64 s[20:21], s[78:79]
; %bb.1217:                             ;   in Loop: Header=BB6_126 Depth=2
	v_or_b32_sdwa v26, v3, s53 dst_sel:DWORD dst_unused:UNUSED_PAD src0_sel:BYTE_3 src1_sel:DWORD
; %bb.1218:                             ;   in Loop: Header=BB6_126 Depth=2
	s_or_b64 exec, exec, s[20:21]
	v_cmp_lt_u64_e32 vcc, s[62:63], v[22:23]
	v_mov_b32_e32 v2, 0
	v_mov_b32_e32 v3, 0
	s_and_saveexec_b64 s[20:21], vcc
	s_cbranch_execz .LBB6_1224
; %bb.1219:                             ;   in Loop: Header=BB6_126 Depth=2
	v_lshrrev_b32_e32 v22, 24, v23
	v_cmp_ne_u32_e32 vcc, s52, v22
	v_bfrev_b32_e32 v3, 1
	s_and_saveexec_b64 s[78:79], vcc
	s_cbranch_execz .LBB6_1223
; %bb.1220:                             ;   in Loop: Header=BB6_126 Depth=2
	v_bfe_u32 v6, v23, 24, 7
	v_cmp_ne_u32_e32 vcc, s53, v6
	v_mov_b32_e32 v3, 0x7f800001
	s_and_saveexec_b64 s[88:89], vcc
	s_cbranch_execz .LBB6_1222
; %bb.1221:                             ;   in Loop: Header=BB6_126 Depth=2
	v_and_b32_e32 v3, 7, v22
	v_lshrrev_b32_e32 v8, 3, v6
	v_cmp_gt_u32_e32 vcc, 8, v6
	v_ffbh_u32_e32 v6, v3
	v_min_u32_e32 v9, 32, v6
	v_subrev_u32_e32 v6, 28, v9
	v_lshlrev_b64 v[6:7], v6, v[22:23]
	v_sub_u32_e32 v7, 29, v9
	v_and_b32_e32 v6, 7, v6
	v_cndmask_b32_e32 v7, v8, v7, vcc
	v_cndmask_b32_e32 v3, v3, v6, vcc
	v_lshlrev_b32_e32 v6, 24, v22
	v_lshlrev_b32_e32 v3, 20, v3
	v_and_b32_e32 v6, 0x80000000, v6
	v_lshl_add_u32 v7, v7, 23, v62
	v_or3_b32 v3, v6, v7, v3
.LBB6_1222:                             ;   in Loop: Header=BB6_126 Depth=2
	s_or_b64 exec, exec, s[88:89]
.LBB6_1223:                             ;   in Loop: Header=BB6_126 Depth=2
	s_or_b64 exec, exec, s[78:79]
.LBB6_1224:                             ;   in Loop: Header=BB6_126 Depth=2
	s_or_b64 exec, exec, s[20:21]
	v_cmp_lt_u64_e32 vcc, s[62:63], v[18:19]
	s_and_saveexec_b64 s[20:21], vcc
	s_cbranch_execz .LBB6_1230
; %bb.1225:                             ;   in Loop: Header=BB6_126 Depth=2
	v_lshrrev_b32_e32 v18, 24, v19
	v_cmp_ne_u32_e32 vcc, s52, v18
	v_bfrev_b32_e32 v2, 1
	s_and_saveexec_b64 s[78:79], vcc
	s_cbranch_execz .LBB6_1229
; %bb.1226:                             ;   in Loop: Header=BB6_126 Depth=2
	v_bfe_u32 v6, v19, 24, 7
	v_cmp_ne_u32_e32 vcc, s53, v6
	v_mov_b32_e32 v2, 0x7f800001
	s_and_saveexec_b64 s[88:89], vcc
	s_cbranch_execz .LBB6_1228
; %bb.1227:                             ;   in Loop: Header=BB6_126 Depth=2
	v_and_b32_e32 v2, 7, v18
	v_lshrrev_b32_e32 v8, 3, v6
	v_cmp_gt_u32_e32 vcc, 8, v6
	v_ffbh_u32_e32 v6, v2
	v_min_u32_e32 v9, 32, v6
	v_subrev_u32_e32 v6, 28, v9
	v_lshlrev_b64 v[6:7], v6, v[18:19]
	v_sub_u32_e32 v7, 29, v9
	v_and_b32_e32 v6, 7, v6
	v_cndmask_b32_e32 v7, v8, v7, vcc
	v_cndmask_b32_e32 v2, v2, v6, vcc
	v_lshlrev_b32_e32 v6, 24, v18
	v_lshlrev_b32_e32 v2, 20, v2
	v_and_b32_e32 v6, 0x80000000, v6
	v_lshl_add_u32 v7, v7, 23, v62
	v_or3_b32 v2, v6, v7, v2
.LBB6_1228:                             ;   in Loop: Header=BB6_126 Depth=2
	s_or_b64 exec, exec, s[88:89]
.LBB6_1229:                             ;   in Loop: Header=BB6_126 Depth=2
	s_or_b64 exec, exec, s[78:79]
.LBB6_1230:                             ;   in Loop: Header=BB6_126 Depth=2
	s_or_b64 exec, exec, s[20:21]
	v_add_f32_e32 v3, v3, v2
	v_and_b32_e32 v60, 0x7f800000, v3
	v_cmp_ne_u64_e32 vcc, s[56:57], v[60:61]
                                        ; implicit-def: $vgpr27
	s_and_saveexec_b64 s[20:21], vcc
	s_xor_b64 s[78:79], exec, s[20:21]
	s_cbranch_execz .LBB6_1244
; %bb.1231:                             ;   in Loop: Header=BB6_126 Depth=2
	v_and_b32_e32 v60, 0x7fffffff, v3
	v_cmp_gt_u64_e32 vcc, s[58:59], v[60:61]
	v_and_b32_sdwa v2, v3, s52 dst_sel:DWORD dst_unused:UNUSED_PAD src0_sel:BYTE_3 src1_sel:DWORD
                                        ; implicit-def: $vgpr27
	s_and_saveexec_b64 s[20:21], vcc
	s_xor_b64 s[88:89], exec, s[20:21]
	s_cbranch_execz .LBB6_1241
; %bb.1232:                             ;   in Loop: Header=BB6_126 Depth=2
	v_mov_b32_e32 v27, 0
	v_cmp_ne_u32_e32 vcc, 0, v3
	s_and_saveexec_b64 s[90:91], vcc
	s_cbranch_execz .LBB6_1240
; %bb.1233:                             ;   in Loop: Header=BB6_126 Depth=2
	v_and_b32_e32 v7, 0x7fffff, v3
	v_bfe_u32 v3, v3, 23, 8
	v_cmp_gt_u32_e64 s[20:21], s54, v3
	v_sub_u32_e32 v6, 0x79, v3
	v_cmp_eq_u32_e32 vcc, 0, v3
	v_cndmask_b32_e64 v6, 0, v6, s[20:21]
	v_mov_b32_e32 v9, 0x78
	v_or_b32_e32 v8, 0x800000, v7
	v_cndmask_b32_e32 v6, v6, v9, vcc
	v_cndmask_b32_e32 v60, v8, v7, vcc
	v_add_u32_e32 v7, 20, v6
	v_lshlrev_b64 v[7:8], v7, -1
	v_add_u32_e32 v9, 19, v6
	v_lshlrev_b64 v[18:19], v9, 1
	v_bfi_b32 v8, v8, 0, 0
	v_bfi_b32 v7, v7, 0, v60
	v_cmp_eq_u64_e64 s[20:21], v[7:8], v[18:19]
	v_lshrrev_b64 v[18:19], v6, v[60:61]
	v_mov_b32_e32 v23, v19
	v_mov_b32_e32 v22, v18
	s_and_saveexec_b64 s[92:93], s[20:21]
; %bb.1234:                             ;   in Loop: Header=BB6_126 Depth=2
	v_bfe_u32 v7, v18, 20, 1
	v_add_co_u32_e64 v7, s[20:21], v18, v7
	v_add_co_u32_e64 v22, s[20:21], -1, v7
; %bb.1235:                             ;   in Loop: Header=BB6_126 Depth=2
	s_or_b64 exec, exec, s[92:93]
	v_add_u32_e32 v3, 0xffffff81, v3
	v_mov_b32_e32 v7, 0xffffff82
	v_cndmask_b32_e32 v3, v3, v7, vcc
	v_lshrrev_b32_e32 v7, 23, v18
	v_add3_u32 v7, v6, v3, v7
	v_add_u32_e32 v6, 6, v7
	v_and_b32_e32 v3, 0xfffff, v22
	v_add_u32_e32 v60, v3, v18
	v_cmp_ne_u32_e32 vcc, 0, v6
                                        ; implicit-def: $vgpr18_vgpr19
                                        ; implicit-def: $vgpr3
	s_and_saveexec_b64 s[20:21], vcc
	s_xor_b64 s[20:21], exec, s[20:21]
; %bb.1236:                             ;   in Loop: Header=BB6_126 Depth=2
	v_cmp_lt_u64_e32 vcc, s[60:61], v[60:61]
	v_add_u32_e32 v3, 7, v7
	v_cndmask_b32_e32 v3, v6, v3, vcc
	v_cndmask_b32_e64 v6, 0, 1, vcc
	v_lshrrev_b64 v[18:19], v6, v[60:61]
; %bb.1237:                             ;   in Loop: Header=BB6_126 Depth=2
	s_andn2_saveexec_b64 s[20:21], s[20:21]
; %bb.1238:                             ;   in Loop: Header=BB6_126 Depth=2
	v_mov_b32_e32 v18, v60
	v_bfe_u32 v3, v60, 23, 1
	v_mov_b32_e32 v19, v61
; %bb.1239:                             ;   in Loop: Header=BB6_126 Depth=2
	s_or_b64 exec, exec, s[20:21]
	v_lshrrev_b64 v[6:7], 20, v[18:19]
	v_cmp_gt_i32_e32 vcc, 16, v3
	v_cndmask_b32_e32 v7, 0, v7, vcc
	v_cndmask_b32_e32 v6, 7, v6, vcc
	v_cmp_eq_u32_e32 vcc, 0, v3
	v_min_i32_e32 v3, 15, v3
	v_cmp_eq_u64_e64 s[20:21], 0, v[6:7]
	v_lshlrev_b32_e32 v3, 3, v3
	v_and_b32_e32 v3, 0xf8, v3
	v_and_or_b32 v3, v6, 7, v3
	s_and_b64 s[20:21], vcc, s[20:21]
	v_cndmask_b32_e64 v3, v3, 0, s[20:21]
	v_or_b32_e32 v27, v3, v2
.LBB6_1240:                             ;   in Loop: Header=BB6_126 Depth=2
	s_or_b64 exec, exec, s[90:91]
                                        ; implicit-def: $vgpr2
.LBB6_1241:                             ;   in Loop: Header=BB6_126 Depth=2
	s_andn2_saveexec_b64 s[20:21], s[88:89]
; %bb.1242:                             ;   in Loop: Header=BB6_126 Depth=2
	v_or_b32_e32 v27, 0x7e, v2
; %bb.1243:                             ;   in Loop: Header=BB6_126 Depth=2
	s_or_b64 exec, exec, s[20:21]
                                        ; implicit-def: $vgpr3
.LBB6_1244:                             ;   in Loop: Header=BB6_126 Depth=2
	s_andn2_saveexec_b64 s[20:21], s[78:79]
; %bb.1245:                             ;   in Loop: Header=BB6_126 Depth=2
	v_or_b32_sdwa v27, v3, s53 dst_sel:DWORD dst_unused:UNUSED_PAD src0_sel:BYTE_3 src1_sel:DWORD
; %bb.1246:                             ;   in Loop: Header=BB6_126 Depth=2
	s_or_b64 exec, exec, s[20:21]
	v_cmp_ne_u16_sdwa s[78:79], v24, v61 src0_sel:BYTE_0 src1_sel:DWORD
	v_mov_b32_e32 v2, 0
	v_mov_b32_e32 v3, 0
	s_and_saveexec_b64 s[20:21], s[78:79]
	s_cbranch_execz .LBB6_1252
; %bb.1247:                             ;   in Loop: Header=BB6_126 Depth=2
	v_cmp_ne_u16_sdwa s[88:89], v24, s52 src0_sel:BYTE_0 src1_sel:DWORD
	v_bfrev_b32_e32 v3, 1
	s_and_saveexec_b64 s[78:79], s[88:89]
	s_cbranch_execz .LBB6_1251
; %bb.1248:                             ;   in Loop: Header=BB6_126 Depth=2
	v_and_b32_e32 v6, 0x7f, v24
	v_cmp_ne_u32_e32 vcc, s53, v6
	v_mov_b32_e32 v3, 0x7f800001
	s_and_saveexec_b64 s[88:89], vcc
	s_cbranch_execz .LBB6_1250
; %bb.1249:                             ;   in Loop: Header=BB6_126 Depth=2
	v_and_b32_e32 v3, 7, v24
	v_ffbh_u32_e32 v3, v3
	v_min_u32_e32 v3, 32, v3
	v_lshrrev_b32_e32 v7, 3, v6
	v_cmp_gt_u32_e32 vcc, 8, v6
	v_subrev_u32_e32 v6, 28, v3
	v_sub_u32_e32 v3, 29, v3
	v_cndmask_b32_e32 v6, 0, v6, vcc
	v_cndmask_b32_e32 v3, v7, v3, vcc
	v_lshlrev_b64 v[6:7], v6, v[24:25]
	v_lshlrev_b32_e32 v7, 24, v24
	v_lshlrev_b32_e32 v6, 20, v6
	v_and_b32_e32 v6, 0x700000, v6
	v_and_b32_e32 v7, 0x80000000, v7
	v_lshl_add_u32 v3, v3, 23, v62
	v_or3_b32 v3, v7, v3, v6
.LBB6_1250:                             ;   in Loop: Header=BB6_126 Depth=2
	s_or_b64 exec, exec, s[88:89]
.LBB6_1251:                             ;   in Loop: Header=BB6_126 Depth=2
	s_or_b64 exec, exec, s[78:79]
.LBB6_1252:                             ;   in Loop: Header=BB6_126 Depth=2
	s_or_b64 exec, exec, s[20:21]
	v_cmp_ne_u16_sdwa s[78:79], v20, v61 src0_sel:BYTE_0 src1_sel:DWORD
	s_and_saveexec_b64 s[20:21], s[78:79]
	s_cbranch_execz .LBB6_1258
; %bb.1253:                             ;   in Loop: Header=BB6_126 Depth=2
	v_cmp_ne_u16_sdwa s[88:89], v20, s52 src0_sel:BYTE_0 src1_sel:DWORD
	v_bfrev_b32_e32 v2, 1
	s_and_saveexec_b64 s[78:79], s[88:89]
	s_cbranch_execz .LBB6_1257
; %bb.1254:                             ;   in Loop: Header=BB6_126 Depth=2
	v_and_b32_e32 v6, 0x7f, v20
	v_cmp_ne_u32_e32 vcc, s53, v6
	v_mov_b32_e32 v2, 0x7f800001
	s_and_saveexec_b64 s[88:89], vcc
	s_cbranch_execz .LBB6_1256
; %bb.1255:                             ;   in Loop: Header=BB6_126 Depth=2
	v_and_b32_e32 v2, 7, v20
	v_ffbh_u32_e32 v2, v2
	v_min_u32_e32 v2, 32, v2
	v_lshrrev_b32_e32 v7, 3, v6
	v_cmp_gt_u32_e32 vcc, 8, v6
	v_subrev_u32_e32 v6, 28, v2
	v_sub_u32_e32 v2, 29, v2
	v_cndmask_b32_e32 v6, 0, v6, vcc
	v_cndmask_b32_e32 v2, v7, v2, vcc
	v_lshlrev_b64 v[6:7], v6, v[20:21]
	v_lshlrev_b32_e32 v7, 24, v20
	v_lshlrev_b32_e32 v6, 20, v6
	v_and_b32_e32 v6, 0x700000, v6
	v_and_b32_e32 v7, 0x80000000, v7
	v_lshl_add_u32 v2, v2, 23, v62
	v_or3_b32 v2, v7, v2, v6
.LBB6_1256:                             ;   in Loop: Header=BB6_126 Depth=2
	s_or_b64 exec, exec, s[88:89]
.LBB6_1257:                             ;   in Loop: Header=BB6_126 Depth=2
	s_or_b64 exec, exec, s[78:79]
.LBB6_1258:                             ;   in Loop: Header=BB6_126 Depth=2
	s_or_b64 exec, exec, s[20:21]
	v_add_f32_e32 v3, v3, v2
	v_and_b32_e32 v60, 0x7f800000, v3
	v_cmp_ne_u64_e32 vcc, s[56:57], v[60:61]
                                        ; implicit-def: $vgpr28
	s_and_saveexec_b64 s[20:21], vcc
	s_xor_b64 s[78:79], exec, s[20:21]
	s_cbranch_execz .LBB6_1272
; %bb.1259:                             ;   in Loop: Header=BB6_126 Depth=2
	v_and_b32_e32 v60, 0x7fffffff, v3
	v_cmp_gt_u64_e32 vcc, s[58:59], v[60:61]
	v_and_b32_sdwa v2, v3, s52 dst_sel:DWORD dst_unused:UNUSED_PAD src0_sel:BYTE_3 src1_sel:DWORD
                                        ; implicit-def: $vgpr28
	s_and_saveexec_b64 s[20:21], vcc
	s_xor_b64 s[88:89], exec, s[20:21]
	s_cbranch_execz .LBB6_1269
; %bb.1260:                             ;   in Loop: Header=BB6_126 Depth=2
	v_mov_b32_e32 v28, 0
	v_cmp_ne_u32_e32 vcc, 0, v3
	s_and_saveexec_b64 s[90:91], vcc
	s_cbranch_execz .LBB6_1268
; %bb.1261:                             ;   in Loop: Header=BB6_126 Depth=2
	v_and_b32_e32 v7, 0x7fffff, v3
	v_bfe_u32 v3, v3, 23, 8
	v_cmp_gt_u32_e64 s[20:21], s54, v3
	v_sub_u32_e32 v6, 0x79, v3
	v_cmp_eq_u32_e32 vcc, 0, v3
	v_cndmask_b32_e64 v6, 0, v6, s[20:21]
	v_mov_b32_e32 v9, 0x78
	v_or_b32_e32 v8, 0x800000, v7
	v_cndmask_b32_e32 v6, v6, v9, vcc
	v_cndmask_b32_e32 v60, v8, v7, vcc
	v_add_u32_e32 v7, 20, v6
	v_lshlrev_b64 v[7:8], v7, -1
	v_add_u32_e32 v9, 19, v6
	v_lshlrev_b64 v[18:19], v9, 1
	v_bfi_b32 v8, v8, 0, 0
	v_bfi_b32 v7, v7, 0, v60
	v_cmp_eq_u64_e64 s[20:21], v[7:8], v[18:19]
	v_lshrrev_b64 v[18:19], v6, v[60:61]
	v_mov_b32_e32 v23, v19
	v_mov_b32_e32 v22, v18
	s_and_saveexec_b64 s[92:93], s[20:21]
; %bb.1262:                             ;   in Loop: Header=BB6_126 Depth=2
	v_bfe_u32 v7, v18, 20, 1
	v_add_co_u32_e64 v7, s[20:21], v18, v7
	v_add_co_u32_e64 v22, s[20:21], -1, v7
; %bb.1263:                             ;   in Loop: Header=BB6_126 Depth=2
	s_or_b64 exec, exec, s[92:93]
	v_add_u32_e32 v3, 0xffffff81, v3
	v_mov_b32_e32 v7, 0xffffff82
	v_cndmask_b32_e32 v3, v3, v7, vcc
	v_lshrrev_b32_e32 v7, 23, v18
	v_add3_u32 v7, v6, v3, v7
	v_add_u32_e32 v6, 6, v7
	v_and_b32_e32 v3, 0xfffff, v22
	v_add_u32_e32 v60, v3, v18
	v_cmp_ne_u32_e32 vcc, 0, v6
                                        ; implicit-def: $vgpr18_vgpr19
                                        ; implicit-def: $vgpr3
	s_and_saveexec_b64 s[20:21], vcc
	s_xor_b64 s[20:21], exec, s[20:21]
; %bb.1264:                             ;   in Loop: Header=BB6_126 Depth=2
	v_cmp_lt_u64_e32 vcc, s[60:61], v[60:61]
	v_add_u32_e32 v3, 7, v7
	v_cndmask_b32_e32 v3, v6, v3, vcc
	v_cndmask_b32_e64 v6, 0, 1, vcc
	v_lshrrev_b64 v[18:19], v6, v[60:61]
; %bb.1265:                             ;   in Loop: Header=BB6_126 Depth=2
	s_andn2_saveexec_b64 s[20:21], s[20:21]
; %bb.1266:                             ;   in Loop: Header=BB6_126 Depth=2
	v_mov_b32_e32 v18, v60
	v_bfe_u32 v3, v60, 23, 1
	v_mov_b32_e32 v19, v61
; %bb.1267:                             ;   in Loop: Header=BB6_126 Depth=2
	s_or_b64 exec, exec, s[20:21]
	v_lshrrev_b64 v[6:7], 20, v[18:19]
	v_cmp_gt_i32_e32 vcc, 16, v3
	v_cndmask_b32_e32 v7, 0, v7, vcc
	v_cndmask_b32_e32 v6, 7, v6, vcc
	v_cmp_eq_u32_e32 vcc, 0, v3
	v_min_i32_e32 v3, 15, v3
	v_cmp_eq_u64_e64 s[20:21], 0, v[6:7]
	v_lshlrev_b32_e32 v3, 3, v3
	v_and_b32_e32 v3, 0xf8, v3
	v_and_or_b32 v3, v6, 7, v3
	s_and_b64 s[20:21], vcc, s[20:21]
	v_cndmask_b32_e64 v3, v3, 0, s[20:21]
	v_or_b32_e32 v28, v3, v2
.LBB6_1268:                             ;   in Loop: Header=BB6_126 Depth=2
	s_or_b64 exec, exec, s[90:91]
                                        ; implicit-def: $vgpr2
.LBB6_1269:                             ;   in Loop: Header=BB6_126 Depth=2
	s_andn2_saveexec_b64 s[20:21], s[88:89]
; %bb.1270:                             ;   in Loop: Header=BB6_126 Depth=2
	v_or_b32_e32 v28, 0x7e, v2
; %bb.1271:                             ;   in Loop: Header=BB6_126 Depth=2
	s_or_b64 exec, exec, s[20:21]
                                        ; implicit-def: $vgpr3
.LBB6_1272:                             ;   in Loop: Header=BB6_126 Depth=2
	s_andn2_saveexec_b64 s[20:21], s[78:79]
; %bb.1273:                             ;   in Loop: Header=BB6_126 Depth=2
	v_or_b32_sdwa v28, v3, s53 dst_sel:DWORD dst_unused:UNUSED_PAD src0_sel:BYTE_3 src1_sel:DWORD
; %bb.1274:                             ;   in Loop: Header=BB6_126 Depth=2
	s_or_b64 exec, exec, s[20:21]
	v_lshrrev_b16_e32 v18, 8, v24
	v_cmp_ne_u16_e32 vcc, 0, v18
	v_mov_b32_e32 v2, 0
	v_mov_b32_e32 v3, 0
	s_and_saveexec_b64 s[20:21], vcc
	s_cbranch_execz .LBB6_1280
; %bb.1275:                             ;   in Loop: Header=BB6_126 Depth=2
	v_cmp_ne_u16_e32 vcc, s52, v18
	v_bfrev_b32_e32 v3, 1
	s_and_saveexec_b64 s[78:79], vcc
	s_cbranch_execz .LBB6_1279
; %bb.1276:                             ;   in Loop: Header=BB6_126 Depth=2
	v_and_b32_e32 v6, 0x7f, v18
	v_cmp_ne_u32_e32 vcc, s53, v6
	v_mov_b32_e32 v3, 0x7f800001
	s_and_saveexec_b64 s[88:89], vcc
	s_cbranch_execz .LBB6_1278
; %bb.1277:                             ;   in Loop: Header=BB6_126 Depth=2
	v_and_b32_e32 v3, 7, v18
	v_lshrrev_b32_e32 v8, 3, v6
	v_cmp_gt_u32_e32 vcc, 8, v6
	v_ffbh_u32_e32 v6, v3
	v_min_u32_e32 v9, 32, v6
	v_subrev_u32_e32 v6, 28, v9
	v_lshlrev_b64 v[6:7], v6, v[18:19]
	v_sub_u32_e32 v7, 29, v9
	v_and_b32_e32 v6, 7, v6
	v_cndmask_b32_e32 v7, v8, v7, vcc
	v_cndmask_b32_e32 v3, v3, v6, vcc
	v_lshlrev_b32_e32 v6, 16, v24
	v_lshlrev_b32_e32 v3, 20, v3
	v_and_b32_e32 v6, 0x80000000, v6
	v_lshl_add_u32 v7, v7, 23, v62
	v_or3_b32 v3, v6, v7, v3
.LBB6_1278:                             ;   in Loop: Header=BB6_126 Depth=2
	s_or_b64 exec, exec, s[88:89]
.LBB6_1279:                             ;   in Loop: Header=BB6_126 Depth=2
	s_or_b64 exec, exec, s[78:79]
.LBB6_1280:                             ;   in Loop: Header=BB6_126 Depth=2
	s_or_b64 exec, exec, s[20:21]
	v_lshrrev_b16_e32 v18, 8, v20
	v_cmp_ne_u16_e32 vcc, 0, v18
	s_and_saveexec_b64 s[20:21], vcc
	s_cbranch_execz .LBB6_1286
; %bb.1281:                             ;   in Loop: Header=BB6_126 Depth=2
	v_cmp_ne_u16_e32 vcc, s52, v18
	v_bfrev_b32_e32 v2, 1
	s_and_saveexec_b64 s[78:79], vcc
	s_cbranch_execz .LBB6_1285
; %bb.1282:                             ;   in Loop: Header=BB6_126 Depth=2
	v_and_b32_e32 v6, 0x7f, v18
	v_cmp_ne_u32_e32 vcc, s53, v6
	v_mov_b32_e32 v2, 0x7f800001
	s_and_saveexec_b64 s[88:89], vcc
	s_cbranch_execz .LBB6_1284
; %bb.1283:                             ;   in Loop: Header=BB6_126 Depth=2
	v_and_b32_e32 v2, 7, v18
	v_lshrrev_b32_e32 v8, 3, v6
	v_cmp_gt_u32_e32 vcc, 8, v6
	v_ffbh_u32_e32 v6, v2
	v_min_u32_e32 v9, 32, v6
	v_subrev_u32_e32 v6, 28, v9
	v_lshlrev_b64 v[6:7], v6, v[18:19]
	v_sub_u32_e32 v7, 29, v9
	v_and_b32_e32 v6, 7, v6
	v_cndmask_b32_e32 v7, v8, v7, vcc
	v_cndmask_b32_e32 v2, v2, v6, vcc
	v_lshlrev_b32_e32 v6, 16, v20
	v_lshlrev_b32_e32 v2, 20, v2
	v_and_b32_e32 v6, 0x80000000, v6
	v_lshl_add_u32 v7, v7, 23, v62
	v_or3_b32 v2, v6, v7, v2
.LBB6_1284:                             ;   in Loop: Header=BB6_126 Depth=2
	s_or_b64 exec, exec, s[88:89]
.LBB6_1285:                             ;   in Loop: Header=BB6_126 Depth=2
	s_or_b64 exec, exec, s[78:79]
.LBB6_1286:                             ;   in Loop: Header=BB6_126 Depth=2
	s_or_b64 exec, exec, s[20:21]
	v_add_f32_e32 v3, v3, v2
	v_and_b32_e32 v60, 0x7f800000, v3
	v_cmp_ne_u64_e32 vcc, s[56:57], v[60:61]
                                        ; implicit-def: $vgpr50
	s_and_saveexec_b64 s[20:21], vcc
	s_xor_b64 s[78:79], exec, s[20:21]
	s_cbranch_execz .LBB6_1300
; %bb.1287:                             ;   in Loop: Header=BB6_126 Depth=2
	v_and_b32_e32 v60, 0x7fffffff, v3
	v_cmp_gt_u64_e32 vcc, s[58:59], v[60:61]
	v_and_b32_sdwa v2, v3, s52 dst_sel:DWORD dst_unused:UNUSED_PAD src0_sel:BYTE_3 src1_sel:DWORD
                                        ; implicit-def: $vgpr50
	s_and_saveexec_b64 s[20:21], vcc
	s_xor_b64 s[88:89], exec, s[20:21]
	s_cbranch_execz .LBB6_1297
; %bb.1288:                             ;   in Loop: Header=BB6_126 Depth=2
	v_mov_b32_e32 v50, 0
	v_cmp_ne_u32_e32 vcc, 0, v3
	s_and_saveexec_b64 s[90:91], vcc
	s_cbranch_execz .LBB6_1296
; %bb.1289:                             ;   in Loop: Header=BB6_126 Depth=2
	v_and_b32_e32 v7, 0x7fffff, v3
	v_bfe_u32 v3, v3, 23, 8
	v_cmp_gt_u32_e64 s[20:21], s54, v3
	v_sub_u32_e32 v6, 0x79, v3
	v_cmp_eq_u32_e32 vcc, 0, v3
	v_cndmask_b32_e64 v6, 0, v6, s[20:21]
	v_mov_b32_e32 v9, 0x78
	v_or_b32_e32 v8, 0x800000, v7
	v_cndmask_b32_e32 v6, v6, v9, vcc
	v_cndmask_b32_e32 v60, v8, v7, vcc
	v_add_u32_e32 v7, 20, v6
	v_lshlrev_b64 v[7:8], v7, -1
	v_add_u32_e32 v9, 19, v6
	v_lshlrev_b64 v[18:19], v9, 1
	v_bfi_b32 v8, v8, 0, 0
	v_bfi_b32 v7, v7, 0, v60
	v_cmp_eq_u64_e64 s[20:21], v[7:8], v[18:19]
	v_lshrrev_b64 v[18:19], v6, v[60:61]
	v_mov_b32_e32 v23, v19
	v_mov_b32_e32 v22, v18
	s_and_saveexec_b64 s[92:93], s[20:21]
; %bb.1290:                             ;   in Loop: Header=BB6_126 Depth=2
	v_bfe_u32 v7, v18, 20, 1
	v_add_co_u32_e64 v7, s[20:21], v18, v7
	v_add_co_u32_e64 v22, s[20:21], -1, v7
; %bb.1291:                             ;   in Loop: Header=BB6_126 Depth=2
	s_or_b64 exec, exec, s[92:93]
	v_add_u32_e32 v3, 0xffffff81, v3
	v_mov_b32_e32 v7, 0xffffff82
	v_cndmask_b32_e32 v3, v3, v7, vcc
	v_lshrrev_b32_e32 v7, 23, v18
	v_add3_u32 v7, v6, v3, v7
	v_add_u32_e32 v6, 6, v7
	v_and_b32_e32 v3, 0xfffff, v22
	v_add_u32_e32 v60, v3, v18
	v_cmp_ne_u32_e32 vcc, 0, v6
                                        ; implicit-def: $vgpr18_vgpr19
                                        ; implicit-def: $vgpr3
	s_and_saveexec_b64 s[20:21], vcc
	s_xor_b64 s[20:21], exec, s[20:21]
; %bb.1292:                             ;   in Loop: Header=BB6_126 Depth=2
	v_cmp_lt_u64_e32 vcc, s[60:61], v[60:61]
	v_add_u32_e32 v3, 7, v7
	v_cndmask_b32_e32 v3, v6, v3, vcc
	v_cndmask_b32_e64 v6, 0, 1, vcc
	v_lshrrev_b64 v[18:19], v6, v[60:61]
; %bb.1293:                             ;   in Loop: Header=BB6_126 Depth=2
	s_andn2_saveexec_b64 s[20:21], s[20:21]
; %bb.1294:                             ;   in Loop: Header=BB6_126 Depth=2
	v_mov_b32_e32 v18, v60
	v_bfe_u32 v3, v60, 23, 1
	v_mov_b32_e32 v19, v61
; %bb.1295:                             ;   in Loop: Header=BB6_126 Depth=2
	s_or_b64 exec, exec, s[20:21]
	v_lshrrev_b64 v[6:7], 20, v[18:19]
	v_cmp_gt_i32_e32 vcc, 16, v3
	v_cndmask_b32_e32 v7, 0, v7, vcc
	v_cndmask_b32_e32 v6, 7, v6, vcc
	v_cmp_eq_u32_e32 vcc, 0, v3
	v_min_i32_e32 v3, 15, v3
	v_cmp_eq_u64_e64 s[20:21], 0, v[6:7]
	v_lshlrev_b32_e32 v3, 3, v3
	v_and_b32_e32 v3, 0xf8, v3
	v_and_or_b32 v3, v6, 7, v3
	s_and_b64 s[20:21], vcc, s[20:21]
	v_cndmask_b32_e64 v3, v3, 0, s[20:21]
	v_or_b32_e32 v50, v3, v2
.LBB6_1296:                             ;   in Loop: Header=BB6_126 Depth=2
	s_or_b64 exec, exec, s[90:91]
                                        ; implicit-def: $vgpr2
.LBB6_1297:                             ;   in Loop: Header=BB6_126 Depth=2
	s_andn2_saveexec_b64 s[20:21], s[88:89]
; %bb.1298:                             ;   in Loop: Header=BB6_126 Depth=2
	v_or_b32_e32 v50, 0x7e, v2
; %bb.1299:                             ;   in Loop: Header=BB6_126 Depth=2
	s_or_b64 exec, exec, s[20:21]
                                        ; implicit-def: $vgpr3
.LBB6_1300:                             ;   in Loop: Header=BB6_126 Depth=2
	s_andn2_saveexec_b64 s[20:21], s[78:79]
; %bb.1301:                             ;   in Loop: Header=BB6_126 Depth=2
	v_or_b32_sdwa v50, v3, s53 dst_sel:DWORD dst_unused:UNUSED_PAD src0_sel:BYTE_3 src1_sel:DWORD
; %bb.1302:                             ;   in Loop: Header=BB6_126 Depth=2
	s_or_b64 exec, exec, s[20:21]
	v_lshrrev_b32_e32 v18, 16, v24
	v_cmp_ne_u16_sdwa s[78:79], v18, v61 src0_sel:BYTE_0 src1_sel:DWORD
	v_mov_b32_e32 v2, 0
	v_mov_b32_e32 v3, 0
	s_and_saveexec_b64 s[20:21], s[78:79]
	s_cbranch_execz .LBB6_1308
; %bb.1303:                             ;   in Loop: Header=BB6_126 Depth=2
	v_cmp_ne_u16_sdwa s[88:89], v18, s52 src0_sel:BYTE_0 src1_sel:DWORD
	v_bfrev_b32_e32 v3, 1
	s_and_saveexec_b64 s[78:79], s[88:89]
	s_cbranch_execz .LBB6_1307
; %bb.1304:                             ;   in Loop: Header=BB6_126 Depth=2
	v_bfe_u32 v6, v24, 16, 7
	v_cmp_ne_u32_e32 vcc, s53, v6
	v_mov_b32_e32 v3, 0x7f800001
	s_and_saveexec_b64 s[88:89], vcc
	s_cbranch_execz .LBB6_1306
; %bb.1305:                             ;   in Loop: Header=BB6_126 Depth=2
	v_and_b32_e32 v3, 7, v18
	v_lshrrev_b32_e32 v8, 3, v6
	v_cmp_gt_u32_e32 vcc, 8, v6
	v_ffbh_u32_e32 v6, v3
	v_min_u32_e32 v9, 32, v6
	v_subrev_u32_e32 v6, 28, v9
	v_lshlrev_b64 v[6:7], v6, v[18:19]
	v_sub_u32_e32 v7, 29, v9
	v_and_b32_e32 v6, 7, v6
	v_cndmask_b32_e32 v7, v8, v7, vcc
	v_cndmask_b32_e32 v3, v3, v6, vcc
	v_lshlrev_b32_e32 v6, 24, v18
	v_lshlrev_b32_e32 v3, 20, v3
	v_and_b32_e32 v6, 0x80000000, v6
	v_lshl_add_u32 v7, v7, 23, v62
	v_or3_b32 v3, v6, v7, v3
.LBB6_1306:                             ;   in Loop: Header=BB6_126 Depth=2
	s_or_b64 exec, exec, s[88:89]
.LBB6_1307:                             ;   in Loop: Header=BB6_126 Depth=2
	s_or_b64 exec, exec, s[78:79]
.LBB6_1308:                             ;   in Loop: Header=BB6_126 Depth=2
	s_or_b64 exec, exec, s[20:21]
	v_lshrrev_b32_e32 v18, 16, v20
	v_cmp_ne_u16_sdwa s[78:79], v18, v61 src0_sel:BYTE_0 src1_sel:DWORD
	s_and_saveexec_b64 s[20:21], s[78:79]
	s_cbranch_execz .LBB6_1314
; %bb.1309:                             ;   in Loop: Header=BB6_126 Depth=2
	v_cmp_ne_u16_sdwa s[88:89], v18, s52 src0_sel:BYTE_0 src1_sel:DWORD
	v_bfrev_b32_e32 v2, 1
	s_and_saveexec_b64 s[78:79], s[88:89]
	s_cbranch_execz .LBB6_1313
; %bb.1310:                             ;   in Loop: Header=BB6_126 Depth=2
	v_bfe_u32 v6, v20, 16, 7
	v_cmp_ne_u32_e32 vcc, s53, v6
	v_mov_b32_e32 v2, 0x7f800001
	s_and_saveexec_b64 s[88:89], vcc
	s_cbranch_execz .LBB6_1312
; %bb.1311:                             ;   in Loop: Header=BB6_126 Depth=2
	v_and_b32_e32 v2, 7, v18
	v_lshrrev_b32_e32 v8, 3, v6
	v_cmp_gt_u32_e32 vcc, 8, v6
	v_ffbh_u32_e32 v6, v2
	v_min_u32_e32 v9, 32, v6
	v_subrev_u32_e32 v6, 28, v9
	v_lshlrev_b64 v[6:7], v6, v[18:19]
	v_sub_u32_e32 v7, 29, v9
	v_and_b32_e32 v6, 7, v6
	v_cndmask_b32_e32 v7, v8, v7, vcc
	v_cndmask_b32_e32 v2, v2, v6, vcc
	v_lshlrev_b32_e32 v6, 8, v20
	v_lshlrev_b32_e32 v2, 20, v2
	v_and_b32_e32 v6, 0x80000000, v6
	v_lshl_add_u32 v7, v7, 23, v62
	v_or3_b32 v2, v6, v7, v2
.LBB6_1312:                             ;   in Loop: Header=BB6_126 Depth=2
	s_or_b64 exec, exec, s[88:89]
.LBB6_1313:                             ;   in Loop: Header=BB6_126 Depth=2
	s_or_b64 exec, exec, s[78:79]
.LBB6_1314:                             ;   in Loop: Header=BB6_126 Depth=2
	s_or_b64 exec, exec, s[20:21]
	v_add_f32_e32 v3, v3, v2
	v_and_b32_e32 v60, 0x7f800000, v3
	v_cmp_ne_u64_e32 vcc, s[56:57], v[60:61]
                                        ; implicit-def: $vgpr51
	s_and_saveexec_b64 s[20:21], vcc
	s_xor_b64 s[78:79], exec, s[20:21]
	s_cbranch_execz .LBB6_1328
; %bb.1315:                             ;   in Loop: Header=BB6_126 Depth=2
	v_and_b32_e32 v60, 0x7fffffff, v3
	v_cmp_gt_u64_e32 vcc, s[58:59], v[60:61]
	v_and_b32_sdwa v2, v3, s52 dst_sel:DWORD dst_unused:UNUSED_PAD src0_sel:BYTE_3 src1_sel:DWORD
                                        ; implicit-def: $vgpr51
	s_and_saveexec_b64 s[20:21], vcc
	s_xor_b64 s[88:89], exec, s[20:21]
	s_cbranch_execz .LBB6_1325
; %bb.1316:                             ;   in Loop: Header=BB6_126 Depth=2
	v_mov_b32_e32 v51, 0
	v_cmp_ne_u32_e32 vcc, 0, v3
	s_and_saveexec_b64 s[90:91], vcc
	s_cbranch_execz .LBB6_1324
; %bb.1317:                             ;   in Loop: Header=BB6_126 Depth=2
	v_and_b32_e32 v7, 0x7fffff, v3
	v_bfe_u32 v3, v3, 23, 8
	v_cmp_gt_u32_e64 s[20:21], s54, v3
	v_sub_u32_e32 v6, 0x79, v3
	v_cmp_eq_u32_e32 vcc, 0, v3
	v_cndmask_b32_e64 v6, 0, v6, s[20:21]
	v_mov_b32_e32 v9, 0x78
	v_or_b32_e32 v8, 0x800000, v7
	v_cndmask_b32_e32 v6, v6, v9, vcc
	v_cndmask_b32_e32 v60, v8, v7, vcc
	v_add_u32_e32 v7, 20, v6
	v_lshlrev_b64 v[7:8], v7, -1
	v_add_u32_e32 v9, 19, v6
	v_lshlrev_b64 v[18:19], v9, 1
	v_bfi_b32 v8, v8, 0, 0
	v_bfi_b32 v7, v7, 0, v60
	v_cmp_eq_u64_e64 s[20:21], v[7:8], v[18:19]
	v_lshrrev_b64 v[18:19], v6, v[60:61]
	v_mov_b32_e32 v23, v19
	v_mov_b32_e32 v22, v18
	s_and_saveexec_b64 s[92:93], s[20:21]
; %bb.1318:                             ;   in Loop: Header=BB6_126 Depth=2
	v_bfe_u32 v7, v18, 20, 1
	v_add_co_u32_e64 v7, s[20:21], v18, v7
	v_add_co_u32_e64 v22, s[20:21], -1, v7
; %bb.1319:                             ;   in Loop: Header=BB6_126 Depth=2
	s_or_b64 exec, exec, s[92:93]
	v_add_u32_e32 v3, 0xffffff81, v3
	v_mov_b32_e32 v7, 0xffffff82
	v_cndmask_b32_e32 v3, v3, v7, vcc
	v_lshrrev_b32_e32 v7, 23, v18
	v_add3_u32 v7, v6, v3, v7
	v_add_u32_e32 v6, 6, v7
	v_and_b32_e32 v3, 0xfffff, v22
	v_add_u32_e32 v60, v3, v18
	v_cmp_ne_u32_e32 vcc, 0, v6
                                        ; implicit-def: $vgpr18_vgpr19
                                        ; implicit-def: $vgpr3
	s_and_saveexec_b64 s[20:21], vcc
	s_xor_b64 s[20:21], exec, s[20:21]
; %bb.1320:                             ;   in Loop: Header=BB6_126 Depth=2
	v_cmp_lt_u64_e32 vcc, s[60:61], v[60:61]
	v_add_u32_e32 v3, 7, v7
	v_cndmask_b32_e32 v3, v6, v3, vcc
	v_cndmask_b32_e64 v6, 0, 1, vcc
	v_lshrrev_b64 v[18:19], v6, v[60:61]
; %bb.1321:                             ;   in Loop: Header=BB6_126 Depth=2
	s_andn2_saveexec_b64 s[20:21], s[20:21]
; %bb.1322:                             ;   in Loop: Header=BB6_126 Depth=2
	v_mov_b32_e32 v18, v60
	v_bfe_u32 v3, v60, 23, 1
	v_mov_b32_e32 v19, v61
; %bb.1323:                             ;   in Loop: Header=BB6_126 Depth=2
	s_or_b64 exec, exec, s[20:21]
	v_lshrrev_b64 v[6:7], 20, v[18:19]
	v_cmp_gt_i32_e32 vcc, 16, v3
	v_cndmask_b32_e32 v7, 0, v7, vcc
	v_cndmask_b32_e32 v6, 7, v6, vcc
	v_cmp_eq_u32_e32 vcc, 0, v3
	v_min_i32_e32 v3, 15, v3
	v_cmp_eq_u64_e64 s[20:21], 0, v[6:7]
	v_lshlrev_b32_e32 v3, 3, v3
	v_and_b32_e32 v3, 0xf8, v3
	v_and_or_b32 v3, v6, 7, v3
	s_and_b64 s[20:21], vcc, s[20:21]
	v_cndmask_b32_e64 v3, v3, 0, s[20:21]
	v_or_b32_e32 v51, v3, v2
.LBB6_1324:                             ;   in Loop: Header=BB6_126 Depth=2
	s_or_b64 exec, exec, s[90:91]
                                        ; implicit-def: $vgpr2
.LBB6_1325:                             ;   in Loop: Header=BB6_126 Depth=2
	s_andn2_saveexec_b64 s[20:21], s[88:89]
; %bb.1326:                             ;   in Loop: Header=BB6_126 Depth=2
	v_or_b32_e32 v51, 0x7e, v2
; %bb.1327:                             ;   in Loop: Header=BB6_126 Depth=2
	s_or_b64 exec, exec, s[20:21]
                                        ; implicit-def: $vgpr3
.LBB6_1328:                             ;   in Loop: Header=BB6_126 Depth=2
	s_andn2_saveexec_b64 s[20:21], s[78:79]
; %bb.1329:                             ;   in Loop: Header=BB6_126 Depth=2
	v_or_b32_sdwa v51, v3, s53 dst_sel:DWORD dst_unused:UNUSED_PAD src0_sel:BYTE_3 src1_sel:DWORD
; %bb.1330:                             ;   in Loop: Header=BB6_126 Depth=2
	s_or_b64 exec, exec, s[20:21]
	v_cmp_lt_u32_e32 vcc, s63, v24
	v_mov_b32_e32 v2, 0
	v_mov_b32_e32 v3, 0
	s_and_saveexec_b64 s[20:21], vcc
	s_cbranch_execz .LBB6_1336
; %bb.1331:                             ;   in Loop: Header=BB6_126 Depth=2
	v_lshrrev_b32_e32 v18, 24, v24
	v_cmp_ne_u32_e32 vcc, s52, v18
	v_bfrev_b32_e32 v3, 1
	s_and_saveexec_b64 s[78:79], vcc
	s_cbranch_execz .LBB6_1335
; %bb.1332:                             ;   in Loop: Header=BB6_126 Depth=2
	v_bfe_u32 v6, v24, 24, 7
	v_cmp_ne_u32_e32 vcc, s53, v6
	v_mov_b32_e32 v3, 0x7f800001
	s_and_saveexec_b64 s[88:89], vcc
	s_cbranch_execz .LBB6_1334
; %bb.1333:                             ;   in Loop: Header=BB6_126 Depth=2
	v_and_b32_e32 v3, 7, v18
	v_lshrrev_b32_e32 v8, 3, v6
	v_cmp_gt_u32_e32 vcc, 8, v6
	v_ffbh_u32_e32 v6, v3
	v_min_u32_e32 v9, 32, v6
	v_subrev_u32_e32 v6, 28, v9
	v_lshlrev_b64 v[6:7], v6, v[18:19]
	v_sub_u32_e32 v7, 29, v9
	v_and_b32_e32 v6, 7, v6
	v_cndmask_b32_e32 v7, v8, v7, vcc
	v_cndmask_b32_e32 v3, v3, v6, vcc
	v_lshlrev_b32_e32 v6, 24, v18
	v_lshlrev_b32_e32 v3, 20, v3
	v_and_b32_e32 v6, 0x80000000, v6
	v_lshl_add_u32 v7, v7, 23, v62
	v_or3_b32 v3, v6, v7, v3
.LBB6_1334:                             ;   in Loop: Header=BB6_126 Depth=2
	s_or_b64 exec, exec, s[88:89]
.LBB6_1335:                             ;   in Loop: Header=BB6_126 Depth=2
	s_or_b64 exec, exec, s[78:79]
.LBB6_1336:                             ;   in Loop: Header=BB6_126 Depth=2
	s_or_b64 exec, exec, s[20:21]
	v_cmp_lt_u32_e32 vcc, s63, v20
	s_and_saveexec_b64 s[20:21], vcc
	s_cbranch_execz .LBB6_1342
; %bb.1337:                             ;   in Loop: Header=BB6_126 Depth=2
	v_lshrrev_b32_e32 v18, 24, v20
	v_cmp_ne_u32_e32 vcc, s52, v18
	v_bfrev_b32_e32 v2, 1
	s_and_saveexec_b64 s[78:79], vcc
	s_cbranch_execz .LBB6_1341
; %bb.1338:                             ;   in Loop: Header=BB6_126 Depth=2
	v_bfe_u32 v6, v20, 24, 7
	v_cmp_ne_u32_e32 vcc, s53, v6
	v_mov_b32_e32 v2, 0x7f800001
	s_and_saveexec_b64 s[88:89], vcc
	s_cbranch_execz .LBB6_1340
; %bb.1339:                             ;   in Loop: Header=BB6_126 Depth=2
	v_and_b32_e32 v2, 7, v18
	v_lshrrev_b32_e32 v8, 3, v6
	v_cmp_gt_u32_e32 vcc, 8, v6
	v_ffbh_u32_e32 v6, v2
	v_min_u32_e32 v9, 32, v6
	v_subrev_u32_e32 v6, 28, v9
	v_lshlrev_b64 v[6:7], v6, v[18:19]
	v_sub_u32_e32 v7, 29, v9
	v_and_b32_e32 v6, 7, v6
	v_cndmask_b32_e32 v7, v8, v7, vcc
	v_cndmask_b32_e32 v2, v2, v6, vcc
	v_lshlrev_b32_e32 v6, 24, v18
	v_lshlrev_b32_e32 v2, 20, v2
	v_and_b32_e32 v6, 0x80000000, v6
	v_lshl_add_u32 v7, v7, 23, v62
	v_or3_b32 v2, v6, v7, v2
.LBB6_1340:                             ;   in Loop: Header=BB6_126 Depth=2
	s_or_b64 exec, exec, s[88:89]
.LBB6_1341:                             ;   in Loop: Header=BB6_126 Depth=2
	s_or_b64 exec, exec, s[78:79]
.LBB6_1342:                             ;   in Loop: Header=BB6_126 Depth=2
	s_or_b64 exec, exec, s[20:21]
	v_add_f32_e32 v3, v3, v2
	v_and_b32_e32 v60, 0x7f800000, v3
	v_cmp_ne_u64_e32 vcc, s[56:57], v[60:61]
                                        ; implicit-def: $vgpr55
	s_and_saveexec_b64 s[20:21], vcc
	s_xor_b64 s[78:79], exec, s[20:21]
	s_cbranch_execz .LBB6_1356
; %bb.1343:                             ;   in Loop: Header=BB6_126 Depth=2
	v_and_b32_e32 v60, 0x7fffffff, v3
	v_cmp_gt_u64_e32 vcc, s[58:59], v[60:61]
	v_and_b32_sdwa v2, v3, s52 dst_sel:DWORD dst_unused:UNUSED_PAD src0_sel:BYTE_3 src1_sel:DWORD
                                        ; implicit-def: $vgpr55
	s_and_saveexec_b64 s[20:21], vcc
	s_xor_b64 s[88:89], exec, s[20:21]
	s_cbranch_execz .LBB6_1353
; %bb.1344:                             ;   in Loop: Header=BB6_126 Depth=2
	v_mov_b32_e32 v55, 0
	v_cmp_ne_u32_e32 vcc, 0, v3
	s_and_saveexec_b64 s[90:91], vcc
	s_cbranch_execz .LBB6_1352
; %bb.1345:                             ;   in Loop: Header=BB6_126 Depth=2
	v_and_b32_e32 v7, 0x7fffff, v3
	v_bfe_u32 v3, v3, 23, 8
	v_cmp_gt_u32_e64 s[20:21], s54, v3
	v_sub_u32_e32 v6, 0x79, v3
	v_cmp_eq_u32_e32 vcc, 0, v3
	v_cndmask_b32_e64 v6, 0, v6, s[20:21]
	v_mov_b32_e32 v9, 0x78
	v_or_b32_e32 v8, 0x800000, v7
	v_cndmask_b32_e32 v6, v6, v9, vcc
	v_cndmask_b32_e32 v60, v8, v7, vcc
	v_add_u32_e32 v7, 20, v6
	v_lshlrev_b64 v[7:8], v7, -1
	v_add_u32_e32 v9, 19, v6
	v_lshlrev_b64 v[18:19], v9, 1
	v_bfi_b32 v8, v8, 0, 0
	v_bfi_b32 v7, v7, 0, v60
	v_cmp_eq_u64_e64 s[20:21], v[7:8], v[18:19]
	v_lshrrev_b64 v[18:19], v6, v[60:61]
	v_mov_b32_e32 v23, v19
	v_mov_b32_e32 v22, v18
	s_and_saveexec_b64 s[92:93], s[20:21]
; %bb.1346:                             ;   in Loop: Header=BB6_126 Depth=2
	v_bfe_u32 v7, v18, 20, 1
	v_add_co_u32_e64 v7, s[20:21], v18, v7
	v_add_co_u32_e64 v22, s[20:21], -1, v7
; %bb.1347:                             ;   in Loop: Header=BB6_126 Depth=2
	s_or_b64 exec, exec, s[92:93]
	v_add_u32_e32 v3, 0xffffff81, v3
	v_mov_b32_e32 v7, 0xffffff82
	v_cndmask_b32_e32 v3, v3, v7, vcc
	v_lshrrev_b32_e32 v7, 23, v18
	v_add3_u32 v7, v6, v3, v7
	v_add_u32_e32 v6, 6, v7
	v_and_b32_e32 v3, 0xfffff, v22
	v_add_u32_e32 v60, v3, v18
	v_cmp_ne_u32_e32 vcc, 0, v6
                                        ; implicit-def: $vgpr18_vgpr19
                                        ; implicit-def: $vgpr3
	s_and_saveexec_b64 s[20:21], vcc
	s_xor_b64 s[20:21], exec, s[20:21]
; %bb.1348:                             ;   in Loop: Header=BB6_126 Depth=2
	v_cmp_lt_u64_e32 vcc, s[60:61], v[60:61]
	v_add_u32_e32 v3, 7, v7
	v_cndmask_b32_e32 v3, v6, v3, vcc
	v_cndmask_b32_e64 v6, 0, 1, vcc
	v_lshrrev_b64 v[18:19], v6, v[60:61]
; %bb.1349:                             ;   in Loop: Header=BB6_126 Depth=2
	s_andn2_saveexec_b64 s[20:21], s[20:21]
; %bb.1350:                             ;   in Loop: Header=BB6_126 Depth=2
	v_mov_b32_e32 v18, v60
	v_bfe_u32 v3, v60, 23, 1
	v_mov_b32_e32 v19, v61
; %bb.1351:                             ;   in Loop: Header=BB6_126 Depth=2
	s_or_b64 exec, exec, s[20:21]
	v_lshrrev_b64 v[6:7], 20, v[18:19]
	v_cmp_gt_i32_e32 vcc, 16, v3
	v_cndmask_b32_e32 v7, 0, v7, vcc
	v_cndmask_b32_e32 v6, 7, v6, vcc
	v_cmp_eq_u32_e32 vcc, 0, v3
	v_min_i32_e32 v3, 15, v3
	v_cmp_eq_u64_e64 s[20:21], 0, v[6:7]
	v_lshlrev_b32_e32 v3, 3, v3
	v_and_b32_e32 v3, 0xf8, v3
	v_and_or_b32 v3, v6, 7, v3
	s_and_b64 s[20:21], vcc, s[20:21]
	v_cndmask_b32_e64 v3, v3, 0, s[20:21]
	v_or_b32_e32 v55, v3, v2
.LBB6_1352:                             ;   in Loop: Header=BB6_126 Depth=2
	s_or_b64 exec, exec, s[90:91]
                                        ; implicit-def: $vgpr2
.LBB6_1353:                             ;   in Loop: Header=BB6_126 Depth=2
	s_andn2_saveexec_b64 s[20:21], s[88:89]
; %bb.1354:                             ;   in Loop: Header=BB6_126 Depth=2
	v_or_b32_e32 v55, 0x7e, v2
; %bb.1355:                             ;   in Loop: Header=BB6_126 Depth=2
	s_or_b64 exec, exec, s[20:21]
                                        ; implicit-def: $vgpr3
.LBB6_1356:                             ;   in Loop: Header=BB6_126 Depth=2
	s_andn2_saveexec_b64 s[20:21], s[78:79]
; %bb.1357:                             ;   in Loop: Header=BB6_126 Depth=2
	v_or_b32_sdwa v55, v3, s53 dst_sel:DWORD dst_unused:UNUSED_PAD src0_sel:BYTE_3 src1_sel:DWORD
; %bb.1358:                             ;   in Loop: Header=BB6_126 Depth=2
	s_or_b64 exec, exec, s[20:21]
	v_mov_b32_e32 v60, v25
	v_cmp_ne_u16_sdwa s[78:79], v25, v61 src0_sel:BYTE_0 src1_sel:DWORD
	v_mov_b32_e32 v3, 0
	v_mov_b32_e32 v2, 0
	s_and_saveexec_b64 s[20:21], s[78:79]
	s_cbranch_execz .LBB6_1364
; %bb.1359:                             ;   in Loop: Header=BB6_126 Depth=2
	v_cmp_ne_u16_sdwa s[88:89], v25, s52 src0_sel:BYTE_0 src1_sel:DWORD
	v_bfrev_b32_e32 v2, 1
	s_and_saveexec_b64 s[78:79], s[88:89]
	s_cbranch_execz .LBB6_1363
; %bb.1360:                             ;   in Loop: Header=BB6_126 Depth=2
	v_and_b32_e32 v6, 0x7f, v25
	v_cmp_ne_u32_e32 vcc, s53, v6
	v_mov_b32_e32 v2, 0x7f800001
	s_and_saveexec_b64 s[88:89], vcc
	s_cbranch_execz .LBB6_1362
; %bb.1361:                             ;   in Loop: Header=BB6_126 Depth=2
	v_and_b32_e32 v2, 7, v25
	v_ffbh_u32_e32 v2, v2
	v_min_u32_e32 v2, 32, v2
	v_lshrrev_b32_e32 v7, 3, v6
	v_cmp_gt_u32_e32 vcc, 8, v6
	v_subrev_u32_e32 v6, 28, v2
	v_sub_u32_e32 v2, 29, v2
	v_cndmask_b32_e32 v6, 0, v6, vcc
	v_cndmask_b32_e32 v2, v7, v2, vcc
	v_lshlrev_b64 v[6:7], v6, v[60:61]
	v_lshlrev_b32_e32 v7, 24, v60
	v_lshlrev_b32_e32 v6, 20, v6
	v_and_b32_e32 v6, 0x700000, v6
	v_and_b32_e32 v7, 0x80000000, v7
	v_lshl_add_u32 v2, v2, 23, v62
	v_or3_b32 v2, v7, v2, v6
.LBB6_1362:                             ;   in Loop: Header=BB6_126 Depth=2
	s_or_b64 exec, exec, s[88:89]
.LBB6_1363:                             ;   in Loop: Header=BB6_126 Depth=2
	s_or_b64 exec, exec, s[78:79]
.LBB6_1364:                             ;   in Loop: Header=BB6_126 Depth=2
	s_or_b64 exec, exec, s[20:21]
	v_cmp_ne_u16_sdwa s[78:79], v21, v61 src0_sel:BYTE_0 src1_sel:DWORD
	s_and_saveexec_b64 s[20:21], s[78:79]
	s_cbranch_execz .LBB6_1370
; %bb.1365:                             ;   in Loop: Header=BB6_126 Depth=2
	v_cmp_ne_u16_sdwa s[88:89], v21, s52 src0_sel:BYTE_0 src1_sel:DWORD
	v_bfrev_b32_e32 v3, 1
	s_and_saveexec_b64 s[78:79], s[88:89]
	s_cbranch_execz .LBB6_1369
; %bb.1366:                             ;   in Loop: Header=BB6_126 Depth=2
	v_and_b32_e32 v6, 0x7f, v21
	v_cmp_ne_u32_e32 vcc, s53, v6
	v_mov_b32_e32 v3, 0x7f800001
	s_and_saveexec_b64 s[88:89], vcc
	s_cbranch_execz .LBB6_1368
; %bb.1367:                             ;   in Loop: Header=BB6_126 Depth=2
	v_and_b32_e32 v3, 7, v21
	v_ffbh_u32_e32 v3, v3
	v_min_u32_e32 v3, 32, v3
	v_lshrrev_b32_e32 v9, 3, v6
	v_cmp_gt_u32_e32 vcc, 8, v6
	v_subrev_u32_e32 v6, 28, v3
	v_mov_b32_e32 v7, v21
	v_mov_b32_e32 v8, v61
	v_sub_u32_e32 v3, 29, v3
	v_cndmask_b32_e32 v6, 0, v6, vcc
	v_cndmask_b32_e32 v3, v9, v3, vcc
	v_lshlrev_b64 v[8:9], v6, v[7:8]
	v_lshlrev_b32_e32 v7, 24, v7
	v_lshlrev_b32_e32 v6, 20, v8
	v_and_b32_e32 v6, 0x700000, v6
	v_and_b32_e32 v7, 0x80000000, v7
	v_lshl_add_u32 v3, v3, 23, v62
	v_or3_b32 v3, v7, v3, v6
.LBB6_1368:                             ;   in Loop: Header=BB6_126 Depth=2
	s_or_b64 exec, exec, s[88:89]
.LBB6_1369:                             ;   in Loop: Header=BB6_126 Depth=2
	s_or_b64 exec, exec, s[78:79]
.LBB6_1370:                             ;   in Loop: Header=BB6_126 Depth=2
	s_or_b64 exec, exec, s[20:21]
	v_add_f32_e32 v3, v2, v3
	v_and_b32_e32 v6, 0x7f800000, v3
	v_mov_b32_e32 v7, v61
	v_cmp_ne_u64_e32 vcc, s[56:57], v[6:7]
                                        ; implicit-def: $vgpr6
	s_and_saveexec_b64 s[20:21], vcc
	s_xor_b64 s[78:79], exec, s[20:21]
	s_cbranch_execz .LBB6_1384
; %bb.1371:                             ;   in Loop: Header=BB6_126 Depth=2
	v_and_b32_e32 v6, 0x7fffffff, v3
	v_mov_b32_e32 v7, v61
	v_cmp_gt_u64_e32 vcc, s[58:59], v[6:7]
	v_and_b32_sdwa v2, v3, s52 dst_sel:DWORD dst_unused:UNUSED_PAD src0_sel:BYTE_3 src1_sel:DWORD
                                        ; implicit-def: $vgpr6
	s_and_saveexec_b64 s[20:21], vcc
	s_xor_b64 s[88:89], exec, s[20:21]
	s_cbranch_execz .LBB6_1381
; %bb.1372:                             ;   in Loop: Header=BB6_126 Depth=2
	v_mov_b32_e32 v6, 0
	v_cmp_ne_u32_e32 vcc, 0, v3
	s_and_saveexec_b64 s[90:91], vcc
	s_cbranch_execz .LBB6_1380
; %bb.1373:                             ;   in Loop: Header=BB6_126 Depth=2
	v_and_b32_e32 v7, 0x7fffff, v3
	v_bfe_u32 v3, v3, 23, 8
	v_cmp_gt_u32_e64 s[20:21], s54, v3
	v_sub_u32_e32 v6, 0x79, v3
	v_cmp_eq_u32_e32 vcc, 0, v3
	v_cndmask_b32_e64 v6, 0, v6, s[20:21]
	v_mov_b32_e32 v9, 0x78
	v_cndmask_b32_e32 v6, v6, v9, vcc
	v_add_u32_e32 v9, 20, v6
	v_or_b32_e32 v8, 0x800000, v7
	v_lshlrev_b64 v[18:19], v9, -1
	v_add_u32_e32 v9, 19, v6
	v_cndmask_b32_e32 v7, v8, v7, vcc
	v_lshlrev_b64 v[22:23], v9, 1
	v_mov_b32_e32 v8, v61
	v_bfi_b32 v19, v19, 0, 0
	v_bfi_b32 v18, v18, 0, v7
	v_cmp_eq_u64_e64 s[20:21], v[18:19], v[22:23]
	v_lshrrev_b64 v[18:19], v6, v[7:8]
	v_mov_b32_e32 v23, v19
	v_mov_b32_e32 v22, v18
	s_and_saveexec_b64 s[92:93], s[20:21]
; %bb.1374:                             ;   in Loop: Header=BB6_126 Depth=2
	v_bfe_u32 v7, v18, 20, 1
	v_add_co_u32_e64 v7, s[20:21], v18, v7
	v_add_co_u32_e64 v22, s[20:21], -1, v7
; %bb.1375:                             ;   in Loop: Header=BB6_126 Depth=2
	s_or_b64 exec, exec, s[92:93]
	v_add_u32_e32 v3, 0xffffff81, v3
	v_mov_b32_e32 v7, 0xffffff82
	v_cndmask_b32_e32 v3, v3, v7, vcc
	v_lshrrev_b32_e32 v7, 23, v18
	v_add3_u32 v7, v6, v3, v7
	v_add_u32_e32 v6, 6, v7
	v_and_b32_e32 v3, 0xfffff, v22
	v_add_u32_e32 v18, v3, v18
	v_mov_b32_e32 v19, v61
	v_cmp_ne_u32_e32 vcc, 0, v6
                                        ; implicit-def: $vgpr3
	s_and_saveexec_b64 s[20:21], vcc
	s_xor_b64 s[20:21], exec, s[20:21]
; %bb.1376:                             ;   in Loop: Header=BB6_126 Depth=2
	v_cmp_lt_u64_e32 vcc, s[60:61], v[18:19]
	v_add_u32_e32 v3, 7, v7
	v_cndmask_b32_e32 v3, v6, v3, vcc
	v_cndmask_b32_e64 v6, 0, 1, vcc
	v_lshrrev_b64 v[18:19], v6, v[18:19]
; %bb.1377:                             ;   in Loop: Header=BB6_126 Depth=2
	s_andn2_saveexec_b64 s[20:21], s[20:21]
; %bb.1378:                             ;   in Loop: Header=BB6_126 Depth=2
	v_bfe_u32 v3, v18, 23, 1
; %bb.1379:                             ;   in Loop: Header=BB6_126 Depth=2
	s_or_b64 exec, exec, s[20:21]
	v_lshrrev_b64 v[6:7], 20, v[18:19]
	v_cmp_gt_i32_e32 vcc, 16, v3
	v_cndmask_b32_e32 v7, 0, v7, vcc
	v_cndmask_b32_e32 v6, 7, v6, vcc
	v_cmp_eq_u32_e32 vcc, 0, v3
	v_min_i32_e32 v3, 15, v3
	v_cmp_eq_u64_e64 s[20:21], 0, v[6:7]
	v_lshlrev_b32_e32 v3, 3, v3
	v_and_b32_e32 v3, 0xf8, v3
	v_and_or_b32 v3, v6, 7, v3
	s_and_b64 s[20:21], vcc, s[20:21]
	v_cndmask_b32_e64 v3, v3, 0, s[20:21]
	v_or_b32_e32 v6, v3, v2
.LBB6_1380:                             ;   in Loop: Header=BB6_126 Depth=2
	s_or_b64 exec, exec, s[90:91]
                                        ; implicit-def: $vgpr2
.LBB6_1381:                             ;   in Loop: Header=BB6_126 Depth=2
	s_andn2_saveexec_b64 s[20:21], s[88:89]
; %bb.1382:                             ;   in Loop: Header=BB6_126 Depth=2
	v_or_b32_e32 v6, 0x7e, v2
; %bb.1383:                             ;   in Loop: Header=BB6_126 Depth=2
	s_or_b64 exec, exec, s[20:21]
                                        ; implicit-def: $vgpr3
.LBB6_1384:                             ;   in Loop: Header=BB6_126 Depth=2
	s_andn2_saveexec_b64 s[20:21], s[78:79]
; %bb.1385:                             ;   in Loop: Header=BB6_126 Depth=2
	v_or_b32_sdwa v6, v3, s53 dst_sel:DWORD dst_unused:UNUSED_PAD src0_sel:BYTE_3 src1_sel:DWORD
; %bb.1386:                             ;   in Loop: Header=BB6_126 Depth=2
	s_or_b64 exec, exec, s[20:21]
	v_lshrrev_b16_e32 v18, 8, v60
	v_cmp_ne_u16_e32 vcc, 0, v18
	v_mov_b32_e32 v2, 0
	v_mov_b32_e32 v3, 0
	s_and_saveexec_b64 s[20:21], vcc
	s_cbranch_execz .LBB6_1392
; %bb.1387:                             ;   in Loop: Header=BB6_126 Depth=2
	v_cmp_ne_u16_e32 vcc, s52, v18
	v_bfrev_b32_e32 v3, 1
	s_and_saveexec_b64 s[78:79], vcc
	s_cbranch_execz .LBB6_1391
; %bb.1388:                             ;   in Loop: Header=BB6_126 Depth=2
	v_and_b32_e32 v7, 0x7f, v18
	v_cmp_ne_u32_e32 vcc, s53, v7
	v_mov_b32_e32 v3, 0x7f800001
	s_and_saveexec_b64 s[88:89], vcc
	s_cbranch_execz .LBB6_1390
; %bb.1389:                             ;   in Loop: Header=BB6_126 Depth=2
	v_and_b32_e32 v3, 7, v18
	v_lshrrev_b32_e32 v9, 3, v7
	v_cmp_gt_u32_e32 vcc, 8, v7
	v_ffbh_u32_e32 v7, v3
	v_min_u32_e32 v19, 32, v7
	v_subrev_u32_e32 v7, 28, v19
	v_lshlrev_b64 v[7:8], v7, v[18:19]
	v_sub_u32_e32 v8, 29, v19
	v_and_b32_e32 v7, 7, v7
	v_cndmask_b32_e32 v8, v9, v8, vcc
	v_cndmask_b32_e32 v3, v3, v7, vcc
	v_lshlrev_b32_e32 v7, 16, v60
	v_lshlrev_b32_e32 v3, 20, v3
	v_and_b32_e32 v7, 0x80000000, v7
	v_lshl_add_u32 v8, v8, 23, v62
	v_or3_b32 v3, v7, v8, v3
.LBB6_1390:                             ;   in Loop: Header=BB6_126 Depth=2
	s_or_b64 exec, exec, s[88:89]
.LBB6_1391:                             ;   in Loop: Header=BB6_126 Depth=2
	s_or_b64 exec, exec, s[78:79]
.LBB6_1392:                             ;   in Loop: Header=BB6_126 Depth=2
	s_or_b64 exec, exec, s[20:21]
	v_lshrrev_b16_e32 v18, 8, v21
	v_cmp_ne_u16_e32 vcc, 0, v18
	s_and_saveexec_b64 s[20:21], vcc
	s_cbranch_execz .LBB6_1398
; %bb.1393:                             ;   in Loop: Header=BB6_126 Depth=2
	v_cmp_ne_u16_e32 vcc, s52, v18
	v_bfrev_b32_e32 v2, 1
	s_and_saveexec_b64 s[78:79], vcc
	s_cbranch_execz .LBB6_1397
; %bb.1394:                             ;   in Loop: Header=BB6_126 Depth=2
	v_and_b32_e32 v7, 0x7f, v18
	v_cmp_ne_u32_e32 vcc, s53, v7
	v_mov_b32_e32 v2, 0x7f800001
	s_and_saveexec_b64 s[88:89], vcc
	s_cbranch_execz .LBB6_1396
; %bb.1395:                             ;   in Loop: Header=BB6_126 Depth=2
	v_and_b32_e32 v2, 7, v18
	v_lshrrev_b32_e32 v9, 3, v7
	v_cmp_gt_u32_e32 vcc, 8, v7
	v_ffbh_u32_e32 v7, v2
	v_min_u32_e32 v19, 32, v7
	v_subrev_u32_e32 v7, 28, v19
	v_lshlrev_b64 v[7:8], v7, v[18:19]
	v_sub_u32_e32 v8, 29, v19
	v_and_b32_e32 v7, 7, v7
	v_cndmask_b32_e32 v8, v9, v8, vcc
	v_cndmask_b32_e32 v2, v2, v7, vcc
	v_lshlrev_b32_e32 v7, 16, v21
	v_lshlrev_b32_e32 v2, 20, v2
	v_and_b32_e32 v7, 0x80000000, v7
	v_lshl_add_u32 v8, v8, 23, v62
	v_or3_b32 v2, v7, v8, v2
.LBB6_1396:                             ;   in Loop: Header=BB6_126 Depth=2
	s_or_b64 exec, exec, s[88:89]
.LBB6_1397:                             ;   in Loop: Header=BB6_126 Depth=2
	s_or_b64 exec, exec, s[78:79]
.LBB6_1398:                             ;   in Loop: Header=BB6_126 Depth=2
	s_or_b64 exec, exec, s[20:21]
	v_add_f32_e32 v3, v3, v2
	v_and_b32_e32 v60, 0x7f800000, v3
	v_cmp_ne_u64_e32 vcc, s[56:57], v[60:61]
                                        ; implicit-def: $vgpr7
	s_and_saveexec_b64 s[20:21], vcc
	s_xor_b64 s[78:79], exec, s[20:21]
	s_cbranch_execz .LBB6_1412
; %bb.1399:                             ;   in Loop: Header=BB6_126 Depth=2
	v_and_b32_e32 v60, 0x7fffffff, v3
	v_cmp_gt_u64_e32 vcc, s[58:59], v[60:61]
	v_and_b32_sdwa v2, v3, s52 dst_sel:DWORD dst_unused:UNUSED_PAD src0_sel:BYTE_3 src1_sel:DWORD
                                        ; implicit-def: $vgpr7
	s_and_saveexec_b64 s[20:21], vcc
	s_xor_b64 s[88:89], exec, s[20:21]
	s_cbranch_execz .LBB6_1409
; %bb.1400:                             ;   in Loop: Header=BB6_126 Depth=2
	v_mov_b32_e32 v7, 0
	v_cmp_ne_u32_e32 vcc, 0, v3
	s_and_saveexec_b64 s[90:91], vcc
	s_cbranch_execz .LBB6_1408
; %bb.1401:                             ;   in Loop: Header=BB6_126 Depth=2
	v_and_b32_e32 v8, 0x7fffff, v3
	v_bfe_u32 v3, v3, 23, 8
	v_cmp_gt_u32_e64 s[20:21], s54, v3
	v_sub_u32_e32 v7, 0x79, v3
	v_cmp_eq_u32_e32 vcc, 0, v3
	v_cndmask_b32_e64 v7, 0, v7, s[20:21]
	v_mov_b32_e32 v18, 0x78
	v_or_b32_e32 v9, 0x800000, v8
	v_cndmask_b32_e32 v7, v7, v18, vcc
	v_cndmask_b32_e32 v60, v9, v8, vcc
	v_add_u32_e32 v8, 20, v7
	v_lshlrev_b64 v[8:9], v8, -1
	v_add_u32_e32 v18, 19, v7
	v_lshlrev_b64 v[18:19], v18, 1
	v_bfi_b32 v9, v9, 0, 0
	v_bfi_b32 v8, v8, 0, v60
	v_cmp_eq_u64_e64 s[20:21], v[8:9], v[18:19]
	v_lshrrev_b64 v[18:19], v7, v[60:61]
	v_mov_b32_e32 v23, v19
	v_mov_b32_e32 v22, v18
	s_and_saveexec_b64 s[92:93], s[20:21]
; %bb.1402:                             ;   in Loop: Header=BB6_126 Depth=2
	v_bfe_u32 v8, v18, 20, 1
	v_add_co_u32_e64 v8, s[20:21], v18, v8
	v_add_co_u32_e64 v22, s[20:21], -1, v8
; %bb.1403:                             ;   in Loop: Header=BB6_126 Depth=2
	s_or_b64 exec, exec, s[92:93]
	v_add_u32_e32 v3, 0xffffff81, v3
	v_mov_b32_e32 v8, 0xffffff82
	v_cndmask_b32_e32 v3, v3, v8, vcc
	v_lshrrev_b32_e32 v8, 23, v18
	v_add3_u32 v8, v7, v3, v8
	v_add_u32_e32 v7, 6, v8
	v_and_b32_e32 v3, 0xfffff, v22
	v_add_u32_e32 v60, v3, v18
	v_cmp_ne_u32_e32 vcc, 0, v7
                                        ; implicit-def: $vgpr18_vgpr19
                                        ; implicit-def: $vgpr3
	s_and_saveexec_b64 s[20:21], vcc
	s_xor_b64 s[20:21], exec, s[20:21]
; %bb.1404:                             ;   in Loop: Header=BB6_126 Depth=2
	v_cmp_lt_u64_e32 vcc, s[60:61], v[60:61]
	v_add_u32_e32 v3, 7, v8
	v_cndmask_b32_e32 v3, v7, v3, vcc
	v_cndmask_b32_e64 v7, 0, 1, vcc
	v_lshrrev_b64 v[18:19], v7, v[60:61]
; %bb.1405:                             ;   in Loop: Header=BB6_126 Depth=2
	s_andn2_saveexec_b64 s[20:21], s[20:21]
; %bb.1406:                             ;   in Loop: Header=BB6_126 Depth=2
	v_mov_b32_e32 v18, v60
	v_bfe_u32 v3, v60, 23, 1
	v_mov_b32_e32 v19, v61
; %bb.1407:                             ;   in Loop: Header=BB6_126 Depth=2
	s_or_b64 exec, exec, s[20:21]
	v_lshrrev_b64 v[7:8], 20, v[18:19]
	v_cmp_gt_i32_e32 vcc, 16, v3
	v_cndmask_b32_e32 v8, 0, v8, vcc
	v_cndmask_b32_e32 v7, 7, v7, vcc
	v_cmp_eq_u32_e32 vcc, 0, v3
	v_min_i32_e32 v3, 15, v3
	v_cmp_eq_u64_e64 s[20:21], 0, v[7:8]
	v_lshlrev_b32_e32 v3, 3, v3
	v_and_b32_e32 v3, 0xf8, v3
	v_and_or_b32 v3, v7, 7, v3
	s_and_b64 s[20:21], vcc, s[20:21]
	v_cndmask_b32_e64 v3, v3, 0, s[20:21]
	v_or_b32_e32 v7, v3, v2
.LBB6_1408:                             ;   in Loop: Header=BB6_126 Depth=2
	s_or_b64 exec, exec, s[90:91]
                                        ; implicit-def: $vgpr2
.LBB6_1409:                             ;   in Loop: Header=BB6_126 Depth=2
	s_andn2_saveexec_b64 s[20:21], s[88:89]
; %bb.1410:                             ;   in Loop: Header=BB6_126 Depth=2
	v_or_b32_e32 v7, 0x7e, v2
; %bb.1411:                             ;   in Loop: Header=BB6_126 Depth=2
	s_or_b64 exec, exec, s[20:21]
                                        ; implicit-def: $vgpr3
.LBB6_1412:                             ;   in Loop: Header=BB6_126 Depth=2
	s_andn2_saveexec_b64 s[20:21], s[78:79]
; %bb.1413:                             ;   in Loop: Header=BB6_126 Depth=2
	v_or_b32_sdwa v7, v3, s53 dst_sel:DWORD dst_unused:UNUSED_PAD src0_sel:BYTE_3 src1_sel:DWORD
; %bb.1414:                             ;   in Loop: Header=BB6_126 Depth=2
	s_or_b64 exec, exec, s[20:21]
	v_lshrrev_b32_e32 v18, 16, v25
	v_cmp_ne_u16_sdwa s[78:79], v18, v61 src0_sel:BYTE_0 src1_sel:DWORD
	v_mov_b32_e32 v2, 0
	v_mov_b32_e32 v3, 0
	s_and_saveexec_b64 s[20:21], s[78:79]
	s_cbranch_execz .LBB6_1420
; %bb.1415:                             ;   in Loop: Header=BB6_126 Depth=2
	v_cmp_ne_u16_sdwa s[88:89], v18, s52 src0_sel:BYTE_0 src1_sel:DWORD
	v_bfrev_b32_e32 v3, 1
	s_and_saveexec_b64 s[78:79], s[88:89]
	s_cbranch_execz .LBB6_1419
; %bb.1416:                             ;   in Loop: Header=BB6_126 Depth=2
	v_bfe_u32 v8, v25, 16, 7
	v_cmp_ne_u32_e32 vcc, s53, v8
	v_mov_b32_e32 v3, 0x7f800001
	s_and_saveexec_b64 s[88:89], vcc
	s_cbranch_execz .LBB6_1418
; %bb.1417:                             ;   in Loop: Header=BB6_126 Depth=2
	v_and_b32_e32 v3, 7, v18
	v_lshrrev_b32_e32 v19, 3, v8
	v_cmp_gt_u32_e32 vcc, 8, v8
	v_ffbh_u32_e32 v8, v3
	v_min_u32_e32 v22, 32, v8
	v_subrev_u32_e32 v8, 28, v22
	v_lshlrev_b64 v[8:9], v8, v[18:19]
	v_sub_u32_e32 v9, 29, v22
	v_and_b32_e32 v8, 7, v8
	v_cndmask_b32_e32 v9, v19, v9, vcc
	v_cndmask_b32_e32 v3, v3, v8, vcc
	v_lshlrev_b32_e32 v8, 24, v18
	v_lshlrev_b32_e32 v3, 20, v3
	v_and_b32_e32 v8, 0x80000000, v8
	v_lshl_add_u32 v9, v9, 23, v62
	v_or3_b32 v3, v8, v9, v3
.LBB6_1418:                             ;   in Loop: Header=BB6_126 Depth=2
	s_or_b64 exec, exec, s[88:89]
.LBB6_1419:                             ;   in Loop: Header=BB6_126 Depth=2
	s_or_b64 exec, exec, s[78:79]
.LBB6_1420:                             ;   in Loop: Header=BB6_126 Depth=2
	s_or_b64 exec, exec, s[20:21]
	v_lshrrev_b32_e32 v18, 16, v21
	v_cmp_ne_u16_sdwa s[78:79], v18, v61 src0_sel:BYTE_0 src1_sel:DWORD
	s_and_saveexec_b64 s[20:21], s[78:79]
	s_cbranch_execz .LBB6_1426
; %bb.1421:                             ;   in Loop: Header=BB6_126 Depth=2
	v_cmp_ne_u16_sdwa s[88:89], v18, s52 src0_sel:BYTE_0 src1_sel:DWORD
	v_bfrev_b32_e32 v2, 1
	s_and_saveexec_b64 s[78:79], s[88:89]
	s_cbranch_execz .LBB6_1425
; %bb.1422:                             ;   in Loop: Header=BB6_126 Depth=2
	v_bfe_u32 v8, v21, 16, 7
	v_cmp_ne_u32_e32 vcc, s53, v8
	v_mov_b32_e32 v2, 0x7f800001
	s_and_saveexec_b64 s[88:89], vcc
	s_cbranch_execz .LBB6_1424
; %bb.1423:                             ;   in Loop: Header=BB6_126 Depth=2
	v_and_b32_e32 v2, 7, v18
	v_lshrrev_b32_e32 v19, 3, v8
	v_cmp_gt_u32_e32 vcc, 8, v8
	v_ffbh_u32_e32 v8, v2
	v_min_u32_e32 v22, 32, v8
	v_subrev_u32_e32 v8, 28, v22
	v_lshlrev_b64 v[8:9], v8, v[18:19]
	v_sub_u32_e32 v9, 29, v22
	v_and_b32_e32 v8, 7, v8
	v_cndmask_b32_e32 v9, v19, v9, vcc
	v_cndmask_b32_e32 v2, v2, v8, vcc
	v_lshlrev_b32_e32 v8, 8, v21
	v_lshlrev_b32_e32 v2, 20, v2
	v_and_b32_e32 v8, 0x80000000, v8
	v_lshl_add_u32 v9, v9, 23, v62
	v_or3_b32 v2, v8, v9, v2
.LBB6_1424:                             ;   in Loop: Header=BB6_126 Depth=2
	s_or_b64 exec, exec, s[88:89]
.LBB6_1425:                             ;   in Loop: Header=BB6_126 Depth=2
	s_or_b64 exec, exec, s[78:79]
.LBB6_1426:                             ;   in Loop: Header=BB6_126 Depth=2
	s_or_b64 exec, exec, s[20:21]
	v_add_f32_e32 v3, v3, v2
	v_and_b32_e32 v60, 0x7f800000, v3
	v_cmp_ne_u64_e32 vcc, s[56:57], v[60:61]
                                        ; implicit-def: $vgpr8
	s_and_saveexec_b64 s[20:21], vcc
	s_xor_b64 s[78:79], exec, s[20:21]
	s_cbranch_execz .LBB6_1440
; %bb.1427:                             ;   in Loop: Header=BB6_126 Depth=2
	v_and_b32_e32 v60, 0x7fffffff, v3
	v_cmp_gt_u64_e32 vcc, s[58:59], v[60:61]
	v_and_b32_sdwa v2, v3, s52 dst_sel:DWORD dst_unused:UNUSED_PAD src0_sel:BYTE_3 src1_sel:DWORD
                                        ; implicit-def: $vgpr8
	s_and_saveexec_b64 s[20:21], vcc
	s_xor_b64 s[88:89], exec, s[20:21]
	s_cbranch_execz .LBB6_1437
; %bb.1428:                             ;   in Loop: Header=BB6_126 Depth=2
	v_mov_b32_e32 v8, 0
	v_cmp_ne_u32_e32 vcc, 0, v3
	s_and_saveexec_b64 s[90:91], vcc
	s_cbranch_execz .LBB6_1436
; %bb.1429:                             ;   in Loop: Header=BB6_126 Depth=2
	v_and_b32_e32 v9, 0x7fffff, v3
	v_bfe_u32 v3, v3, 23, 8
	v_cmp_gt_u32_e64 s[20:21], s54, v3
	v_sub_u32_e32 v8, 0x79, v3
	v_cmp_eq_u32_e32 vcc, 0, v3
	v_cndmask_b32_e64 v8, 0, v8, s[20:21]
	v_mov_b32_e32 v19, 0x78
	v_or_b32_e32 v18, 0x800000, v9
	v_cndmask_b32_e32 v8, v8, v19, vcc
	v_cndmask_b32_e32 v60, v18, v9, vcc
	v_add_u32_e32 v9, 20, v8
	v_lshlrev_b64 v[18:19], v9, -1
	v_add_u32_e32 v9, 19, v8
	v_lshlrev_b64 v[22:23], v9, 1
	v_bfi_b32 v19, v19, 0, 0
	v_bfi_b32 v18, v18, 0, v60
	v_cmp_eq_u64_e64 s[20:21], v[18:19], v[22:23]
	v_lshrrev_b64 v[18:19], v8, v[60:61]
	v_mov_b32_e32 v23, v19
	v_mov_b32_e32 v22, v18
	s_and_saveexec_b64 s[92:93], s[20:21]
; %bb.1430:                             ;   in Loop: Header=BB6_126 Depth=2
	v_bfe_u32 v9, v18, 20, 1
	v_add_co_u32_e64 v9, s[20:21], v18, v9
	v_add_co_u32_e64 v22, s[20:21], -1, v9
; %bb.1431:                             ;   in Loop: Header=BB6_126 Depth=2
	s_or_b64 exec, exec, s[92:93]
	v_add_u32_e32 v3, 0xffffff81, v3
	v_mov_b32_e32 v9, 0xffffff82
	v_cndmask_b32_e32 v3, v3, v9, vcc
	v_lshrrev_b32_e32 v9, 23, v18
	v_add3_u32 v9, v8, v3, v9
	v_add_u32_e32 v8, 6, v9
	v_and_b32_e32 v3, 0xfffff, v22
	v_add_u32_e32 v60, v3, v18
	v_cmp_ne_u32_e32 vcc, 0, v8
                                        ; implicit-def: $vgpr18_vgpr19
                                        ; implicit-def: $vgpr3
	s_and_saveexec_b64 s[20:21], vcc
	s_xor_b64 s[20:21], exec, s[20:21]
; %bb.1432:                             ;   in Loop: Header=BB6_126 Depth=2
	v_cmp_lt_u64_e32 vcc, s[60:61], v[60:61]
	v_add_u32_e32 v3, 7, v9
	v_cndmask_b32_e32 v3, v8, v3, vcc
	v_cndmask_b32_e64 v8, 0, 1, vcc
	v_lshrrev_b64 v[18:19], v8, v[60:61]
; %bb.1433:                             ;   in Loop: Header=BB6_126 Depth=2
	s_andn2_saveexec_b64 s[20:21], s[20:21]
; %bb.1434:                             ;   in Loop: Header=BB6_126 Depth=2
	v_mov_b32_e32 v18, v60
	v_bfe_u32 v3, v60, 23, 1
	v_mov_b32_e32 v19, v61
; %bb.1435:                             ;   in Loop: Header=BB6_126 Depth=2
	s_or_b64 exec, exec, s[20:21]
	v_lshrrev_b64 v[8:9], 20, v[18:19]
	v_cmp_gt_i32_e32 vcc, 16, v3
	v_cndmask_b32_e32 v9, 0, v9, vcc
	v_cndmask_b32_e32 v8, 7, v8, vcc
	v_cmp_eq_u32_e32 vcc, 0, v3
	v_min_i32_e32 v3, 15, v3
	v_cmp_eq_u64_e64 s[20:21], 0, v[8:9]
	v_lshlrev_b32_e32 v3, 3, v3
	v_and_b32_e32 v3, 0xf8, v3
	v_and_or_b32 v3, v8, 7, v3
	s_and_b64 s[20:21], vcc, s[20:21]
	v_cndmask_b32_e64 v3, v3, 0, s[20:21]
	v_or_b32_e32 v8, v3, v2
.LBB6_1436:                             ;   in Loop: Header=BB6_126 Depth=2
	s_or_b64 exec, exec, s[90:91]
                                        ; implicit-def: $vgpr2
.LBB6_1437:                             ;   in Loop: Header=BB6_126 Depth=2
	s_andn2_saveexec_b64 s[20:21], s[88:89]
; %bb.1438:                             ;   in Loop: Header=BB6_126 Depth=2
	v_or_b32_e32 v8, 0x7e, v2
; %bb.1439:                             ;   in Loop: Header=BB6_126 Depth=2
	s_or_b64 exec, exec, s[20:21]
                                        ; implicit-def: $vgpr3
.LBB6_1440:                             ;   in Loop: Header=BB6_126 Depth=2
	s_andn2_saveexec_b64 s[20:21], s[78:79]
; %bb.1441:                             ;   in Loop: Header=BB6_126 Depth=2
	v_or_b32_sdwa v8, v3, s53 dst_sel:DWORD dst_unused:UNUSED_PAD src0_sel:BYTE_3 src1_sel:DWORD
; %bb.1442:                             ;   in Loop: Header=BB6_126 Depth=2
	s_or_b64 exec, exec, s[20:21]
	v_cmp_lt_u64_e32 vcc, s[62:63], v[24:25]
	v_mov_b32_e32 v2, 0
	v_mov_b32_e32 v3, 0
	s_and_saveexec_b64 s[20:21], vcc
	s_cbranch_execz .LBB6_1448
; %bb.1443:                             ;   in Loop: Header=BB6_126 Depth=2
	v_lshrrev_b32_e32 v18, 24, v25
	v_cmp_ne_u32_e32 vcc, s52, v18
	v_bfrev_b32_e32 v3, 1
	s_and_saveexec_b64 s[78:79], vcc
	s_cbranch_execz .LBB6_1447
; %bb.1444:                             ;   in Loop: Header=BB6_126 Depth=2
	v_bfe_u32 v9, v25, 24, 7
	v_cmp_ne_u32_e32 vcc, s53, v9
	v_mov_b32_e32 v3, 0x7f800001
	s_and_saveexec_b64 s[88:89], vcc
	s_cbranch_execz .LBB6_1446
; %bb.1445:                             ;   in Loop: Header=BB6_126 Depth=2
	v_and_b32_e32 v3, 7, v18
	v_lshrrev_b32_e32 v19, 3, v9
	v_cmp_gt_u32_e32 vcc, 8, v9
	v_ffbh_u32_e32 v9, v3
	v_min_u32_e32 v9, 32, v9
	v_subrev_u32_e32 v22, 28, v9
	v_lshlrev_b64 v[22:23], v22, v[18:19]
	v_sub_u32_e32 v9, 29, v9
	v_and_b32_e32 v22, 7, v22
	v_cndmask_b32_e32 v9, v19, v9, vcc
	v_cndmask_b32_e32 v3, v3, v22, vcc
	v_lshlrev_b32_e32 v18, 24, v18
	v_lshlrev_b32_e32 v3, 20, v3
	v_and_b32_e32 v18, 0x80000000, v18
	v_lshl_add_u32 v9, v9, 23, v62
	v_or3_b32 v3, v18, v9, v3
.LBB6_1446:                             ;   in Loop: Header=BB6_126 Depth=2
	s_or_b64 exec, exec, s[88:89]
.LBB6_1447:                             ;   in Loop: Header=BB6_126 Depth=2
	s_or_b64 exec, exec, s[78:79]
.LBB6_1448:                             ;   in Loop: Header=BB6_126 Depth=2
	s_or_b64 exec, exec, s[20:21]
	v_cmp_lt_u64_e32 vcc, s[62:63], v[20:21]
	s_and_saveexec_b64 s[20:21], vcc
	s_cbranch_execz .LBB6_1454
; %bb.1449:                             ;   in Loop: Header=BB6_126 Depth=2
	v_lshrrev_b32_e32 v18, 24, v21
	v_cmp_ne_u32_e32 vcc, s52, v18
	v_bfrev_b32_e32 v2, 1
	s_and_saveexec_b64 s[78:79], vcc
	s_cbranch_execz .LBB6_1453
; %bb.1450:                             ;   in Loop: Header=BB6_126 Depth=2
	v_bfe_u32 v9, v21, 24, 7
	v_cmp_ne_u32_e32 vcc, s53, v9
	v_mov_b32_e32 v2, 0x7f800001
	s_and_saveexec_b64 s[88:89], vcc
	s_cbranch_execz .LBB6_1452
; %bb.1451:                             ;   in Loop: Header=BB6_126 Depth=2
	v_and_b32_e32 v2, 7, v18
	v_lshrrev_b32_e32 v21, 3, v9
	v_cmp_gt_u32_e32 vcc, 8, v9
	v_ffbh_u32_e32 v9, v2
	v_min_u32_e32 v9, 32, v9
	v_subrev_u32_e32 v19, 28, v9
	v_lshlrev_b64 v[19:20], v19, v[18:19]
	v_sub_u32_e32 v9, 29, v9
	v_and_b32_e32 v19, 7, v19
	v_cndmask_b32_e32 v9, v21, v9, vcc
	v_cndmask_b32_e32 v2, v2, v19, vcc
	v_lshlrev_b32_e32 v18, 24, v18
	v_lshlrev_b32_e32 v2, 20, v2
	v_and_b32_e32 v18, 0x80000000, v18
	v_lshl_add_u32 v9, v9, 23, v62
	v_or3_b32 v2, v18, v9, v2
.LBB6_1452:                             ;   in Loop: Header=BB6_126 Depth=2
	s_or_b64 exec, exec, s[88:89]
.LBB6_1453:                             ;   in Loop: Header=BB6_126 Depth=2
	s_or_b64 exec, exec, s[78:79]
.LBB6_1454:                             ;   in Loop: Header=BB6_126 Depth=2
	s_or_b64 exec, exec, s[20:21]
	v_add_f32_e32 v3, v3, v2
	v_and_b32_e32 v60, 0x7f800000, v3
	v_cmp_ne_u64_e32 vcc, s[56:57], v[60:61]
                                        ; implicit-def: $vgpr9
	s_and_saveexec_b64 s[20:21], vcc
	s_xor_b64 s[78:79], exec, s[20:21]
	s_cbranch_execz .LBB6_1468
; %bb.1455:                             ;   in Loop: Header=BB6_126 Depth=2
	v_and_b32_e32 v60, 0x7fffffff, v3
	v_cmp_gt_u64_e32 vcc, s[58:59], v[60:61]
	v_and_b32_sdwa v2, v3, s52 dst_sel:DWORD dst_unused:UNUSED_PAD src0_sel:BYTE_3 src1_sel:DWORD
                                        ; implicit-def: $vgpr9
	s_and_saveexec_b64 s[20:21], vcc
	s_xor_b64 s[88:89], exec, s[20:21]
	s_cbranch_execz .LBB6_1465
; %bb.1456:                             ;   in Loop: Header=BB6_126 Depth=2
	v_mov_b32_e32 v9, 0
	v_cmp_ne_u32_e32 vcc, 0, v3
	s_and_saveexec_b64 s[90:91], vcc
	s_cbranch_execz .LBB6_1464
; %bb.1457:                             ;   in Loop: Header=BB6_126 Depth=2
	v_and_b32_e32 v18, 0x7fffff, v3
	v_bfe_u32 v3, v3, 23, 8
	v_cmp_gt_u32_e64 s[20:21], s54, v3
	v_sub_u32_e32 v9, 0x79, v3
	v_cmp_eq_u32_e32 vcc, 0, v3
	v_cndmask_b32_e64 v9, 0, v9, s[20:21]
	v_mov_b32_e32 v20, 0x78
	v_or_b32_e32 v19, 0x800000, v18
	v_cndmask_b32_e32 v9, v9, v20, vcc
	v_cndmask_b32_e32 v60, v19, v18, vcc
	v_add_u32_e32 v18, 20, v9
	v_lshlrev_b64 v[18:19], v18, -1
	v_add_u32_e32 v20, 19, v9
	v_lshlrev_b64 v[20:21], v20, 1
	v_bfi_b32 v19, v19, 0, 0
	v_bfi_b32 v18, v18, 0, v60
	v_cmp_eq_u64_e64 s[20:21], v[18:19], v[20:21]
	v_lshrrev_b64 v[18:19], v9, v[60:61]
	v_mov_b32_e32 v20, v19
	v_mov_b32_e32 v19, v18
	s_and_saveexec_b64 s[92:93], s[20:21]
; %bb.1458:                             ;   in Loop: Header=BB6_126 Depth=2
	v_bfe_u32 v19, v18, 20, 1
	v_add_co_u32_e64 v19, s[20:21], v18, v19
	v_add_co_u32_e64 v19, s[20:21], -1, v19
; %bb.1459:                             ;   in Loop: Header=BB6_126 Depth=2
	s_or_b64 exec, exec, s[92:93]
	v_add_u32_e32 v3, 0xffffff81, v3
	v_mov_b32_e32 v20, 0xffffff82
	v_cndmask_b32_e32 v3, v3, v20, vcc
	v_lshrrev_b32_e32 v20, 23, v18
	v_add3_u32 v20, v9, v3, v20
	v_add_u32_e32 v9, 6, v20
	v_and_b32_e32 v3, 0xfffff, v19
	v_add_u32_e32 v60, v3, v18
	v_cmp_ne_u32_e32 vcc, 0, v9
                                        ; implicit-def: $vgpr18_vgpr19
                                        ; implicit-def: $vgpr3
	s_and_saveexec_b64 s[20:21], vcc
	s_xor_b64 s[20:21], exec, s[20:21]
; %bb.1460:                             ;   in Loop: Header=BB6_126 Depth=2
	v_cmp_lt_u64_e32 vcc, s[60:61], v[60:61]
	v_add_u32_e32 v3, 7, v20
	v_cndmask_b32_e32 v3, v9, v3, vcc
	v_cndmask_b32_e64 v9, 0, 1, vcc
	v_lshrrev_b64 v[18:19], v9, v[60:61]
; %bb.1461:                             ;   in Loop: Header=BB6_126 Depth=2
	s_andn2_saveexec_b64 s[20:21], s[20:21]
; %bb.1462:                             ;   in Loop: Header=BB6_126 Depth=2
	v_mov_b32_e32 v18, v60
	v_bfe_u32 v3, v60, 23, 1
	v_mov_b32_e32 v19, v61
; %bb.1463:                             ;   in Loop: Header=BB6_126 Depth=2
	s_or_b64 exec, exec, s[20:21]
	v_lshrrev_b64 v[18:19], 20, v[18:19]
	v_cmp_gt_i32_e32 vcc, 16, v3
	v_cndmask_b32_e32 v19, 0, v19, vcc
	v_cndmask_b32_e32 v18, 7, v18, vcc
	v_cmp_eq_u32_e32 vcc, 0, v3
	v_min_i32_e32 v3, 15, v3
	v_cmp_eq_u64_e64 s[20:21], 0, v[18:19]
	v_lshlrev_b32_e32 v3, 3, v3
	v_and_b32_e32 v3, 0xf8, v3
	v_and_or_b32 v3, v18, 7, v3
	s_and_b64 s[20:21], vcc, s[20:21]
	v_cndmask_b32_e64 v3, v3, 0, s[20:21]
	v_or_b32_e32 v9, v3, v2
.LBB6_1464:                             ;   in Loop: Header=BB6_126 Depth=2
	s_or_b64 exec, exec, s[90:91]
                                        ; implicit-def: $vgpr2
.LBB6_1465:                             ;   in Loop: Header=BB6_126 Depth=2
	s_andn2_saveexec_b64 s[20:21], s[88:89]
; %bb.1466:                             ;   in Loop: Header=BB6_126 Depth=2
	v_or_b32_e32 v9, 0x7e, v2
; %bb.1467:                             ;   in Loop: Header=BB6_126 Depth=2
	s_or_b64 exec, exec, s[20:21]
                                        ; implicit-def: $vgpr3
.LBB6_1468:                             ;   in Loop: Header=BB6_126 Depth=2
	s_andn2_saveexec_b64 s[20:21], s[78:79]
; %bb.1469:                             ;   in Loop: Header=BB6_126 Depth=2
	v_or_b32_sdwa v9, v3, s53 dst_sel:DWORD dst_unused:UNUSED_PAD src0_sel:BYTE_3 src1_sel:DWORD
; %bb.1470:                             ;   in Loop: Header=BB6_126 Depth=2
	s_or_b64 exec, exec, s[20:21]
	v_cmp_ne_u16_sdwa s[78:79], v14, v61 src0_sel:BYTE_0 src1_sel:DWORD
	v_mov_b32_e32 v2, 0
	v_mov_b32_e32 v3, 0
	s_and_saveexec_b64 s[20:21], s[78:79]
	s_cbranch_execz .LBB6_1476
; %bb.1471:                             ;   in Loop: Header=BB6_126 Depth=2
	v_cmp_ne_u16_sdwa s[88:89], v14, s52 src0_sel:BYTE_0 src1_sel:DWORD
	v_bfrev_b32_e32 v3, 1
	s_and_saveexec_b64 s[78:79], s[88:89]
	s_cbranch_execz .LBB6_1475
; %bb.1472:                             ;   in Loop: Header=BB6_126 Depth=2
	v_and_b32_e32 v18, 0x7f, v14
	v_cmp_ne_u32_e32 vcc, s53, v18
	v_mov_b32_e32 v3, 0x7f800001
	s_and_saveexec_b64 s[88:89], vcc
	s_cbranch_execz .LBB6_1474
; %bb.1473:                             ;   in Loop: Header=BB6_126 Depth=2
	v_and_b32_e32 v3, 7, v14
	v_ffbh_u32_e32 v3, v3
	v_min_u32_e32 v3, 32, v3
	v_lshrrev_b32_e32 v19, 3, v18
	v_cmp_gt_u32_e32 vcc, 8, v18
	v_subrev_u32_e32 v18, 28, v3
	v_sub_u32_e32 v3, 29, v3
	v_cndmask_b32_e32 v18, 0, v18, vcc
	v_cndmask_b32_e32 v3, v19, v3, vcc
	v_lshlrev_b64 v[18:19], v18, v[14:15]
	v_lshlrev_b32_e32 v19, 24, v14
	v_lshlrev_b32_e32 v18, 20, v18
	v_and_b32_e32 v18, 0x700000, v18
	v_and_b32_e32 v19, 0x80000000, v19
	v_lshl_add_u32 v3, v3, 23, v62
	v_or3_b32 v3, v19, v3, v18
.LBB6_1474:                             ;   in Loop: Header=BB6_126 Depth=2
	s_or_b64 exec, exec, s[88:89]
.LBB6_1475:                             ;   in Loop: Header=BB6_126 Depth=2
	s_or_b64 exec, exec, s[78:79]
.LBB6_1476:                             ;   in Loop: Header=BB6_126 Depth=2
	s_or_b64 exec, exec, s[20:21]
	s_waitcnt vmcnt(0)
	v_cmp_ne_u16_sdwa s[78:79], v10, v61 src0_sel:BYTE_0 src1_sel:DWORD
	s_and_saveexec_b64 s[20:21], s[78:79]
	s_cbranch_execz .LBB6_1482
; %bb.1477:                             ;   in Loop: Header=BB6_126 Depth=2
	v_cmp_ne_u16_sdwa s[88:89], v10, s52 src0_sel:BYTE_0 src1_sel:DWORD
	v_bfrev_b32_e32 v2, 1
	s_and_saveexec_b64 s[78:79], s[88:89]
	s_cbranch_execz .LBB6_1481
; %bb.1478:                             ;   in Loop: Header=BB6_126 Depth=2
	v_and_b32_e32 v18, 0x7f, v10
	v_cmp_ne_u32_e32 vcc, s53, v18
	v_mov_b32_e32 v2, 0x7f800001
	s_and_saveexec_b64 s[88:89], vcc
	s_cbranch_execz .LBB6_1480
; %bb.1479:                             ;   in Loop: Header=BB6_126 Depth=2
	v_and_b32_e32 v2, 7, v10
	v_ffbh_u32_e32 v2, v2
	v_min_u32_e32 v2, 32, v2
	v_lshrrev_b32_e32 v19, 3, v18
	v_cmp_gt_u32_e32 vcc, 8, v18
	v_subrev_u32_e32 v18, 28, v2
	v_sub_u32_e32 v2, 29, v2
	v_cndmask_b32_e32 v18, 0, v18, vcc
	v_cndmask_b32_e32 v2, v19, v2, vcc
	v_lshlrev_b64 v[18:19], v18, v[10:11]
	v_lshlrev_b32_e32 v19, 24, v10
	v_lshlrev_b32_e32 v18, 20, v18
	v_and_b32_e32 v18, 0x700000, v18
	v_and_b32_e32 v19, 0x80000000, v19
	v_lshl_add_u32 v2, v2, 23, v62
	v_or3_b32 v2, v19, v2, v18
.LBB6_1480:                             ;   in Loop: Header=BB6_126 Depth=2
	s_or_b64 exec, exec, s[88:89]
.LBB6_1481:                             ;   in Loop: Header=BB6_126 Depth=2
	s_or_b64 exec, exec, s[78:79]
.LBB6_1482:                             ;   in Loop: Header=BB6_126 Depth=2
	s_or_b64 exec, exec, s[20:21]
	v_add_f32_e32 v3, v3, v2
	v_and_b32_e32 v60, 0x7f800000, v3
	v_cmp_ne_u64_e32 vcc, s[56:57], v[60:61]
                                        ; implicit-def: $vgpr21
	s_and_saveexec_b64 s[20:21], vcc
	s_xor_b64 s[78:79], exec, s[20:21]
	s_cbranch_execz .LBB6_1496
; %bb.1483:                             ;   in Loop: Header=BB6_126 Depth=2
	v_and_b32_e32 v60, 0x7fffffff, v3
	v_cmp_gt_u64_e32 vcc, s[58:59], v[60:61]
	v_and_b32_sdwa v2, v3, s52 dst_sel:DWORD dst_unused:UNUSED_PAD src0_sel:BYTE_3 src1_sel:DWORD
                                        ; implicit-def: $vgpr21
	s_and_saveexec_b64 s[20:21], vcc
	s_xor_b64 s[88:89], exec, s[20:21]
	s_cbranch_execz .LBB6_1493
; %bb.1484:                             ;   in Loop: Header=BB6_126 Depth=2
	v_mov_b32_e32 v21, 0
	v_cmp_ne_u32_e32 vcc, 0, v3
	s_and_saveexec_b64 s[90:91], vcc
	s_cbranch_execz .LBB6_1492
; %bb.1485:                             ;   in Loop: Header=BB6_126 Depth=2
	v_and_b32_e32 v18, 0x7fffff, v3
	v_bfe_u32 v3, v3, 23, 8
	v_cmp_gt_u32_e64 s[20:21], s54, v3
	v_sub_u32_e32 v19, 0x79, v3
	v_cmp_eq_u32_e32 vcc, 0, v3
	v_cndmask_b32_e64 v19, 0, v19, s[20:21]
	v_mov_b32_e32 v21, 0x78
	v_or_b32_e32 v20, 0x800000, v18
	v_cndmask_b32_e32 v21, v19, v21, vcc
	v_cndmask_b32_e32 v60, v20, v18, vcc
	v_add_u32_e32 v18, 20, v21
	v_lshlrev_b64 v[18:19], v18, -1
	v_add_u32_e32 v20, 19, v21
	v_lshlrev_b64 v[22:23], v20, 1
	v_bfi_b32 v19, v19, 0, 0
	v_bfi_b32 v18, v18, 0, v60
	v_cmp_eq_u64_e64 s[20:21], v[18:19], v[22:23]
	v_lshrrev_b64 v[18:19], v21, v[60:61]
	v_mov_b32_e32 v20, v19
	v_mov_b32_e32 v19, v18
	s_and_saveexec_b64 s[92:93], s[20:21]
; %bb.1486:                             ;   in Loop: Header=BB6_126 Depth=2
	v_bfe_u32 v19, v18, 20, 1
	v_add_co_u32_e64 v19, s[20:21], v18, v19
	v_add_co_u32_e64 v19, s[20:21], -1, v19
; %bb.1487:                             ;   in Loop: Header=BB6_126 Depth=2
	s_or_b64 exec, exec, s[92:93]
	v_add_u32_e32 v3, 0xffffff81, v3
	v_mov_b32_e32 v20, 0xffffff82
	v_cndmask_b32_e32 v3, v3, v20, vcc
	v_lshrrev_b32_e32 v20, 23, v18
	v_add3_u32 v21, v21, v3, v20
	v_add_u32_e32 v20, 6, v21
	v_and_b32_e32 v3, 0xfffff, v19
	v_add_u32_e32 v60, v3, v18
	v_cmp_ne_u32_e32 vcc, 0, v20
                                        ; implicit-def: $vgpr18_vgpr19
                                        ; implicit-def: $vgpr3
	s_and_saveexec_b64 s[20:21], vcc
	s_xor_b64 s[20:21], exec, s[20:21]
; %bb.1488:                             ;   in Loop: Header=BB6_126 Depth=2
	v_cmp_lt_u64_e32 vcc, s[60:61], v[60:61]
	v_add_u32_e32 v3, 7, v21
	v_cndmask_b32_e64 v18, 0, 1, vcc
	v_lshrrev_b64 v[18:19], v18, v[60:61]
	v_cndmask_b32_e32 v3, v20, v3, vcc
; %bb.1489:                             ;   in Loop: Header=BB6_126 Depth=2
	s_andn2_saveexec_b64 s[20:21], s[20:21]
; %bb.1490:                             ;   in Loop: Header=BB6_126 Depth=2
	v_mov_b32_e32 v18, v60
	v_bfe_u32 v3, v60, 23, 1
	v_mov_b32_e32 v19, v61
; %bb.1491:                             ;   in Loop: Header=BB6_126 Depth=2
	s_or_b64 exec, exec, s[20:21]
	v_lshrrev_b64 v[18:19], 20, v[18:19]
	v_cmp_gt_i32_e32 vcc, 16, v3
	v_cndmask_b32_e32 v19, 0, v19, vcc
	v_cndmask_b32_e32 v18, 7, v18, vcc
	v_cmp_eq_u32_e32 vcc, 0, v3
	v_min_i32_e32 v3, 15, v3
	v_cmp_eq_u64_e64 s[20:21], 0, v[18:19]
	v_lshlrev_b32_e32 v3, 3, v3
	v_and_b32_e32 v3, 0xf8, v3
	v_and_or_b32 v3, v18, 7, v3
	s_and_b64 s[20:21], vcc, s[20:21]
	v_cndmask_b32_e64 v3, v3, 0, s[20:21]
	v_or_b32_e32 v21, v3, v2
.LBB6_1492:                             ;   in Loop: Header=BB6_126 Depth=2
	s_or_b64 exec, exec, s[90:91]
                                        ; implicit-def: $vgpr2
.LBB6_1493:                             ;   in Loop: Header=BB6_126 Depth=2
	s_andn2_saveexec_b64 s[20:21], s[88:89]
; %bb.1494:                             ;   in Loop: Header=BB6_126 Depth=2
	v_or_b32_e32 v21, 0x7e, v2
; %bb.1495:                             ;   in Loop: Header=BB6_126 Depth=2
	s_or_b64 exec, exec, s[20:21]
                                        ; implicit-def: $vgpr3
.LBB6_1496:                             ;   in Loop: Header=BB6_126 Depth=2
	s_andn2_saveexec_b64 s[20:21], s[78:79]
; %bb.1497:                             ;   in Loop: Header=BB6_126 Depth=2
	v_or_b32_sdwa v21, v3, s53 dst_sel:DWORD dst_unused:UNUSED_PAD src0_sel:BYTE_3 src1_sel:DWORD
; %bb.1498:                             ;   in Loop: Header=BB6_126 Depth=2
	s_or_b64 exec, exec, s[20:21]
	v_lshrrev_b16_e32 v18, 8, v14
	v_cmp_ne_u16_e32 vcc, 0, v18
	v_mov_b32_e32 v2, 0
	v_mov_b32_e32 v3, 0
	s_and_saveexec_b64 s[20:21], vcc
	s_cbranch_execz .LBB6_1504
; %bb.1499:                             ;   in Loop: Header=BB6_126 Depth=2
	v_cmp_ne_u16_e32 vcc, s52, v18
	v_bfrev_b32_e32 v3, 1
	s_and_saveexec_b64 s[78:79], vcc
	s_cbranch_execz .LBB6_1503
; %bb.1500:                             ;   in Loop: Header=BB6_126 Depth=2
	v_and_b32_e32 v19, 0x7f, v18
	v_cmp_ne_u32_e32 vcc, s53, v19
	v_mov_b32_e32 v3, 0x7f800001
	s_and_saveexec_b64 s[88:89], vcc
	s_cbranch_execz .LBB6_1502
; %bb.1501:                             ;   in Loop: Header=BB6_126 Depth=2
	v_and_b32_e32 v3, 7, v18
	v_lshrrev_b32_e32 v20, 3, v19
	v_cmp_gt_u32_e32 vcc, 8, v19
	v_ffbh_u32_e32 v19, v3
	v_min_u32_e32 v22, 32, v19
	v_subrev_u32_e32 v19, 28, v22
	v_lshlrev_b64 v[18:19], v19, v[18:19]
	v_sub_u32_e32 v19, 29, v22
	v_and_b32_e32 v18, 7, v18
	v_cndmask_b32_e32 v19, v20, v19, vcc
	v_cndmask_b32_e32 v3, v3, v18, vcc
	v_lshlrev_b32_e32 v18, 16, v14
	v_lshlrev_b32_e32 v3, 20, v3
	v_and_b32_e32 v18, 0x80000000, v18
	v_lshl_add_u32 v19, v19, 23, v62
	v_or3_b32 v3, v18, v19, v3
.LBB6_1502:                             ;   in Loop: Header=BB6_126 Depth=2
	s_or_b64 exec, exec, s[88:89]
.LBB6_1503:                             ;   in Loop: Header=BB6_126 Depth=2
	s_or_b64 exec, exec, s[78:79]
.LBB6_1504:                             ;   in Loop: Header=BB6_126 Depth=2
	s_or_b64 exec, exec, s[20:21]
	v_lshrrev_b16_e32 v18, 8, v10
	v_cmp_ne_u16_e32 vcc, 0, v18
	s_and_saveexec_b64 s[20:21], vcc
	s_cbranch_execz .LBB6_1510
; %bb.1505:                             ;   in Loop: Header=BB6_126 Depth=2
	v_cmp_ne_u16_e32 vcc, s52, v18
	v_bfrev_b32_e32 v2, 1
	s_and_saveexec_b64 s[78:79], vcc
	s_cbranch_execz .LBB6_1509
; %bb.1506:                             ;   in Loop: Header=BB6_126 Depth=2
	v_and_b32_e32 v19, 0x7f, v18
	v_cmp_ne_u32_e32 vcc, s53, v19
	v_mov_b32_e32 v2, 0x7f800001
	s_and_saveexec_b64 s[88:89], vcc
	s_cbranch_execz .LBB6_1508
; %bb.1507:                             ;   in Loop: Header=BB6_126 Depth=2
	v_and_b32_e32 v2, 7, v18
	v_lshrrev_b32_e32 v20, 3, v19
	v_cmp_gt_u32_e32 vcc, 8, v19
	v_ffbh_u32_e32 v19, v2
	v_min_u32_e32 v22, 32, v19
	v_subrev_u32_e32 v19, 28, v22
	v_lshlrev_b64 v[18:19], v19, v[18:19]
	v_sub_u32_e32 v19, 29, v22
	v_and_b32_e32 v18, 7, v18
	v_cndmask_b32_e32 v19, v20, v19, vcc
	v_cndmask_b32_e32 v2, v2, v18, vcc
	v_lshlrev_b32_e32 v18, 16, v10
	v_lshlrev_b32_e32 v2, 20, v2
	v_and_b32_e32 v18, 0x80000000, v18
	v_lshl_add_u32 v19, v19, 23, v62
	v_or3_b32 v2, v18, v19, v2
.LBB6_1508:                             ;   in Loop: Header=BB6_126 Depth=2
	s_or_b64 exec, exec, s[88:89]
.LBB6_1509:                             ;   in Loop: Header=BB6_126 Depth=2
	s_or_b64 exec, exec, s[78:79]
.LBB6_1510:                             ;   in Loop: Header=BB6_126 Depth=2
	s_or_b64 exec, exec, s[20:21]
	v_add_f32_e32 v3, v3, v2
	v_and_b32_e32 v60, 0x7f800000, v3
	v_cmp_ne_u64_e32 vcc, s[56:57], v[60:61]
                                        ; implicit-def: $vgpr22
	s_and_saveexec_b64 s[20:21], vcc
	s_xor_b64 s[78:79], exec, s[20:21]
	s_cbranch_execz .LBB6_1524
; %bb.1511:                             ;   in Loop: Header=BB6_126 Depth=2
	v_and_b32_e32 v60, 0x7fffffff, v3
	v_cmp_gt_u64_e32 vcc, s[58:59], v[60:61]
	v_and_b32_sdwa v2, v3, s52 dst_sel:DWORD dst_unused:UNUSED_PAD src0_sel:BYTE_3 src1_sel:DWORD
                                        ; implicit-def: $vgpr22
	s_and_saveexec_b64 s[20:21], vcc
	s_xor_b64 s[88:89], exec, s[20:21]
	s_cbranch_execz .LBB6_1521
; %bb.1512:                             ;   in Loop: Header=BB6_126 Depth=2
	v_mov_b32_e32 v22, 0
	v_cmp_ne_u32_e32 vcc, 0, v3
	s_and_saveexec_b64 s[90:91], vcc
	s_cbranch_execz .LBB6_1520
; %bb.1513:                             ;   in Loop: Header=BB6_126 Depth=2
	v_and_b32_e32 v18, 0x7fffff, v3
	v_bfe_u32 v3, v3, 23, 8
	v_cmp_gt_u32_e64 s[20:21], s54, v3
	v_sub_u32_e32 v19, 0x79, v3
	v_cmp_eq_u32_e32 vcc, 0, v3
	v_cndmask_b32_e64 v19, 0, v19, s[20:21]
	v_mov_b32_e32 v22, 0x78
	v_or_b32_e32 v20, 0x800000, v18
	v_cndmask_b32_e32 v22, v19, v22, vcc
	v_cndmask_b32_e32 v60, v20, v18, vcc
	v_add_u32_e32 v18, 20, v22
	v_lshlrev_b64 v[18:19], v18, -1
	v_add_u32_e32 v20, 19, v22
	v_lshlrev_b64 v[23:24], v20, 1
	v_bfi_b32 v19, v19, 0, 0
	v_bfi_b32 v18, v18, 0, v60
	v_cmp_eq_u64_e64 s[20:21], v[18:19], v[23:24]
	v_lshrrev_b64 v[18:19], v22, v[60:61]
	v_mov_b32_e32 v20, v19
	v_mov_b32_e32 v19, v18
	s_and_saveexec_b64 s[92:93], s[20:21]
; %bb.1514:                             ;   in Loop: Header=BB6_126 Depth=2
	v_bfe_u32 v19, v18, 20, 1
	v_add_co_u32_e64 v19, s[20:21], v18, v19
	v_add_co_u32_e64 v19, s[20:21], -1, v19
; %bb.1515:                             ;   in Loop: Header=BB6_126 Depth=2
	s_or_b64 exec, exec, s[92:93]
	v_add_u32_e32 v3, 0xffffff81, v3
	v_mov_b32_e32 v20, 0xffffff82
	v_cndmask_b32_e32 v3, v3, v20, vcc
	v_lshrrev_b32_e32 v20, 23, v18
	v_add3_u32 v22, v22, v3, v20
	v_add_u32_e32 v20, 6, v22
	v_and_b32_e32 v3, 0xfffff, v19
	v_add_u32_e32 v60, v3, v18
	v_cmp_ne_u32_e32 vcc, 0, v20
                                        ; implicit-def: $vgpr18_vgpr19
                                        ; implicit-def: $vgpr3
	s_and_saveexec_b64 s[20:21], vcc
	s_xor_b64 s[20:21], exec, s[20:21]
; %bb.1516:                             ;   in Loop: Header=BB6_126 Depth=2
	v_cmp_lt_u64_e32 vcc, s[60:61], v[60:61]
	v_add_u32_e32 v3, 7, v22
	v_cndmask_b32_e64 v18, 0, 1, vcc
	v_lshrrev_b64 v[18:19], v18, v[60:61]
	v_cndmask_b32_e32 v3, v20, v3, vcc
; %bb.1517:                             ;   in Loop: Header=BB6_126 Depth=2
	s_andn2_saveexec_b64 s[20:21], s[20:21]
; %bb.1518:                             ;   in Loop: Header=BB6_126 Depth=2
	v_mov_b32_e32 v18, v60
	v_bfe_u32 v3, v60, 23, 1
	v_mov_b32_e32 v19, v61
; %bb.1519:                             ;   in Loop: Header=BB6_126 Depth=2
	s_or_b64 exec, exec, s[20:21]
	v_lshrrev_b64 v[18:19], 20, v[18:19]
	v_cmp_gt_i32_e32 vcc, 16, v3
	v_cndmask_b32_e32 v19, 0, v19, vcc
	v_cndmask_b32_e32 v18, 7, v18, vcc
	v_cmp_eq_u32_e32 vcc, 0, v3
	v_min_i32_e32 v3, 15, v3
	v_cmp_eq_u64_e64 s[20:21], 0, v[18:19]
	v_lshlrev_b32_e32 v3, 3, v3
	v_and_b32_e32 v3, 0xf8, v3
	v_and_or_b32 v3, v18, 7, v3
	s_and_b64 s[20:21], vcc, s[20:21]
	v_cndmask_b32_e64 v3, v3, 0, s[20:21]
	v_or_b32_e32 v22, v3, v2
.LBB6_1520:                             ;   in Loop: Header=BB6_126 Depth=2
	s_or_b64 exec, exec, s[90:91]
                                        ; implicit-def: $vgpr2
.LBB6_1521:                             ;   in Loop: Header=BB6_126 Depth=2
	s_andn2_saveexec_b64 s[20:21], s[88:89]
; %bb.1522:                             ;   in Loop: Header=BB6_126 Depth=2
	v_or_b32_e32 v22, 0x7e, v2
; %bb.1523:                             ;   in Loop: Header=BB6_126 Depth=2
	s_or_b64 exec, exec, s[20:21]
                                        ; implicit-def: $vgpr3
.LBB6_1524:                             ;   in Loop: Header=BB6_126 Depth=2
	s_andn2_saveexec_b64 s[20:21], s[78:79]
; %bb.1525:                             ;   in Loop: Header=BB6_126 Depth=2
	v_or_b32_sdwa v22, v3, s53 dst_sel:DWORD dst_unused:UNUSED_PAD src0_sel:BYTE_3 src1_sel:DWORD
; %bb.1526:                             ;   in Loop: Header=BB6_126 Depth=2
	s_or_b64 exec, exec, s[20:21]
	v_lshrrev_b32_e32 v18, 16, v14
	v_cmp_ne_u16_sdwa s[78:79], v18, v61 src0_sel:BYTE_0 src1_sel:DWORD
	v_mov_b32_e32 v2, 0
	v_mov_b32_e32 v3, 0
	s_and_saveexec_b64 s[20:21], s[78:79]
	s_cbranch_execz .LBB6_1532
; %bb.1527:                             ;   in Loop: Header=BB6_126 Depth=2
	v_cmp_ne_u16_sdwa s[88:89], v18, s52 src0_sel:BYTE_0 src1_sel:DWORD
	v_bfrev_b32_e32 v3, 1
	s_and_saveexec_b64 s[78:79], s[88:89]
	s_cbranch_execz .LBB6_1531
; %bb.1528:                             ;   in Loop: Header=BB6_126 Depth=2
	v_bfe_u32 v19, v14, 16, 7
	v_cmp_ne_u32_e32 vcc, s53, v19
	v_mov_b32_e32 v3, 0x7f800001
	s_and_saveexec_b64 s[88:89], vcc
	s_cbranch_execz .LBB6_1530
; %bb.1529:                             ;   in Loop: Header=BB6_126 Depth=2
	v_and_b32_e32 v3, 7, v18
	v_lshrrev_b32_e32 v23, 3, v19
	v_cmp_gt_u32_e32 vcc, 8, v19
	v_ffbh_u32_e32 v19, v3
	v_min_u32_e32 v24, 32, v19
	v_subrev_u32_e32 v19, 28, v24
	v_lshlrev_b64 v[19:20], v19, v[18:19]
	v_sub_u32_e32 v20, 29, v24
	v_and_b32_e32 v19, 7, v19
	v_cndmask_b32_e32 v20, v23, v20, vcc
	v_cndmask_b32_e32 v3, v3, v19, vcc
	v_lshlrev_b32_e32 v18, 24, v18
	v_lshlrev_b32_e32 v3, 20, v3
	v_and_b32_e32 v18, 0x80000000, v18
	v_lshl_add_u32 v19, v20, 23, v62
	v_or3_b32 v3, v18, v19, v3
.LBB6_1530:                             ;   in Loop: Header=BB6_126 Depth=2
	s_or_b64 exec, exec, s[88:89]
.LBB6_1531:                             ;   in Loop: Header=BB6_126 Depth=2
	s_or_b64 exec, exec, s[78:79]
.LBB6_1532:                             ;   in Loop: Header=BB6_126 Depth=2
	s_or_b64 exec, exec, s[20:21]
	v_lshrrev_b32_e32 v18, 16, v10
	v_cmp_ne_u16_sdwa s[78:79], v18, v61 src0_sel:BYTE_0 src1_sel:DWORD
	s_and_saveexec_b64 s[20:21], s[78:79]
	s_cbranch_execz .LBB6_1538
; %bb.1533:                             ;   in Loop: Header=BB6_126 Depth=2
	v_cmp_ne_u16_sdwa s[88:89], v18, s52 src0_sel:BYTE_0 src1_sel:DWORD
	v_bfrev_b32_e32 v2, 1
	s_and_saveexec_b64 s[78:79], s[88:89]
	s_cbranch_execz .LBB6_1537
; %bb.1534:                             ;   in Loop: Header=BB6_126 Depth=2
	v_bfe_u32 v19, v10, 16, 7
	v_cmp_ne_u32_e32 vcc, s53, v19
	v_mov_b32_e32 v2, 0x7f800001
	s_and_saveexec_b64 s[88:89], vcc
	s_cbranch_execz .LBB6_1536
; %bb.1535:                             ;   in Loop: Header=BB6_126 Depth=2
	v_and_b32_e32 v2, 7, v18
	v_lshrrev_b32_e32 v20, 3, v19
	v_cmp_gt_u32_e32 vcc, 8, v19
	v_ffbh_u32_e32 v19, v2
	v_min_u32_e32 v23, 32, v19
	v_subrev_u32_e32 v19, 28, v23
	v_lshlrev_b64 v[18:19], v19, v[18:19]
	v_sub_u32_e32 v19, 29, v23
	v_and_b32_e32 v18, 7, v18
	v_cndmask_b32_e32 v19, v20, v19, vcc
	v_cndmask_b32_e32 v2, v2, v18, vcc
	v_lshlrev_b32_e32 v18, 8, v10
	v_lshlrev_b32_e32 v2, 20, v2
	v_and_b32_e32 v18, 0x80000000, v18
	v_lshl_add_u32 v19, v19, 23, v62
	v_or3_b32 v2, v18, v19, v2
.LBB6_1536:                             ;   in Loop: Header=BB6_126 Depth=2
	s_or_b64 exec, exec, s[88:89]
.LBB6_1537:                             ;   in Loop: Header=BB6_126 Depth=2
	s_or_b64 exec, exec, s[78:79]
.LBB6_1538:                             ;   in Loop: Header=BB6_126 Depth=2
	s_or_b64 exec, exec, s[20:21]
	v_add_f32_e32 v3, v3, v2
	v_and_b32_e32 v60, 0x7f800000, v3
	v_cmp_ne_u64_e32 vcc, s[56:57], v[60:61]
                                        ; implicit-def: $vgpr23
	s_and_saveexec_b64 s[20:21], vcc
	s_xor_b64 s[78:79], exec, s[20:21]
	s_cbranch_execz .LBB6_1552
; %bb.1539:                             ;   in Loop: Header=BB6_126 Depth=2
	v_and_b32_e32 v60, 0x7fffffff, v3
	v_cmp_gt_u64_e32 vcc, s[58:59], v[60:61]
	v_and_b32_sdwa v2, v3, s52 dst_sel:DWORD dst_unused:UNUSED_PAD src0_sel:BYTE_3 src1_sel:DWORD
                                        ; implicit-def: $vgpr23
	s_and_saveexec_b64 s[20:21], vcc
	s_xor_b64 s[88:89], exec, s[20:21]
	s_cbranch_execz .LBB6_1549
; %bb.1540:                             ;   in Loop: Header=BB6_126 Depth=2
	v_mov_b32_e32 v23, 0
	v_cmp_ne_u32_e32 vcc, 0, v3
	s_and_saveexec_b64 s[90:91], vcc
	s_cbranch_execz .LBB6_1548
; %bb.1541:                             ;   in Loop: Header=BB6_126 Depth=2
	v_and_b32_e32 v18, 0x7fffff, v3
	v_bfe_u32 v3, v3, 23, 8
	v_cmp_gt_u32_e64 s[20:21], s54, v3
	v_sub_u32_e32 v19, 0x79, v3
	v_cmp_eq_u32_e32 vcc, 0, v3
	v_cndmask_b32_e64 v19, 0, v19, s[20:21]
	v_mov_b32_e32 v23, 0x78
	v_or_b32_e32 v20, 0x800000, v18
	v_cndmask_b32_e32 v23, v19, v23, vcc
	v_cndmask_b32_e32 v60, v20, v18, vcc
	v_add_u32_e32 v18, 20, v23
	v_lshlrev_b64 v[18:19], v18, -1
	v_add_u32_e32 v20, 19, v23
	v_lshlrev_b64 v[24:25], v20, 1
	v_bfi_b32 v19, v19, 0, 0
	v_bfi_b32 v18, v18, 0, v60
	v_cmp_eq_u64_e64 s[20:21], v[18:19], v[24:25]
	v_lshrrev_b64 v[18:19], v23, v[60:61]
	v_mov_b32_e32 v20, v19
	v_mov_b32_e32 v19, v18
	s_and_saveexec_b64 s[92:93], s[20:21]
; %bb.1542:                             ;   in Loop: Header=BB6_126 Depth=2
	v_bfe_u32 v19, v18, 20, 1
	v_add_co_u32_e64 v19, s[20:21], v18, v19
	v_add_co_u32_e64 v19, s[20:21], -1, v19
; %bb.1543:                             ;   in Loop: Header=BB6_126 Depth=2
	s_or_b64 exec, exec, s[92:93]
	v_add_u32_e32 v3, 0xffffff81, v3
	v_mov_b32_e32 v20, 0xffffff82
	v_cndmask_b32_e32 v3, v3, v20, vcc
	v_lshrrev_b32_e32 v20, 23, v18
	v_add3_u32 v23, v23, v3, v20
	v_add_u32_e32 v20, 6, v23
	v_and_b32_e32 v3, 0xfffff, v19
	v_add_u32_e32 v60, v3, v18
	v_cmp_ne_u32_e32 vcc, 0, v20
                                        ; implicit-def: $vgpr18_vgpr19
                                        ; implicit-def: $vgpr3
	s_and_saveexec_b64 s[20:21], vcc
	s_xor_b64 s[20:21], exec, s[20:21]
; %bb.1544:                             ;   in Loop: Header=BB6_126 Depth=2
	v_cmp_lt_u64_e32 vcc, s[60:61], v[60:61]
	v_add_u32_e32 v3, 7, v23
	v_cndmask_b32_e64 v18, 0, 1, vcc
	v_lshrrev_b64 v[18:19], v18, v[60:61]
	v_cndmask_b32_e32 v3, v20, v3, vcc
; %bb.1545:                             ;   in Loop: Header=BB6_126 Depth=2
	s_andn2_saveexec_b64 s[20:21], s[20:21]
; %bb.1546:                             ;   in Loop: Header=BB6_126 Depth=2
	v_mov_b32_e32 v18, v60
	v_bfe_u32 v3, v60, 23, 1
	v_mov_b32_e32 v19, v61
; %bb.1547:                             ;   in Loop: Header=BB6_126 Depth=2
	s_or_b64 exec, exec, s[20:21]
	v_lshrrev_b64 v[18:19], 20, v[18:19]
	v_cmp_gt_i32_e32 vcc, 16, v3
	v_cndmask_b32_e32 v19, 0, v19, vcc
	v_cndmask_b32_e32 v18, 7, v18, vcc
	v_cmp_eq_u32_e32 vcc, 0, v3
	v_min_i32_e32 v3, 15, v3
	v_cmp_eq_u64_e64 s[20:21], 0, v[18:19]
	v_lshlrev_b32_e32 v3, 3, v3
	v_and_b32_e32 v3, 0xf8, v3
	v_and_or_b32 v3, v18, 7, v3
	s_and_b64 s[20:21], vcc, s[20:21]
	v_cndmask_b32_e64 v3, v3, 0, s[20:21]
	v_or_b32_e32 v23, v3, v2
.LBB6_1548:                             ;   in Loop: Header=BB6_126 Depth=2
	s_or_b64 exec, exec, s[90:91]
                                        ; implicit-def: $vgpr2
.LBB6_1549:                             ;   in Loop: Header=BB6_126 Depth=2
	s_andn2_saveexec_b64 s[20:21], s[88:89]
; %bb.1550:                             ;   in Loop: Header=BB6_126 Depth=2
	v_or_b32_e32 v23, 0x7e, v2
; %bb.1551:                             ;   in Loop: Header=BB6_126 Depth=2
	s_or_b64 exec, exec, s[20:21]
                                        ; implicit-def: $vgpr3
.LBB6_1552:                             ;   in Loop: Header=BB6_126 Depth=2
	s_andn2_saveexec_b64 s[20:21], s[78:79]
; %bb.1553:                             ;   in Loop: Header=BB6_126 Depth=2
	v_or_b32_sdwa v23, v3, s53 dst_sel:DWORD dst_unused:UNUSED_PAD src0_sel:BYTE_3 src1_sel:DWORD
; %bb.1554:                             ;   in Loop: Header=BB6_126 Depth=2
	s_or_b64 exec, exec, s[20:21]
	v_cmp_lt_u32_e32 vcc, s63, v14
	v_mov_b32_e32 v2, 0
	v_mov_b32_e32 v3, 0
	s_and_saveexec_b64 s[20:21], vcc
	s_cbranch_execz .LBB6_1560
; %bb.1555:                             ;   in Loop: Header=BB6_126 Depth=2
	v_lshrrev_b32_e32 v18, 24, v14
	v_cmp_ne_u32_e32 vcc, s52, v18
	v_bfrev_b32_e32 v3, 1
	s_and_saveexec_b64 s[78:79], vcc
	s_cbranch_execz .LBB6_1559
; %bb.1556:                             ;   in Loop: Header=BB6_126 Depth=2
	v_bfe_u32 v19, v14, 24, 7
	v_cmp_ne_u32_e32 vcc, s53, v19
	v_mov_b32_e32 v3, 0x7f800001
	s_and_saveexec_b64 s[88:89], vcc
	s_cbranch_execz .LBB6_1558
; %bb.1557:                             ;   in Loop: Header=BB6_126 Depth=2
	v_and_b32_e32 v3, 7, v18
	v_lshrrev_b32_e32 v24, 3, v19
	v_cmp_gt_u32_e32 vcc, 8, v19
	v_ffbh_u32_e32 v19, v3
	v_min_u32_e32 v25, 32, v19
	v_subrev_u32_e32 v19, 28, v25
	v_lshlrev_b64 v[19:20], v19, v[18:19]
	v_sub_u32_e32 v20, 29, v25
	v_and_b32_e32 v19, 7, v19
	v_cndmask_b32_e32 v20, v24, v20, vcc
	v_cndmask_b32_e32 v3, v3, v19, vcc
	v_lshlrev_b32_e32 v18, 24, v18
	v_lshlrev_b32_e32 v3, 20, v3
	v_and_b32_e32 v18, 0x80000000, v18
	v_lshl_add_u32 v19, v20, 23, v62
	v_or3_b32 v3, v18, v19, v3
.LBB6_1558:                             ;   in Loop: Header=BB6_126 Depth=2
	s_or_b64 exec, exec, s[88:89]
.LBB6_1559:                             ;   in Loop: Header=BB6_126 Depth=2
	s_or_b64 exec, exec, s[78:79]
.LBB6_1560:                             ;   in Loop: Header=BB6_126 Depth=2
	s_or_b64 exec, exec, s[20:21]
	v_cmp_lt_u32_e32 vcc, s63, v10
	s_and_saveexec_b64 s[20:21], vcc
	s_cbranch_execz .LBB6_1566
; %bb.1561:                             ;   in Loop: Header=BB6_126 Depth=2
	v_lshrrev_b32_e32 v18, 24, v10
	v_cmp_ne_u32_e32 vcc, s52, v18
	v_bfrev_b32_e32 v2, 1
	s_and_saveexec_b64 s[78:79], vcc
	s_cbranch_execz .LBB6_1565
; %bb.1562:                             ;   in Loop: Header=BB6_126 Depth=2
	v_bfe_u32 v19, v10, 24, 7
	v_cmp_ne_u32_e32 vcc, s53, v19
	v_mov_b32_e32 v2, 0x7f800001
	s_and_saveexec_b64 s[88:89], vcc
	s_cbranch_execz .LBB6_1564
; %bb.1563:                             ;   in Loop: Header=BB6_126 Depth=2
	v_and_b32_e32 v2, 7, v18
	v_lshrrev_b32_e32 v24, 3, v19
	v_cmp_gt_u32_e32 vcc, 8, v19
	v_ffbh_u32_e32 v19, v2
	v_min_u32_e32 v25, 32, v19
	v_subrev_u32_e32 v19, 28, v25
	v_lshlrev_b64 v[19:20], v19, v[18:19]
	v_sub_u32_e32 v20, 29, v25
	v_and_b32_e32 v19, 7, v19
	v_cndmask_b32_e32 v20, v24, v20, vcc
	v_cndmask_b32_e32 v2, v2, v19, vcc
	v_lshlrev_b32_e32 v18, 24, v18
	v_lshlrev_b32_e32 v2, 20, v2
	v_and_b32_e32 v18, 0x80000000, v18
	v_lshl_add_u32 v19, v20, 23, v62
	v_or3_b32 v2, v18, v19, v2
.LBB6_1564:                             ;   in Loop: Header=BB6_126 Depth=2
	s_or_b64 exec, exec, s[88:89]
.LBB6_1565:                             ;   in Loop: Header=BB6_126 Depth=2
	s_or_b64 exec, exec, s[78:79]
.LBB6_1566:                             ;   in Loop: Header=BB6_126 Depth=2
	s_or_b64 exec, exec, s[20:21]
	v_add_f32_e32 v3, v3, v2
	v_and_b32_e32 v60, 0x7f800000, v3
	v_cmp_ne_u64_e32 vcc, s[56:57], v[60:61]
                                        ; implicit-def: $vgpr24
	s_and_saveexec_b64 s[20:21], vcc
	s_xor_b64 s[78:79], exec, s[20:21]
	s_cbranch_execz .LBB6_1580
; %bb.1567:                             ;   in Loop: Header=BB6_126 Depth=2
	v_and_b32_e32 v60, 0x7fffffff, v3
	v_cmp_gt_u64_e32 vcc, s[58:59], v[60:61]
	v_and_b32_sdwa v2, v3, s52 dst_sel:DWORD dst_unused:UNUSED_PAD src0_sel:BYTE_3 src1_sel:DWORD
                                        ; implicit-def: $vgpr24
	s_and_saveexec_b64 s[20:21], vcc
	s_xor_b64 s[88:89], exec, s[20:21]
	s_cbranch_execz .LBB6_1577
; %bb.1568:                             ;   in Loop: Header=BB6_126 Depth=2
	v_mov_b32_e32 v24, 0
	v_cmp_ne_u32_e32 vcc, 0, v3
	s_and_saveexec_b64 s[90:91], vcc
	s_cbranch_execz .LBB6_1576
; %bb.1569:                             ;   in Loop: Header=BB6_126 Depth=2
	v_and_b32_e32 v18, 0x7fffff, v3
	v_bfe_u32 v3, v3, 23, 8
	v_cmp_gt_u32_e64 s[20:21], s54, v3
	v_sub_u32_e32 v19, 0x79, v3
	v_cmp_eq_u32_e32 vcc, 0, v3
	v_cndmask_b32_e64 v19, 0, v19, s[20:21]
	v_mov_b32_e32 v24, 0x78
	v_or_b32_e32 v20, 0x800000, v18
	v_cndmask_b32_e32 v24, v19, v24, vcc
	v_cndmask_b32_e32 v60, v20, v18, vcc
	v_add_u32_e32 v18, 20, v24
	v_lshlrev_b64 v[18:19], v18, -1
	v_add_u32_e32 v20, 19, v24
	v_lshlrev_b64 v[32:33], v20, 1
	v_bfi_b32 v19, v19, 0, 0
	v_bfi_b32 v18, v18, 0, v60
	v_cmp_eq_u64_e64 s[20:21], v[18:19], v[32:33]
	v_lshrrev_b64 v[18:19], v24, v[60:61]
	v_mov_b32_e32 v20, v19
	v_mov_b32_e32 v19, v18
	s_and_saveexec_b64 s[92:93], s[20:21]
; %bb.1570:                             ;   in Loop: Header=BB6_126 Depth=2
	v_bfe_u32 v19, v18, 20, 1
	v_add_co_u32_e64 v19, s[20:21], v18, v19
	v_add_co_u32_e64 v19, s[20:21], -1, v19
; %bb.1571:                             ;   in Loop: Header=BB6_126 Depth=2
	s_or_b64 exec, exec, s[92:93]
	v_add_u32_e32 v3, 0xffffff81, v3
	v_mov_b32_e32 v20, 0xffffff82
	v_cndmask_b32_e32 v3, v3, v20, vcc
	v_lshrrev_b32_e32 v20, 23, v18
	v_add3_u32 v24, v24, v3, v20
	v_add_u32_e32 v20, 6, v24
	v_and_b32_e32 v3, 0xfffff, v19
	v_add_u32_e32 v60, v3, v18
	v_cmp_ne_u32_e32 vcc, 0, v20
                                        ; implicit-def: $vgpr18_vgpr19
                                        ; implicit-def: $vgpr3
	s_and_saveexec_b64 s[20:21], vcc
	s_xor_b64 s[20:21], exec, s[20:21]
; %bb.1572:                             ;   in Loop: Header=BB6_126 Depth=2
	v_cmp_lt_u64_e32 vcc, s[60:61], v[60:61]
	v_add_u32_e32 v3, 7, v24
	v_cndmask_b32_e64 v18, 0, 1, vcc
	v_lshrrev_b64 v[18:19], v18, v[60:61]
	v_cndmask_b32_e32 v3, v20, v3, vcc
; %bb.1573:                             ;   in Loop: Header=BB6_126 Depth=2
	s_andn2_saveexec_b64 s[20:21], s[20:21]
; %bb.1574:                             ;   in Loop: Header=BB6_126 Depth=2
	v_mov_b32_e32 v18, v60
	v_bfe_u32 v3, v60, 23, 1
	v_mov_b32_e32 v19, v61
; %bb.1575:                             ;   in Loop: Header=BB6_126 Depth=2
	s_or_b64 exec, exec, s[20:21]
	v_lshrrev_b64 v[18:19], 20, v[18:19]
	v_cmp_gt_i32_e32 vcc, 16, v3
	v_cndmask_b32_e32 v19, 0, v19, vcc
	v_cndmask_b32_e32 v18, 7, v18, vcc
	v_cmp_eq_u32_e32 vcc, 0, v3
	v_min_i32_e32 v3, 15, v3
	v_cmp_eq_u64_e64 s[20:21], 0, v[18:19]
	v_lshlrev_b32_e32 v3, 3, v3
	v_and_b32_e32 v3, 0xf8, v3
	v_and_or_b32 v3, v18, 7, v3
	s_and_b64 s[20:21], vcc, s[20:21]
	v_cndmask_b32_e64 v3, v3, 0, s[20:21]
	v_or_b32_e32 v24, v3, v2
.LBB6_1576:                             ;   in Loop: Header=BB6_126 Depth=2
	s_or_b64 exec, exec, s[90:91]
                                        ; implicit-def: $vgpr2
.LBB6_1577:                             ;   in Loop: Header=BB6_126 Depth=2
	s_andn2_saveexec_b64 s[20:21], s[88:89]
; %bb.1578:                             ;   in Loop: Header=BB6_126 Depth=2
	v_or_b32_e32 v24, 0x7e, v2
; %bb.1579:                             ;   in Loop: Header=BB6_126 Depth=2
	s_or_b64 exec, exec, s[20:21]
                                        ; implicit-def: $vgpr3
.LBB6_1580:                             ;   in Loop: Header=BB6_126 Depth=2
	s_andn2_saveexec_b64 s[20:21], s[78:79]
; %bb.1581:                             ;   in Loop: Header=BB6_126 Depth=2
	v_or_b32_sdwa v24, v3, s53 dst_sel:DWORD dst_unused:UNUSED_PAD src0_sel:BYTE_3 src1_sel:DWORD
; %bb.1582:                             ;   in Loop: Header=BB6_126 Depth=2
	s_or_b64 exec, exec, s[20:21]
	v_mov_b32_e32 v60, v15
	v_cmp_ne_u16_sdwa s[78:79], v15, v61 src0_sel:BYTE_0 src1_sel:DWORD
	v_mov_b32_e32 v3, 0
	v_mov_b32_e32 v2, 0
	s_and_saveexec_b64 s[20:21], s[78:79]
	s_cbranch_execz .LBB6_1588
; %bb.1583:                             ;   in Loop: Header=BB6_126 Depth=2
	v_cmp_ne_u16_sdwa s[88:89], v15, s52 src0_sel:BYTE_0 src1_sel:DWORD
	v_bfrev_b32_e32 v2, 1
	s_and_saveexec_b64 s[78:79], s[88:89]
	s_cbranch_execz .LBB6_1587
; %bb.1584:                             ;   in Loop: Header=BB6_126 Depth=2
	v_and_b32_e32 v18, 0x7f, v15
	v_cmp_ne_u32_e32 vcc, s53, v18
	v_mov_b32_e32 v2, 0x7f800001
	s_and_saveexec_b64 s[88:89], vcc
	s_cbranch_execz .LBB6_1586
; %bb.1585:                             ;   in Loop: Header=BB6_126 Depth=2
	v_and_b32_e32 v2, 7, v15
	v_ffbh_u32_e32 v2, v2
	v_min_u32_e32 v2, 32, v2
	v_lshrrev_b32_e32 v19, 3, v18
	v_cmp_gt_u32_e32 vcc, 8, v18
	v_subrev_u32_e32 v18, 28, v2
	v_sub_u32_e32 v2, 29, v2
	v_cndmask_b32_e32 v18, 0, v18, vcc
	v_cndmask_b32_e32 v2, v19, v2, vcc
	v_lshlrev_b64 v[18:19], v18, v[60:61]
	v_lshlrev_b32_e32 v19, 24, v60
	v_lshlrev_b32_e32 v18, 20, v18
	v_and_b32_e32 v18, 0x700000, v18
	v_and_b32_e32 v19, 0x80000000, v19
	v_lshl_add_u32 v2, v2, 23, v62
	v_or3_b32 v2, v19, v2, v18
.LBB6_1586:                             ;   in Loop: Header=BB6_126 Depth=2
	s_or_b64 exec, exec, s[88:89]
.LBB6_1587:                             ;   in Loop: Header=BB6_126 Depth=2
	s_or_b64 exec, exec, s[78:79]
.LBB6_1588:                             ;   in Loop: Header=BB6_126 Depth=2
	s_or_b64 exec, exec, s[20:21]
	v_cmp_ne_u16_sdwa s[78:79], v11, v61 src0_sel:BYTE_0 src1_sel:DWORD
	s_and_saveexec_b64 s[20:21], s[78:79]
	s_cbranch_execz .LBB6_1594
; %bb.1589:                             ;   in Loop: Header=BB6_126 Depth=2
	v_cmp_ne_u16_sdwa s[88:89], v11, s52 src0_sel:BYTE_0 src1_sel:DWORD
	v_bfrev_b32_e32 v3, 1
	s_and_saveexec_b64 s[78:79], s[88:89]
	s_cbranch_execz .LBB6_1593
; %bb.1590:                             ;   in Loop: Header=BB6_126 Depth=2
	v_and_b32_e32 v18, 0x7f, v11
	v_cmp_ne_u32_e32 vcc, s53, v18
	v_mov_b32_e32 v3, 0x7f800001
	s_and_saveexec_b64 s[88:89], vcc
	s_cbranch_execz .LBB6_1592
; %bb.1591:                             ;   in Loop: Header=BB6_126 Depth=2
	v_and_b32_e32 v3, 7, v11
	v_ffbh_u32_e32 v3, v3
	v_min_u32_e32 v3, 32, v3
	v_lshrrev_b32_e32 v25, 3, v18
	v_cmp_gt_u32_e32 vcc, 8, v18
	v_subrev_u32_e32 v18, 28, v3
	v_mov_b32_e32 v19, v11
	v_mov_b32_e32 v20, v61
	v_cndmask_b32_e32 v18, 0, v18, vcc
	v_lshlrev_b64 v[32:33], v18, v[19:20]
	v_sub_u32_e32 v3, 29, v3
	v_cndmask_b32_e32 v3, v25, v3, vcc
	v_lshlrev_b32_e32 v18, 20, v32
	v_lshlrev_b32_e32 v19, 24, v19
	v_and_b32_e32 v18, 0x700000, v18
	v_and_b32_e32 v19, 0x80000000, v19
	v_lshl_add_u32 v3, v3, 23, v62
	v_or3_b32 v3, v19, v3, v18
.LBB6_1592:                             ;   in Loop: Header=BB6_126 Depth=2
	s_or_b64 exec, exec, s[88:89]
.LBB6_1593:                             ;   in Loop: Header=BB6_126 Depth=2
	s_or_b64 exec, exec, s[78:79]
.LBB6_1594:                             ;   in Loop: Header=BB6_126 Depth=2
	s_or_b64 exec, exec, s[20:21]
	v_add_f32_e32 v3, v2, v3
	v_and_b32_e32 v18, 0x7f800000, v3
	v_mov_b32_e32 v19, v61
	v_cmp_ne_u64_e32 vcc, s[56:57], v[18:19]
                                        ; implicit-def: $vgpr25
	s_and_saveexec_b64 s[20:21], vcc
	s_xor_b64 s[78:79], exec, s[20:21]
	s_cbranch_execz .LBB6_1608
; %bb.1595:                             ;   in Loop: Header=BB6_126 Depth=2
	v_and_b32_e32 v18, 0x7fffffff, v3
	v_mov_b32_e32 v19, v61
	v_cmp_gt_u64_e32 vcc, s[58:59], v[18:19]
	v_and_b32_sdwa v2, v3, s52 dst_sel:DWORD dst_unused:UNUSED_PAD src0_sel:BYTE_3 src1_sel:DWORD
                                        ; implicit-def: $vgpr25
	s_and_saveexec_b64 s[20:21], vcc
	s_xor_b64 s[88:89], exec, s[20:21]
	s_cbranch_execz .LBB6_1605
; %bb.1596:                             ;   in Loop: Header=BB6_126 Depth=2
	v_mov_b32_e32 v25, 0
	v_cmp_ne_u32_e32 vcc, 0, v3
	s_and_saveexec_b64 s[90:91], vcc
	s_cbranch_execz .LBB6_1604
; %bb.1597:                             ;   in Loop: Header=BB6_126 Depth=2
	v_and_b32_e32 v18, 0x7fffff, v3
	v_bfe_u32 v3, v3, 23, 8
	v_cmp_gt_u32_e64 s[20:21], s54, v3
	v_sub_u32_e32 v19, 0x79, v3
	v_cmp_eq_u32_e32 vcc, 0, v3
	v_cndmask_b32_e64 v19, 0, v19, s[20:21]
	v_mov_b32_e32 v25, 0x78
	v_or_b32_e32 v20, 0x800000, v18
	v_cndmask_b32_e32 v25, v19, v25, vcc
	v_cndmask_b32_e32 v18, v20, v18, vcc
	v_add_u32_e32 v20, 20, v25
	v_lshlrev_b64 v[32:33], v20, -1
	v_mov_b32_e32 v19, v61
	v_add_u32_e32 v20, 19, v25
	v_bfi_b32 v32, v32, 0, v18
	v_lshlrev_b64 v[48:49], v20, 1
	v_lshrrev_b64 v[18:19], v25, v[18:19]
	v_bfi_b32 v33, v33, 0, 0
	v_cmp_eq_u64_e64 s[20:21], v[32:33], v[48:49]
	v_mov_b32_e32 v20, v19
	v_mov_b32_e32 v19, v18
	s_and_saveexec_b64 s[92:93], s[20:21]
; %bb.1598:                             ;   in Loop: Header=BB6_126 Depth=2
	v_bfe_u32 v19, v18, 20, 1
	v_add_co_u32_e64 v19, s[20:21], v18, v19
	v_add_co_u32_e64 v19, s[20:21], -1, v19
; %bb.1599:                             ;   in Loop: Header=BB6_126 Depth=2
	s_or_b64 exec, exec, s[92:93]
	v_add_u32_e32 v3, 0xffffff81, v3
	v_mov_b32_e32 v20, 0xffffff82
	v_cndmask_b32_e32 v3, v3, v20, vcc
	v_lshrrev_b32_e32 v20, 23, v18
	v_add3_u32 v25, v25, v3, v20
	v_add_u32_e32 v20, 6, v25
	v_and_b32_e32 v3, 0xfffff, v19
	v_add_u32_e32 v18, v3, v18
	v_mov_b32_e32 v19, v61
	v_cmp_ne_u32_e32 vcc, 0, v20
                                        ; implicit-def: $vgpr3
	s_and_saveexec_b64 s[20:21], vcc
	s_xor_b64 s[20:21], exec, s[20:21]
; %bb.1600:                             ;   in Loop: Header=BB6_126 Depth=2
	v_cmp_lt_u64_e32 vcc, s[60:61], v[18:19]
	v_add_u32_e32 v3, 7, v25
	v_cndmask_b32_e32 v3, v20, v3, vcc
	v_cndmask_b32_e64 v20, 0, 1, vcc
	v_lshrrev_b64 v[18:19], v20, v[18:19]
; %bb.1601:                             ;   in Loop: Header=BB6_126 Depth=2
	s_andn2_saveexec_b64 s[20:21], s[20:21]
; %bb.1602:                             ;   in Loop: Header=BB6_126 Depth=2
	v_bfe_u32 v3, v18, 23, 1
; %bb.1603:                             ;   in Loop: Header=BB6_126 Depth=2
	s_or_b64 exec, exec, s[20:21]
	v_lshrrev_b64 v[18:19], 20, v[18:19]
	v_cmp_gt_i32_e32 vcc, 16, v3
	v_cndmask_b32_e32 v19, 0, v19, vcc
	v_cndmask_b32_e32 v18, 7, v18, vcc
	v_cmp_eq_u32_e32 vcc, 0, v3
	v_min_i32_e32 v3, 15, v3
	v_cmp_eq_u64_e64 s[20:21], 0, v[18:19]
	v_lshlrev_b32_e32 v3, 3, v3
	v_and_b32_e32 v3, 0xf8, v3
	v_and_or_b32 v3, v18, 7, v3
	s_and_b64 s[20:21], vcc, s[20:21]
	v_cndmask_b32_e64 v3, v3, 0, s[20:21]
	v_or_b32_e32 v25, v3, v2
.LBB6_1604:                             ;   in Loop: Header=BB6_126 Depth=2
	s_or_b64 exec, exec, s[90:91]
                                        ; implicit-def: $vgpr2
.LBB6_1605:                             ;   in Loop: Header=BB6_126 Depth=2
	s_andn2_saveexec_b64 s[20:21], s[88:89]
; %bb.1606:                             ;   in Loop: Header=BB6_126 Depth=2
	v_or_b32_e32 v25, 0x7e, v2
; %bb.1607:                             ;   in Loop: Header=BB6_126 Depth=2
	s_or_b64 exec, exec, s[20:21]
                                        ; implicit-def: $vgpr3
.LBB6_1608:                             ;   in Loop: Header=BB6_126 Depth=2
	s_andn2_saveexec_b64 s[20:21], s[78:79]
; %bb.1609:                             ;   in Loop: Header=BB6_126 Depth=2
	v_or_b32_sdwa v25, v3, s53 dst_sel:DWORD dst_unused:UNUSED_PAD src0_sel:BYTE_3 src1_sel:DWORD
; %bb.1610:                             ;   in Loop: Header=BB6_126 Depth=2
	s_or_b64 exec, exec, s[20:21]
	v_lshrrev_b16_e32 v18, 8, v60
	v_cmp_ne_u16_e32 vcc, 0, v18
	v_mov_b32_e32 v2, 0
	v_mov_b32_e32 v3, 0
	s_and_saveexec_b64 s[20:21], vcc
	s_cbranch_execz .LBB6_1616
; %bb.1611:                             ;   in Loop: Header=BB6_126 Depth=2
	v_cmp_ne_u16_e32 vcc, s52, v18
	v_bfrev_b32_e32 v3, 1
	s_and_saveexec_b64 s[78:79], vcc
	s_cbranch_execz .LBB6_1615
; %bb.1612:                             ;   in Loop: Header=BB6_126 Depth=2
	v_and_b32_e32 v19, 0x7f, v18
	v_cmp_ne_u32_e32 vcc, s53, v19
	v_mov_b32_e32 v3, 0x7f800001
	s_and_saveexec_b64 s[88:89], vcc
	s_cbranch_execz .LBB6_1614
; %bb.1613:                             ;   in Loop: Header=BB6_126 Depth=2
	v_and_b32_e32 v3, 7, v18
	v_lshrrev_b32_e32 v20, 3, v19
	v_cmp_gt_u32_e32 vcc, 8, v19
	v_ffbh_u32_e32 v19, v3
	v_min_u32_e32 v32, 32, v19
	v_subrev_u32_e32 v19, 28, v32
	v_lshlrev_b64 v[18:19], v19, v[18:19]
	v_sub_u32_e32 v19, 29, v32
	v_and_b32_e32 v18, 7, v18
	v_cndmask_b32_e32 v19, v20, v19, vcc
	v_cndmask_b32_e32 v3, v3, v18, vcc
	v_lshlrev_b32_e32 v18, 16, v60
	v_lshlrev_b32_e32 v3, 20, v3
	v_and_b32_e32 v18, 0x80000000, v18
	v_lshl_add_u32 v19, v19, 23, v62
	v_or3_b32 v3, v18, v19, v3
.LBB6_1614:                             ;   in Loop: Header=BB6_126 Depth=2
	s_or_b64 exec, exec, s[88:89]
.LBB6_1615:                             ;   in Loop: Header=BB6_126 Depth=2
	s_or_b64 exec, exec, s[78:79]
.LBB6_1616:                             ;   in Loop: Header=BB6_126 Depth=2
	s_or_b64 exec, exec, s[20:21]
	v_lshrrev_b16_e32 v18, 8, v11
	v_cmp_ne_u16_e32 vcc, 0, v18
	s_and_saveexec_b64 s[20:21], vcc
	s_cbranch_execz .LBB6_1622
; %bb.1617:                             ;   in Loop: Header=BB6_126 Depth=2
	v_cmp_ne_u16_e32 vcc, s52, v18
	v_bfrev_b32_e32 v2, 1
	s_and_saveexec_b64 s[78:79], vcc
	s_cbranch_execz .LBB6_1621
; %bb.1618:                             ;   in Loop: Header=BB6_126 Depth=2
	v_and_b32_e32 v19, 0x7f, v18
	v_cmp_ne_u32_e32 vcc, s53, v19
	v_mov_b32_e32 v2, 0x7f800001
	s_and_saveexec_b64 s[88:89], vcc
	s_cbranch_execz .LBB6_1620
; %bb.1619:                             ;   in Loop: Header=BB6_126 Depth=2
	v_and_b32_e32 v2, 7, v18
	v_lshrrev_b32_e32 v20, 3, v19
	v_cmp_gt_u32_e32 vcc, 8, v19
	v_ffbh_u32_e32 v19, v2
	v_min_u32_e32 v32, 32, v19
	v_subrev_u32_e32 v19, 28, v32
	v_lshlrev_b64 v[18:19], v19, v[18:19]
	v_sub_u32_e32 v19, 29, v32
	v_and_b32_e32 v18, 7, v18
	v_cndmask_b32_e32 v19, v20, v19, vcc
	v_cndmask_b32_e32 v2, v2, v18, vcc
	v_lshlrev_b32_e32 v18, 16, v11
	v_lshlrev_b32_e32 v2, 20, v2
	v_and_b32_e32 v18, 0x80000000, v18
	v_lshl_add_u32 v19, v19, 23, v62
	v_or3_b32 v2, v18, v19, v2
.LBB6_1620:                             ;   in Loop: Header=BB6_126 Depth=2
	s_or_b64 exec, exec, s[88:89]
.LBB6_1621:                             ;   in Loop: Header=BB6_126 Depth=2
	s_or_b64 exec, exec, s[78:79]
.LBB6_1622:                             ;   in Loop: Header=BB6_126 Depth=2
	s_or_b64 exec, exec, s[20:21]
	v_add_f32_e32 v3, v3, v2
	v_and_b32_e32 v60, 0x7f800000, v3
	v_cmp_ne_u64_e32 vcc, s[56:57], v[60:61]
                                        ; implicit-def: $vgpr54
	s_and_saveexec_b64 s[20:21], vcc
	s_xor_b64 s[78:79], exec, s[20:21]
	s_cbranch_execz .LBB6_1636
; %bb.1623:                             ;   in Loop: Header=BB6_126 Depth=2
	v_and_b32_e32 v60, 0x7fffffff, v3
	v_cmp_gt_u64_e32 vcc, s[58:59], v[60:61]
	v_and_b32_sdwa v2, v3, s52 dst_sel:DWORD dst_unused:UNUSED_PAD src0_sel:BYTE_3 src1_sel:DWORD
                                        ; implicit-def: $vgpr54
	s_and_saveexec_b64 s[20:21], vcc
	s_xor_b64 s[88:89], exec, s[20:21]
	s_cbranch_execz .LBB6_1633
; %bb.1624:                             ;   in Loop: Header=BB6_126 Depth=2
	v_mov_b32_e32 v54, 0
	v_cmp_ne_u32_e32 vcc, 0, v3
	s_and_saveexec_b64 s[90:91], vcc
	s_cbranch_execz .LBB6_1632
; %bb.1625:                             ;   in Loop: Header=BB6_126 Depth=2
	v_and_b32_e32 v18, 0x7fffff, v3
	v_bfe_u32 v3, v3, 23, 8
	v_cmp_gt_u32_e64 s[20:21], s54, v3
	v_sub_u32_e32 v19, 0x79, v3
	v_cmp_eq_u32_e32 vcc, 0, v3
	v_cndmask_b32_e64 v19, 0, v19, s[20:21]
	v_mov_b32_e32 v32, 0x78
	v_or_b32_e32 v20, 0x800000, v18
	v_cndmask_b32_e32 v48, v19, v32, vcc
	v_cndmask_b32_e32 v60, v20, v18, vcc
	v_add_u32_e32 v18, 20, v48
	v_lshlrev_b64 v[18:19], v18, -1
	v_add_u32_e32 v20, 19, v48
	v_lshlrev_b64 v[32:33], v20, 1
	v_bfi_b32 v19, v19, 0, 0
	v_bfi_b32 v18, v18, 0, v60
	v_cmp_eq_u64_e64 s[20:21], v[18:19], v[32:33]
	v_lshrrev_b64 v[18:19], v48, v[60:61]
	v_mov_b32_e32 v20, v19
	v_mov_b32_e32 v19, v18
	s_and_saveexec_b64 s[92:93], s[20:21]
; %bb.1626:                             ;   in Loop: Header=BB6_126 Depth=2
	v_bfe_u32 v19, v18, 20, 1
	v_add_co_u32_e64 v19, s[20:21], v18, v19
	v_add_co_u32_e64 v19, s[20:21], -1, v19
; %bb.1627:                             ;   in Loop: Header=BB6_126 Depth=2
	s_or_b64 exec, exec, s[92:93]
	v_add_u32_e32 v3, 0xffffff81, v3
	v_mov_b32_e32 v20, 0xffffff82
	v_cndmask_b32_e32 v3, v3, v20, vcc
	v_lshrrev_b32_e32 v20, 23, v18
	v_add3_u32 v48, v48, v3, v20
	v_add_u32_e32 v20, 6, v48
	v_and_b32_e32 v3, 0xfffff, v19
	v_add_u32_e32 v60, v3, v18
	v_cmp_ne_u32_e32 vcc, 0, v20
                                        ; implicit-def: $vgpr18_vgpr19
                                        ; implicit-def: $vgpr3
	s_and_saveexec_b64 s[20:21], vcc
	s_xor_b64 s[20:21], exec, s[20:21]
; %bb.1628:                             ;   in Loop: Header=BB6_126 Depth=2
	v_cmp_lt_u64_e32 vcc, s[60:61], v[60:61]
	v_add_u32_e32 v3, 7, v48
	v_cndmask_b32_e64 v18, 0, 1, vcc
	v_lshrrev_b64 v[18:19], v18, v[60:61]
	v_cndmask_b32_e32 v3, v20, v3, vcc
; %bb.1629:                             ;   in Loop: Header=BB6_126 Depth=2
	s_andn2_saveexec_b64 s[20:21], s[20:21]
; %bb.1630:                             ;   in Loop: Header=BB6_126 Depth=2
	v_mov_b32_e32 v18, v60
	v_bfe_u32 v3, v60, 23, 1
	v_mov_b32_e32 v19, v61
; %bb.1631:                             ;   in Loop: Header=BB6_126 Depth=2
	s_or_b64 exec, exec, s[20:21]
	v_lshrrev_b64 v[18:19], 20, v[18:19]
	v_cmp_gt_i32_e32 vcc, 16, v3
	v_cndmask_b32_e32 v19, 0, v19, vcc
	v_cndmask_b32_e32 v18, 7, v18, vcc
	v_cmp_eq_u32_e32 vcc, 0, v3
	v_min_i32_e32 v3, 15, v3
	v_cmp_eq_u64_e64 s[20:21], 0, v[18:19]
	v_lshlrev_b32_e32 v3, 3, v3
	v_and_b32_e32 v3, 0xf8, v3
	v_and_or_b32 v3, v18, 7, v3
	s_and_b64 s[20:21], vcc, s[20:21]
	v_cndmask_b32_e64 v3, v3, 0, s[20:21]
	v_or_b32_e32 v54, v3, v2
.LBB6_1632:                             ;   in Loop: Header=BB6_126 Depth=2
	s_or_b64 exec, exec, s[90:91]
                                        ; implicit-def: $vgpr2
.LBB6_1633:                             ;   in Loop: Header=BB6_126 Depth=2
	s_andn2_saveexec_b64 s[20:21], s[88:89]
; %bb.1634:                             ;   in Loop: Header=BB6_126 Depth=2
	v_or_b32_e32 v54, 0x7e, v2
; %bb.1635:                             ;   in Loop: Header=BB6_126 Depth=2
	s_or_b64 exec, exec, s[20:21]
                                        ; implicit-def: $vgpr3
.LBB6_1636:                             ;   in Loop: Header=BB6_126 Depth=2
	s_andn2_saveexec_b64 s[20:21], s[78:79]
; %bb.1637:                             ;   in Loop: Header=BB6_126 Depth=2
	v_or_b32_sdwa v54, v3, s53 dst_sel:DWORD dst_unused:UNUSED_PAD src0_sel:BYTE_3 src1_sel:DWORD
; %bb.1638:                             ;   in Loop: Header=BB6_126 Depth=2
	s_or_b64 exec, exec, s[20:21]
	v_lshrrev_b32_e32 v18, 16, v15
	v_cmp_ne_u16_sdwa s[78:79], v18, v61 src0_sel:BYTE_0 src1_sel:DWORD
	v_mov_b32_e32 v2, 0
	v_mov_b32_e32 v3, 0
	s_and_saveexec_b64 s[20:21], s[78:79]
	s_cbranch_execz .LBB6_1644
; %bb.1639:                             ;   in Loop: Header=BB6_126 Depth=2
	v_cmp_ne_u16_sdwa s[88:89], v18, s52 src0_sel:BYTE_0 src1_sel:DWORD
	v_bfrev_b32_e32 v3, 1
	s_and_saveexec_b64 s[78:79], s[88:89]
	s_cbranch_execz .LBB6_1643
; %bb.1640:                             ;   in Loop: Header=BB6_126 Depth=2
	v_bfe_u32 v19, v15, 16, 7
	v_cmp_ne_u32_e32 vcc, s53, v19
	v_mov_b32_e32 v3, 0x7f800001
	s_and_saveexec_b64 s[88:89], vcc
	s_cbranch_execz .LBB6_1642
; %bb.1641:                             ;   in Loop: Header=BB6_126 Depth=2
	v_and_b32_e32 v3, 7, v18
	v_lshrrev_b32_e32 v32, 3, v19
	v_cmp_gt_u32_e32 vcc, 8, v19
	v_ffbh_u32_e32 v19, v3
	v_min_u32_e32 v33, 32, v19
	v_subrev_u32_e32 v19, 28, v33
	v_lshlrev_b64 v[19:20], v19, v[18:19]
	v_sub_u32_e32 v20, 29, v33
	v_and_b32_e32 v19, 7, v19
	v_cndmask_b32_e32 v20, v32, v20, vcc
	v_cndmask_b32_e32 v3, v3, v19, vcc
	v_lshlrev_b32_e32 v18, 24, v18
	v_lshlrev_b32_e32 v3, 20, v3
	v_and_b32_e32 v18, 0x80000000, v18
	v_lshl_add_u32 v19, v20, 23, v62
	v_or3_b32 v3, v18, v19, v3
.LBB6_1642:                             ;   in Loop: Header=BB6_126 Depth=2
	s_or_b64 exec, exec, s[88:89]
.LBB6_1643:                             ;   in Loop: Header=BB6_126 Depth=2
	s_or_b64 exec, exec, s[78:79]
.LBB6_1644:                             ;   in Loop: Header=BB6_126 Depth=2
	s_or_b64 exec, exec, s[20:21]
	v_lshrrev_b32_e32 v18, 16, v11
	v_cmp_ne_u16_sdwa s[78:79], v18, v61 src0_sel:BYTE_0 src1_sel:DWORD
	s_and_saveexec_b64 s[20:21], s[78:79]
	s_cbranch_execz .LBB6_1650
; %bb.1645:                             ;   in Loop: Header=BB6_126 Depth=2
	v_cmp_ne_u16_sdwa s[88:89], v18, s52 src0_sel:BYTE_0 src1_sel:DWORD
	v_bfrev_b32_e32 v2, 1
	s_and_saveexec_b64 s[78:79], s[88:89]
	s_cbranch_execz .LBB6_1649
; %bb.1646:                             ;   in Loop: Header=BB6_126 Depth=2
	v_bfe_u32 v19, v11, 16, 7
	v_cmp_ne_u32_e32 vcc, s53, v19
	v_mov_b32_e32 v2, 0x7f800001
	s_and_saveexec_b64 s[88:89], vcc
	s_cbranch_execz .LBB6_1648
; %bb.1647:                             ;   in Loop: Header=BB6_126 Depth=2
	v_and_b32_e32 v2, 7, v18
	v_lshrrev_b32_e32 v20, 3, v19
	v_cmp_gt_u32_e32 vcc, 8, v19
	v_ffbh_u32_e32 v19, v2
	v_min_u32_e32 v32, 32, v19
	v_subrev_u32_e32 v19, 28, v32
	v_lshlrev_b64 v[18:19], v19, v[18:19]
	v_sub_u32_e32 v19, 29, v32
	v_and_b32_e32 v18, 7, v18
	v_cndmask_b32_e32 v19, v20, v19, vcc
	v_cndmask_b32_e32 v2, v2, v18, vcc
	v_lshlrev_b32_e32 v18, 8, v11
	v_lshlrev_b32_e32 v2, 20, v2
	v_and_b32_e32 v18, 0x80000000, v18
	v_lshl_add_u32 v19, v19, 23, v62
	v_or3_b32 v2, v18, v19, v2
.LBB6_1648:                             ;   in Loop: Header=BB6_126 Depth=2
	s_or_b64 exec, exec, s[88:89]
.LBB6_1649:                             ;   in Loop: Header=BB6_126 Depth=2
	s_or_b64 exec, exec, s[78:79]
.LBB6_1650:                             ;   in Loop: Header=BB6_126 Depth=2
	s_or_b64 exec, exec, s[20:21]
	v_add_f32_e32 v3, v3, v2
	v_and_b32_e32 v60, 0x7f800000, v3
	v_cmp_ne_u64_e32 vcc, s[56:57], v[60:61]
                                        ; implicit-def: $vgpr18
	s_and_saveexec_b64 s[20:21], vcc
	s_xor_b64 s[78:79], exec, s[20:21]
	s_cbranch_execz .LBB6_1664
; %bb.1651:                             ;   in Loop: Header=BB6_126 Depth=2
	v_and_b32_e32 v60, 0x7fffffff, v3
	v_cmp_gt_u64_e32 vcc, s[58:59], v[60:61]
	v_and_b32_sdwa v2, v3, s52 dst_sel:DWORD dst_unused:UNUSED_PAD src0_sel:BYTE_3 src1_sel:DWORD
                                        ; implicit-def: $vgpr18
	s_and_saveexec_b64 s[20:21], vcc
	s_xor_b64 s[88:89], exec, s[20:21]
	s_cbranch_execz .LBB6_1661
; %bb.1652:                             ;   in Loop: Header=BB6_126 Depth=2
	v_mov_b32_e32 v18, 0
	v_cmp_ne_u32_e32 vcc, 0, v3
	s_and_saveexec_b64 s[90:91], vcc
	s_cbranch_execz .LBB6_1660
; %bb.1653:                             ;   in Loop: Header=BB6_126 Depth=2
	v_and_b32_e32 v18, 0x7fffff, v3
	v_bfe_u32 v3, v3, 23, 8
	v_cmp_gt_u32_e64 s[20:21], s54, v3
	v_sub_u32_e32 v19, 0x79, v3
	v_cmp_eq_u32_e32 vcc, 0, v3
	v_cndmask_b32_e64 v19, 0, v19, s[20:21]
	v_mov_b32_e32 v32, 0x78
	v_or_b32_e32 v20, 0x800000, v18
	v_cndmask_b32_e32 v48, v19, v32, vcc
	v_cndmask_b32_e32 v60, v20, v18, vcc
	v_add_u32_e32 v18, 20, v48
	v_lshlrev_b64 v[18:19], v18, -1
	v_add_u32_e32 v20, 19, v48
	v_lshlrev_b64 v[32:33], v20, 1
	v_bfi_b32 v19, v19, 0, 0
	v_bfi_b32 v18, v18, 0, v60
	v_cmp_eq_u64_e64 s[20:21], v[18:19], v[32:33]
	v_lshrrev_b64 v[18:19], v48, v[60:61]
	v_mov_b32_e32 v20, v19
	v_mov_b32_e32 v19, v18
	s_and_saveexec_b64 s[92:93], s[20:21]
; %bb.1654:                             ;   in Loop: Header=BB6_126 Depth=2
	v_bfe_u32 v19, v18, 20, 1
	v_add_co_u32_e64 v19, s[20:21], v18, v19
	v_add_co_u32_e64 v19, s[20:21], -1, v19
; %bb.1655:                             ;   in Loop: Header=BB6_126 Depth=2
	s_or_b64 exec, exec, s[92:93]
	v_add_u32_e32 v3, 0xffffff81, v3
	v_mov_b32_e32 v20, 0xffffff82
	v_cndmask_b32_e32 v3, v3, v20, vcc
	v_lshrrev_b32_e32 v20, 23, v18
	v_add3_u32 v48, v48, v3, v20
	v_add_u32_e32 v20, 6, v48
	v_and_b32_e32 v3, 0xfffff, v19
	v_add_u32_e32 v60, v3, v18
	v_cmp_ne_u32_e32 vcc, 0, v20
                                        ; implicit-def: $vgpr18_vgpr19
                                        ; implicit-def: $vgpr3
	s_and_saveexec_b64 s[20:21], vcc
	s_xor_b64 s[20:21], exec, s[20:21]
; %bb.1656:                             ;   in Loop: Header=BB6_126 Depth=2
	v_cmp_lt_u64_e32 vcc, s[60:61], v[60:61]
	v_add_u32_e32 v3, 7, v48
	v_cndmask_b32_e64 v18, 0, 1, vcc
	v_lshrrev_b64 v[18:19], v18, v[60:61]
	v_cndmask_b32_e32 v3, v20, v3, vcc
; %bb.1657:                             ;   in Loop: Header=BB6_126 Depth=2
	s_andn2_saveexec_b64 s[20:21], s[20:21]
; %bb.1658:                             ;   in Loop: Header=BB6_126 Depth=2
	v_mov_b32_e32 v18, v60
	v_bfe_u32 v3, v60, 23, 1
	v_mov_b32_e32 v19, v61
; %bb.1659:                             ;   in Loop: Header=BB6_126 Depth=2
	s_or_b64 exec, exec, s[20:21]
	v_lshrrev_b64 v[18:19], 20, v[18:19]
	v_cmp_gt_i32_e32 vcc, 16, v3
	v_cndmask_b32_e32 v19, 0, v19, vcc
	v_cndmask_b32_e32 v18, 7, v18, vcc
	v_cmp_eq_u32_e32 vcc, 0, v3
	v_min_i32_e32 v3, 15, v3
	v_cmp_eq_u64_e64 s[20:21], 0, v[18:19]
	v_lshlrev_b32_e32 v3, 3, v3
	v_and_b32_e32 v3, 0xf8, v3
	v_and_or_b32 v3, v18, 7, v3
	s_and_b64 s[20:21], vcc, s[20:21]
	v_cndmask_b32_e64 v3, v3, 0, s[20:21]
	v_or_b32_e32 v18, v3, v2
.LBB6_1660:                             ;   in Loop: Header=BB6_126 Depth=2
	s_or_b64 exec, exec, s[90:91]
                                        ; implicit-def: $vgpr2
.LBB6_1661:                             ;   in Loop: Header=BB6_126 Depth=2
	s_andn2_saveexec_b64 s[20:21], s[88:89]
; %bb.1662:                             ;   in Loop: Header=BB6_126 Depth=2
	v_or_b32_e32 v18, 0x7e, v2
; %bb.1663:                             ;   in Loop: Header=BB6_126 Depth=2
	s_or_b64 exec, exec, s[20:21]
                                        ; implicit-def: $vgpr3
.LBB6_1664:                             ;   in Loop: Header=BB6_126 Depth=2
	s_andn2_saveexec_b64 s[20:21], s[78:79]
; %bb.1665:                             ;   in Loop: Header=BB6_126 Depth=2
	v_or_b32_sdwa v18, v3, s53 dst_sel:DWORD dst_unused:UNUSED_PAD src0_sel:BYTE_3 src1_sel:DWORD
; %bb.1666:                             ;   in Loop: Header=BB6_126 Depth=2
	s_or_b64 exec, exec, s[20:21]
	v_cmp_lt_u64_e32 vcc, s[62:63], v[14:15]
	v_mov_b32_e32 v2, 0
	v_mov_b32_e32 v3, 0
	s_and_saveexec_b64 s[20:21], vcc
	s_cbranch_execz .LBB6_1672
; %bb.1667:                             ;   in Loop: Header=BB6_126 Depth=2
	v_lshrrev_b32_e32 v14, 24, v15
	v_cmp_ne_u32_e32 vcc, s52, v14
	v_bfrev_b32_e32 v3, 1
	s_and_saveexec_b64 s[78:79], vcc
	s_cbranch_execz .LBB6_1671
; %bb.1668:                             ;   in Loop: Header=BB6_126 Depth=2
	v_bfe_u32 v15, v15, 24, 7
	v_cmp_ne_u32_e32 vcc, s53, v15
	v_mov_b32_e32 v3, 0x7f800001
	s_and_saveexec_b64 s[88:89], vcc
	s_cbranch_execz .LBB6_1670
; %bb.1669:                             ;   in Loop: Header=BB6_126 Depth=2
	v_and_b32_e32 v3, 7, v14
	v_lshrrev_b32_e32 v32, 3, v15
	v_cmp_gt_u32_e32 vcc, 8, v15
	v_ffbh_u32_e32 v15, v3
	v_min_u32_e32 v15, 32, v15
	v_subrev_u32_e32 v19, 28, v15
	v_lshlrev_b64 v[19:20], v19, v[14:15]
	v_sub_u32_e32 v15, 29, v15
	v_and_b32_e32 v19, 7, v19
	v_cndmask_b32_e32 v15, v32, v15, vcc
	v_cndmask_b32_e32 v3, v3, v19, vcc
	v_lshlrev_b32_e32 v14, 24, v14
	v_lshlrev_b32_e32 v3, 20, v3
	v_and_b32_e32 v14, 0x80000000, v14
	v_lshl_add_u32 v15, v15, 23, v62
	v_or3_b32 v3, v14, v15, v3
.LBB6_1670:                             ;   in Loop: Header=BB6_126 Depth=2
	s_or_b64 exec, exec, s[88:89]
.LBB6_1671:                             ;   in Loop: Header=BB6_126 Depth=2
	s_or_b64 exec, exec, s[78:79]
.LBB6_1672:                             ;   in Loop: Header=BB6_126 Depth=2
	s_or_b64 exec, exec, s[20:21]
	v_cmp_lt_u64_e32 vcc, s[62:63], v[10:11]
	s_and_saveexec_b64 s[20:21], vcc
	s_cbranch_execz .LBB6_1678
; %bb.1673:                             ;   in Loop: Header=BB6_126 Depth=2
	v_lshrrev_b32_e32 v10, 24, v11
	v_cmp_ne_u32_e32 vcc, s52, v10
	v_bfrev_b32_e32 v2, 1
	s_and_saveexec_b64 s[78:79], vcc
	s_cbranch_execz .LBB6_1677
; %bb.1674:                             ;   in Loop: Header=BB6_126 Depth=2
	v_bfe_u32 v11, v11, 24, 7
	v_cmp_ne_u32_e32 vcc, s53, v11
	v_mov_b32_e32 v2, 0x7f800001
	s_and_saveexec_b64 s[88:89], vcc
	s_cbranch_execz .LBB6_1676
; %bb.1675:                             ;   in Loop: Header=BB6_126 Depth=2
	v_and_b32_e32 v2, 7, v10
	v_lshrrev_b32_e32 v19, 3, v11
	v_cmp_gt_u32_e32 vcc, 8, v11
	v_ffbh_u32_e32 v11, v2
	v_min_u32_e32 v11, 32, v11
	v_subrev_u32_e32 v14, 28, v11
	v_lshlrev_b64 v[14:15], v14, v[10:11]
	v_sub_u32_e32 v11, 29, v11
	v_and_b32_e32 v14, 7, v14
	v_cndmask_b32_e32 v11, v19, v11, vcc
	v_cndmask_b32_e32 v2, v2, v14, vcc
	v_lshlrev_b32_e32 v10, 24, v10
	v_lshlrev_b32_e32 v2, 20, v2
	v_and_b32_e32 v10, 0x80000000, v10
	v_lshl_add_u32 v11, v11, 23, v62
	v_or3_b32 v2, v10, v11, v2
.LBB6_1676:                             ;   in Loop: Header=BB6_126 Depth=2
	s_or_b64 exec, exec, s[88:89]
.LBB6_1677:                             ;   in Loop: Header=BB6_126 Depth=2
	s_or_b64 exec, exec, s[78:79]
.LBB6_1678:                             ;   in Loop: Header=BB6_126 Depth=2
	s_or_b64 exec, exec, s[20:21]
	v_add_f32_e32 v3, v3, v2
	v_and_b32_e32 v60, 0x7f800000, v3
	v_cmp_ne_u64_e32 vcc, s[56:57], v[60:61]
                                        ; implicit-def: $vgpr19
	s_and_saveexec_b64 s[20:21], vcc
	s_xor_b64 s[78:79], exec, s[20:21]
	s_cbranch_execz .LBB6_1692
; %bb.1679:                             ;   in Loop: Header=BB6_126 Depth=2
	v_and_b32_e32 v60, 0x7fffffff, v3
	v_cmp_gt_u64_e32 vcc, s[58:59], v[60:61]
	v_and_b32_sdwa v2, v3, s52 dst_sel:DWORD dst_unused:UNUSED_PAD src0_sel:BYTE_3 src1_sel:DWORD
                                        ; implicit-def: $vgpr19
	s_and_saveexec_b64 s[20:21], vcc
	s_xor_b64 s[88:89], exec, s[20:21]
	s_cbranch_execz .LBB6_1689
; %bb.1680:                             ;   in Loop: Header=BB6_126 Depth=2
	v_mov_b32_e32 v19, 0
	v_cmp_ne_u32_e32 vcc, 0, v3
	s_and_saveexec_b64 s[90:91], vcc
	s_cbranch_execz .LBB6_1688
; %bb.1681:                             ;   in Loop: Header=BB6_126 Depth=2
	v_and_b32_e32 v10, 0x7fffff, v3
	v_bfe_u32 v3, v3, 23, 8
	v_cmp_gt_u32_e64 s[20:21], s54, v3
	v_sub_u32_e32 v11, 0x79, v3
	v_cmp_eq_u32_e32 vcc, 0, v3
	v_cndmask_b32_e64 v11, 0, v11, s[20:21]
	v_mov_b32_e32 v15, 0x78
	v_or_b32_e32 v14, 0x800000, v10
	v_cndmask_b32_e32 v19, v11, v15, vcc
	v_cndmask_b32_e32 v60, v14, v10, vcc
	v_add_u32_e32 v10, 20, v19
	v_lshlrev_b64 v[10:11], v10, -1
	v_add_u32_e32 v14, 19, v19
	v_lshlrev_b64 v[14:15], v14, 1
	v_bfi_b32 v11, v11, 0, 0
	v_bfi_b32 v10, v10, 0, v60
	v_cmp_eq_u64_e64 s[20:21], v[10:11], v[14:15]
	v_lshrrev_b64 v[10:11], v19, v[60:61]
	v_mov_b32_e32 v15, v11
	v_mov_b32_e32 v14, v10
	s_and_saveexec_b64 s[92:93], s[20:21]
; %bb.1682:                             ;   in Loop: Header=BB6_126 Depth=2
	v_bfe_u32 v11, v10, 20, 1
	v_add_co_u32_e64 v11, s[20:21], v10, v11
	v_add_co_u32_e64 v14, s[20:21], -1, v11
; %bb.1683:                             ;   in Loop: Header=BB6_126 Depth=2
	s_or_b64 exec, exec, s[92:93]
	v_add_u32_e32 v3, 0xffffff81, v3
	v_mov_b32_e32 v11, 0xffffff82
	v_cndmask_b32_e32 v3, v3, v11, vcc
	v_lshrrev_b32_e32 v11, 23, v10
	v_add3_u32 v19, v19, v3, v11
	v_add_u32_e32 v15, 6, v19
	v_and_b32_e32 v3, 0xfffff, v14
	v_add_u32_e32 v60, v3, v10
	v_cmp_ne_u32_e32 vcc, 0, v15
                                        ; implicit-def: $vgpr10_vgpr11
                                        ; implicit-def: $vgpr3
	s_and_saveexec_b64 s[20:21], vcc
	s_xor_b64 s[20:21], exec, s[20:21]
; %bb.1684:                             ;   in Loop: Header=BB6_126 Depth=2
	v_cmp_lt_u64_e32 vcc, s[60:61], v[60:61]
	v_add_u32_e32 v3, 7, v19
	v_cndmask_b32_e64 v10, 0, 1, vcc
	v_lshrrev_b64 v[10:11], v10, v[60:61]
	v_cndmask_b32_e32 v3, v15, v3, vcc
; %bb.1685:                             ;   in Loop: Header=BB6_126 Depth=2
	s_andn2_saveexec_b64 s[20:21], s[20:21]
; %bb.1686:                             ;   in Loop: Header=BB6_126 Depth=2
	v_mov_b32_e32 v10, v60
	v_bfe_u32 v3, v60, 23, 1
	v_mov_b32_e32 v11, v61
; %bb.1687:                             ;   in Loop: Header=BB6_126 Depth=2
	s_or_b64 exec, exec, s[20:21]
	v_lshrrev_b64 v[10:11], 20, v[10:11]
	v_cmp_gt_i32_e32 vcc, 16, v3
	v_cndmask_b32_e32 v11, 0, v11, vcc
	v_cndmask_b32_e32 v10, 7, v10, vcc
	v_cmp_eq_u32_e32 vcc, 0, v3
	v_min_i32_e32 v3, 15, v3
	v_cmp_eq_u64_e64 s[20:21], 0, v[10:11]
	v_lshlrev_b32_e32 v3, 3, v3
	v_and_b32_e32 v3, 0xf8, v3
	v_and_or_b32 v3, v10, 7, v3
	s_and_b64 s[20:21], vcc, s[20:21]
	v_cndmask_b32_e64 v3, v3, 0, s[20:21]
	v_or_b32_e32 v19, v3, v2
.LBB6_1688:                             ;   in Loop: Header=BB6_126 Depth=2
	s_or_b64 exec, exec, s[90:91]
                                        ; implicit-def: $vgpr2
.LBB6_1689:                             ;   in Loop: Header=BB6_126 Depth=2
	s_andn2_saveexec_b64 s[20:21], s[88:89]
; %bb.1690:                             ;   in Loop: Header=BB6_126 Depth=2
	v_or_b32_e32 v19, 0x7e, v2
; %bb.1691:                             ;   in Loop: Header=BB6_126 Depth=2
	s_or_b64 exec, exec, s[20:21]
                                        ; implicit-def: $vgpr3
.LBB6_1692:                             ;   in Loop: Header=BB6_126 Depth=2
	s_andn2_saveexec_b64 s[20:21], s[78:79]
; %bb.1693:                             ;   in Loop: Header=BB6_126 Depth=2
	v_or_b32_sdwa v19, v3, s53 dst_sel:DWORD dst_unused:UNUSED_PAD src0_sel:BYTE_3 src1_sel:DWORD
; %bb.1694:                             ;   in Loop: Header=BB6_126 Depth=2
	s_or_b64 exec, exec, s[20:21]
	v_cmp_ne_u16_sdwa s[78:79], v16, v61 src0_sel:BYTE_0 src1_sel:DWORD
	v_mov_b32_e32 v2, 0
	v_mov_b32_e32 v3, 0
	s_and_saveexec_b64 s[20:21], s[78:79]
	s_cbranch_execz .LBB6_1700
; %bb.1695:                             ;   in Loop: Header=BB6_126 Depth=2
	v_cmp_ne_u16_sdwa s[88:89], v16, s52 src0_sel:BYTE_0 src1_sel:DWORD
	v_bfrev_b32_e32 v3, 1
	s_and_saveexec_b64 s[78:79], s[88:89]
	s_cbranch_execz .LBB6_1699
; %bb.1696:                             ;   in Loop: Header=BB6_126 Depth=2
	v_and_b32_e32 v10, 0x7f, v16
	v_cmp_ne_u32_e32 vcc, s53, v10
	v_mov_b32_e32 v3, 0x7f800001
	s_and_saveexec_b64 s[88:89], vcc
	s_cbranch_execz .LBB6_1698
; %bb.1697:                             ;   in Loop: Header=BB6_126 Depth=2
	v_and_b32_e32 v3, 7, v16
	v_ffbh_u32_e32 v3, v3
	v_min_u32_e32 v3, 32, v3
	v_lshrrev_b32_e32 v11, 3, v10
	v_cmp_gt_u32_e32 vcc, 8, v10
	v_subrev_u32_e32 v10, 28, v3
	v_sub_u32_e32 v3, 29, v3
	v_cndmask_b32_e32 v10, 0, v10, vcc
	v_cndmask_b32_e32 v3, v11, v3, vcc
	v_lshlrev_b64 v[10:11], v10, v[16:17]
	v_lshlrev_b32_e32 v11, 24, v16
	v_lshlrev_b32_e32 v10, 20, v10
	v_and_b32_e32 v10, 0x700000, v10
	v_and_b32_e32 v11, 0x80000000, v11
	v_lshl_add_u32 v3, v3, 23, v62
	v_or3_b32 v3, v11, v3, v10
.LBB6_1698:                             ;   in Loop: Header=BB6_126 Depth=2
	s_or_b64 exec, exec, s[88:89]
.LBB6_1699:                             ;   in Loop: Header=BB6_126 Depth=2
	s_or_b64 exec, exec, s[78:79]
.LBB6_1700:                             ;   in Loop: Header=BB6_126 Depth=2
	s_or_b64 exec, exec, s[20:21]
	v_cmp_ne_u16_sdwa s[78:79], v12, v61 src0_sel:BYTE_0 src1_sel:DWORD
	s_and_saveexec_b64 s[20:21], s[78:79]
	s_cbranch_execz .LBB6_1706
; %bb.1701:                             ;   in Loop: Header=BB6_126 Depth=2
	v_cmp_ne_u16_sdwa s[88:89], v12, s52 src0_sel:BYTE_0 src1_sel:DWORD
	v_bfrev_b32_e32 v2, 1
	s_and_saveexec_b64 s[78:79], s[88:89]
	s_cbranch_execz .LBB6_1705
; %bb.1702:                             ;   in Loop: Header=BB6_126 Depth=2
	v_and_b32_e32 v10, 0x7f, v12
	v_cmp_ne_u32_e32 vcc, s53, v10
	v_mov_b32_e32 v2, 0x7f800001
	s_and_saveexec_b64 s[88:89], vcc
	s_cbranch_execz .LBB6_1704
; %bb.1703:                             ;   in Loop: Header=BB6_126 Depth=2
	v_and_b32_e32 v2, 7, v12
	v_ffbh_u32_e32 v2, v2
	v_min_u32_e32 v2, 32, v2
	v_lshrrev_b32_e32 v11, 3, v10
	v_cmp_gt_u32_e32 vcc, 8, v10
	v_subrev_u32_e32 v10, 28, v2
	v_sub_u32_e32 v2, 29, v2
	v_cndmask_b32_e32 v10, 0, v10, vcc
	v_cndmask_b32_e32 v2, v11, v2, vcc
	v_lshlrev_b64 v[10:11], v10, v[12:13]
	v_lshlrev_b32_e32 v11, 24, v12
	v_lshlrev_b32_e32 v10, 20, v10
	v_and_b32_e32 v10, 0x700000, v10
	v_and_b32_e32 v11, 0x80000000, v11
	v_lshl_add_u32 v2, v2, 23, v62
	v_or3_b32 v2, v11, v2, v10
.LBB6_1704:                             ;   in Loop: Header=BB6_126 Depth=2
	s_or_b64 exec, exec, s[88:89]
.LBB6_1705:                             ;   in Loop: Header=BB6_126 Depth=2
	s_or_b64 exec, exec, s[78:79]
.LBB6_1706:                             ;   in Loop: Header=BB6_126 Depth=2
	s_or_b64 exec, exec, s[20:21]
	v_add_f32_e32 v3, v3, v2
	v_and_b32_e32 v60, 0x7f800000, v3
	v_cmp_ne_u64_e32 vcc, s[56:57], v[60:61]
                                        ; implicit-def: $vgpr20
	s_and_saveexec_b64 s[20:21], vcc
	s_xor_b64 s[78:79], exec, s[20:21]
	s_cbranch_execz .LBB6_1720
; %bb.1707:                             ;   in Loop: Header=BB6_126 Depth=2
	v_and_b32_e32 v60, 0x7fffffff, v3
	v_cmp_gt_u64_e32 vcc, s[58:59], v[60:61]
	v_and_b32_sdwa v2, v3, s52 dst_sel:DWORD dst_unused:UNUSED_PAD src0_sel:BYTE_3 src1_sel:DWORD
                                        ; implicit-def: $vgpr20
	s_and_saveexec_b64 s[20:21], vcc
	s_xor_b64 s[88:89], exec, s[20:21]
	s_cbranch_execz .LBB6_1717
; %bb.1708:                             ;   in Loop: Header=BB6_126 Depth=2
	v_mov_b32_e32 v20, 0
	v_cmp_ne_u32_e32 vcc, 0, v3
	s_and_saveexec_b64 s[90:91], vcc
	s_cbranch_execz .LBB6_1716
; %bb.1709:                             ;   in Loop: Header=BB6_126 Depth=2
	v_and_b32_e32 v10, 0x7fffff, v3
	v_bfe_u32 v3, v3, 23, 8
	v_cmp_gt_u32_e64 s[20:21], s54, v3
	v_sub_u32_e32 v11, 0x79, v3
	v_cmp_eq_u32_e32 vcc, 0, v3
	v_cndmask_b32_e64 v11, 0, v11, s[20:21]
	v_mov_b32_e32 v15, 0x78
	v_or_b32_e32 v14, 0x800000, v10
	v_cndmask_b32_e32 v20, v11, v15, vcc
	v_cndmask_b32_e32 v60, v14, v10, vcc
	v_add_u32_e32 v10, 20, v20
	v_lshlrev_b64 v[10:11], v10, -1
	v_add_u32_e32 v14, 19, v20
	v_lshlrev_b64 v[14:15], v14, 1
	v_bfi_b32 v11, v11, 0, 0
	v_bfi_b32 v10, v10, 0, v60
	v_cmp_eq_u64_e64 s[20:21], v[10:11], v[14:15]
	v_lshrrev_b64 v[10:11], v20, v[60:61]
	v_mov_b32_e32 v15, v11
	v_mov_b32_e32 v14, v10
	s_and_saveexec_b64 s[92:93], s[20:21]
; %bb.1710:                             ;   in Loop: Header=BB6_126 Depth=2
	v_bfe_u32 v11, v10, 20, 1
	v_add_co_u32_e64 v11, s[20:21], v10, v11
	v_add_co_u32_e64 v14, s[20:21], -1, v11
; %bb.1711:                             ;   in Loop: Header=BB6_126 Depth=2
	s_or_b64 exec, exec, s[92:93]
	v_add_u32_e32 v3, 0xffffff81, v3
	v_mov_b32_e32 v11, 0xffffff82
	v_cndmask_b32_e32 v3, v3, v11, vcc
	v_lshrrev_b32_e32 v11, 23, v10
	v_add3_u32 v20, v20, v3, v11
	v_add_u32_e32 v15, 6, v20
	v_and_b32_e32 v3, 0xfffff, v14
	v_add_u32_e32 v60, v3, v10
	v_cmp_ne_u32_e32 vcc, 0, v15
                                        ; implicit-def: $vgpr10_vgpr11
                                        ; implicit-def: $vgpr3
	s_and_saveexec_b64 s[20:21], vcc
	s_xor_b64 s[20:21], exec, s[20:21]
; %bb.1712:                             ;   in Loop: Header=BB6_126 Depth=2
	v_cmp_lt_u64_e32 vcc, s[60:61], v[60:61]
	v_add_u32_e32 v3, 7, v20
	v_cndmask_b32_e64 v10, 0, 1, vcc
	v_lshrrev_b64 v[10:11], v10, v[60:61]
	v_cndmask_b32_e32 v3, v15, v3, vcc
; %bb.1713:                             ;   in Loop: Header=BB6_126 Depth=2
	s_andn2_saveexec_b64 s[20:21], s[20:21]
; %bb.1714:                             ;   in Loop: Header=BB6_126 Depth=2
	v_mov_b32_e32 v10, v60
	v_bfe_u32 v3, v60, 23, 1
	v_mov_b32_e32 v11, v61
; %bb.1715:                             ;   in Loop: Header=BB6_126 Depth=2
	s_or_b64 exec, exec, s[20:21]
	v_lshrrev_b64 v[10:11], 20, v[10:11]
	v_cmp_gt_i32_e32 vcc, 16, v3
	v_cndmask_b32_e32 v11, 0, v11, vcc
	v_cndmask_b32_e32 v10, 7, v10, vcc
	v_cmp_eq_u32_e32 vcc, 0, v3
	v_min_i32_e32 v3, 15, v3
	v_cmp_eq_u64_e64 s[20:21], 0, v[10:11]
	v_lshlrev_b32_e32 v3, 3, v3
	v_and_b32_e32 v3, 0xf8, v3
	v_and_or_b32 v3, v10, 7, v3
	s_and_b64 s[20:21], vcc, s[20:21]
	v_cndmask_b32_e64 v3, v3, 0, s[20:21]
	v_or_b32_e32 v20, v3, v2
.LBB6_1716:                             ;   in Loop: Header=BB6_126 Depth=2
	s_or_b64 exec, exec, s[90:91]
                                        ; implicit-def: $vgpr2
.LBB6_1717:                             ;   in Loop: Header=BB6_126 Depth=2
	s_andn2_saveexec_b64 s[20:21], s[88:89]
; %bb.1718:                             ;   in Loop: Header=BB6_126 Depth=2
	v_or_b32_e32 v20, 0x7e, v2
; %bb.1719:                             ;   in Loop: Header=BB6_126 Depth=2
	s_or_b64 exec, exec, s[20:21]
                                        ; implicit-def: $vgpr3
.LBB6_1720:                             ;   in Loop: Header=BB6_126 Depth=2
	s_andn2_saveexec_b64 s[20:21], s[78:79]
; %bb.1721:                             ;   in Loop: Header=BB6_126 Depth=2
	v_or_b32_sdwa v20, v3, s53 dst_sel:DWORD dst_unused:UNUSED_PAD src0_sel:BYTE_3 src1_sel:DWORD
; %bb.1722:                             ;   in Loop: Header=BB6_126 Depth=2
	s_or_b64 exec, exec, s[20:21]
	v_lshrrev_b16_e32 v10, 8, v16
	v_cmp_ne_u16_e32 vcc, 0, v10
	v_mov_b32_e32 v2, 0
	v_mov_b32_e32 v3, 0
	s_and_saveexec_b64 s[20:21], vcc
	s_cbranch_execz .LBB6_1728
; %bb.1723:                             ;   in Loop: Header=BB6_126 Depth=2
	v_cmp_ne_u16_e32 vcc, s52, v10
	v_bfrev_b32_e32 v3, 1
	s_and_saveexec_b64 s[78:79], vcc
	s_cbranch_execz .LBB6_1727
; %bb.1724:                             ;   in Loop: Header=BB6_126 Depth=2
	v_and_b32_e32 v11, 0x7f, v10
	v_cmp_ne_u32_e32 vcc, s53, v11
	v_mov_b32_e32 v3, 0x7f800001
	s_and_saveexec_b64 s[88:89], vcc
	s_cbranch_execz .LBB6_1726
; %bb.1725:                             ;   in Loop: Header=BB6_126 Depth=2
	v_and_b32_e32 v3, 7, v10
	v_lshrrev_b32_e32 v14, 3, v11
	v_cmp_gt_u32_e32 vcc, 8, v11
	v_ffbh_u32_e32 v11, v3
	v_min_u32_e32 v15, 32, v11
	v_subrev_u32_e32 v11, 28, v15
	v_lshlrev_b64 v[10:11], v11, v[10:11]
	v_sub_u32_e32 v11, 29, v15
	v_and_b32_e32 v10, 7, v10
	v_cndmask_b32_e32 v11, v14, v11, vcc
	v_cndmask_b32_e32 v3, v3, v10, vcc
	v_lshlrev_b32_e32 v10, 16, v16
	v_lshlrev_b32_e32 v3, 20, v3
	v_and_b32_e32 v10, 0x80000000, v10
	v_lshl_add_u32 v11, v11, 23, v62
	v_or3_b32 v3, v10, v11, v3
.LBB6_1726:                             ;   in Loop: Header=BB6_126 Depth=2
	s_or_b64 exec, exec, s[88:89]
.LBB6_1727:                             ;   in Loop: Header=BB6_126 Depth=2
	s_or_b64 exec, exec, s[78:79]
.LBB6_1728:                             ;   in Loop: Header=BB6_126 Depth=2
	s_or_b64 exec, exec, s[20:21]
	v_lshrrev_b16_e32 v10, 8, v12
	v_cmp_ne_u16_e32 vcc, 0, v10
	s_and_saveexec_b64 s[20:21], vcc
	s_cbranch_execz .LBB6_1734
; %bb.1729:                             ;   in Loop: Header=BB6_126 Depth=2
	v_cmp_ne_u16_e32 vcc, s52, v10
	v_bfrev_b32_e32 v2, 1
	s_and_saveexec_b64 s[78:79], vcc
	s_cbranch_execz .LBB6_1733
; %bb.1730:                             ;   in Loop: Header=BB6_126 Depth=2
	v_and_b32_e32 v11, 0x7f, v10
	v_cmp_ne_u32_e32 vcc, s53, v11
	v_mov_b32_e32 v2, 0x7f800001
	s_and_saveexec_b64 s[88:89], vcc
	s_cbranch_execz .LBB6_1732
; %bb.1731:                             ;   in Loop: Header=BB6_126 Depth=2
	v_and_b32_e32 v2, 7, v10
	v_lshrrev_b32_e32 v14, 3, v11
	v_cmp_gt_u32_e32 vcc, 8, v11
	v_ffbh_u32_e32 v11, v2
	v_min_u32_e32 v15, 32, v11
	v_subrev_u32_e32 v11, 28, v15
	v_lshlrev_b64 v[10:11], v11, v[10:11]
	v_sub_u32_e32 v11, 29, v15
	v_and_b32_e32 v10, 7, v10
	v_cndmask_b32_e32 v11, v14, v11, vcc
	v_cndmask_b32_e32 v2, v2, v10, vcc
	v_lshlrev_b32_e32 v10, 16, v12
	v_lshlrev_b32_e32 v2, 20, v2
	v_and_b32_e32 v10, 0x80000000, v10
	v_lshl_add_u32 v11, v11, 23, v62
	v_or3_b32 v2, v10, v11, v2
.LBB6_1732:                             ;   in Loop: Header=BB6_126 Depth=2
	s_or_b64 exec, exec, s[88:89]
.LBB6_1733:                             ;   in Loop: Header=BB6_126 Depth=2
	s_or_b64 exec, exec, s[78:79]
.LBB6_1734:                             ;   in Loop: Header=BB6_126 Depth=2
	s_or_b64 exec, exec, s[20:21]
	v_add_f32_e32 v3, v3, v2
	v_and_b32_e32 v60, 0x7f800000, v3
	v_cmp_ne_u64_e32 vcc, s[56:57], v[60:61]
                                        ; implicit-def: $vgpr56
	s_and_saveexec_b64 s[20:21], vcc
	s_xor_b64 s[78:79], exec, s[20:21]
	s_cbranch_execz .LBB6_1748
; %bb.1735:                             ;   in Loop: Header=BB6_126 Depth=2
	v_and_b32_e32 v60, 0x7fffffff, v3
	v_cmp_gt_u64_e32 vcc, s[58:59], v[60:61]
	v_and_b32_sdwa v2, v3, s52 dst_sel:DWORD dst_unused:UNUSED_PAD src0_sel:BYTE_3 src1_sel:DWORD
                                        ; implicit-def: $vgpr56
	s_and_saveexec_b64 s[20:21], vcc
	s_xor_b64 s[88:89], exec, s[20:21]
	s_cbranch_execz .LBB6_1745
; %bb.1736:                             ;   in Loop: Header=BB6_126 Depth=2
	v_mov_b32_e32 v56, 0
	v_cmp_ne_u32_e32 vcc, 0, v3
	s_and_saveexec_b64 s[90:91], vcc
	s_cbranch_execz .LBB6_1744
; %bb.1737:                             ;   in Loop: Header=BB6_126 Depth=2
	v_and_b32_e32 v10, 0x7fffff, v3
	v_bfe_u32 v3, v3, 23, 8
	v_cmp_gt_u32_e64 s[20:21], s54, v3
	v_sub_u32_e32 v11, 0x79, v3
	v_cmp_eq_u32_e32 vcc, 0, v3
	v_cndmask_b32_e64 v11, 0, v11, s[20:21]
	v_mov_b32_e32 v15, 0x78
	v_or_b32_e32 v14, 0x800000, v10
	v_cndmask_b32_e32 v48, v11, v15, vcc
	v_cndmask_b32_e32 v60, v14, v10, vcc
	v_add_u32_e32 v10, 20, v48
	v_lshlrev_b64 v[10:11], v10, -1
	v_add_u32_e32 v14, 19, v48
	v_lshlrev_b64 v[14:15], v14, 1
	v_bfi_b32 v11, v11, 0, 0
	v_bfi_b32 v10, v10, 0, v60
	v_cmp_eq_u64_e64 s[20:21], v[10:11], v[14:15]
	v_lshrrev_b64 v[10:11], v48, v[60:61]
	v_mov_b32_e32 v15, v11
	v_mov_b32_e32 v14, v10
	s_and_saveexec_b64 s[92:93], s[20:21]
; %bb.1738:                             ;   in Loop: Header=BB6_126 Depth=2
	v_bfe_u32 v11, v10, 20, 1
	v_add_co_u32_e64 v11, s[20:21], v10, v11
	v_add_co_u32_e64 v14, s[20:21], -1, v11
; %bb.1739:                             ;   in Loop: Header=BB6_126 Depth=2
	s_or_b64 exec, exec, s[92:93]
	v_add_u32_e32 v3, 0xffffff81, v3
	v_mov_b32_e32 v11, 0xffffff82
	v_cndmask_b32_e32 v3, v3, v11, vcc
	v_lshrrev_b32_e32 v11, 23, v10
	v_add3_u32 v48, v48, v3, v11
	v_add_u32_e32 v15, 6, v48
	v_and_b32_e32 v3, 0xfffff, v14
	v_add_u32_e32 v60, v3, v10
	v_cmp_ne_u32_e32 vcc, 0, v15
                                        ; implicit-def: $vgpr10_vgpr11
                                        ; implicit-def: $vgpr3
	s_and_saveexec_b64 s[20:21], vcc
	s_xor_b64 s[20:21], exec, s[20:21]
; %bb.1740:                             ;   in Loop: Header=BB6_126 Depth=2
	v_cmp_lt_u64_e32 vcc, s[60:61], v[60:61]
	v_add_u32_e32 v3, 7, v48
	v_cndmask_b32_e64 v10, 0, 1, vcc
	v_lshrrev_b64 v[10:11], v10, v[60:61]
	v_cndmask_b32_e32 v3, v15, v3, vcc
; %bb.1741:                             ;   in Loop: Header=BB6_126 Depth=2
	s_andn2_saveexec_b64 s[20:21], s[20:21]
; %bb.1742:                             ;   in Loop: Header=BB6_126 Depth=2
	v_mov_b32_e32 v10, v60
	v_bfe_u32 v3, v60, 23, 1
	v_mov_b32_e32 v11, v61
; %bb.1743:                             ;   in Loop: Header=BB6_126 Depth=2
	s_or_b64 exec, exec, s[20:21]
	v_lshrrev_b64 v[10:11], 20, v[10:11]
	v_cmp_gt_i32_e32 vcc, 16, v3
	v_cndmask_b32_e32 v11, 0, v11, vcc
	v_cndmask_b32_e32 v10, 7, v10, vcc
	v_cmp_eq_u32_e32 vcc, 0, v3
	v_min_i32_e32 v3, 15, v3
	v_cmp_eq_u64_e64 s[20:21], 0, v[10:11]
	v_lshlrev_b32_e32 v3, 3, v3
	v_and_b32_e32 v3, 0xf8, v3
	v_and_or_b32 v3, v10, 7, v3
	s_and_b64 s[20:21], vcc, s[20:21]
	v_cndmask_b32_e64 v3, v3, 0, s[20:21]
	v_or_b32_e32 v56, v3, v2
.LBB6_1744:                             ;   in Loop: Header=BB6_126 Depth=2
	s_or_b64 exec, exec, s[90:91]
                                        ; implicit-def: $vgpr2
.LBB6_1745:                             ;   in Loop: Header=BB6_126 Depth=2
	s_andn2_saveexec_b64 s[20:21], s[88:89]
; %bb.1746:                             ;   in Loop: Header=BB6_126 Depth=2
	v_or_b32_e32 v56, 0x7e, v2
; %bb.1747:                             ;   in Loop: Header=BB6_126 Depth=2
	s_or_b64 exec, exec, s[20:21]
                                        ; implicit-def: $vgpr3
.LBB6_1748:                             ;   in Loop: Header=BB6_126 Depth=2
	s_andn2_saveexec_b64 s[20:21], s[78:79]
; %bb.1749:                             ;   in Loop: Header=BB6_126 Depth=2
	v_or_b32_sdwa v56, v3, s53 dst_sel:DWORD dst_unused:UNUSED_PAD src0_sel:BYTE_3 src1_sel:DWORD
; %bb.1750:                             ;   in Loop: Header=BB6_126 Depth=2
	s_or_b64 exec, exec, s[20:21]
	v_lshrrev_b32_e32 v10, 16, v16
	v_cmp_ne_u16_sdwa s[78:79], v10, v61 src0_sel:BYTE_0 src1_sel:DWORD
	v_mov_b32_e32 v2, 0
	v_mov_b32_e32 v3, 0
	s_and_saveexec_b64 s[20:21], s[78:79]
	s_cbranch_execz .LBB6_1756
; %bb.1751:                             ;   in Loop: Header=BB6_126 Depth=2
	v_cmp_ne_u16_sdwa s[88:89], v10, s52 src0_sel:BYTE_0 src1_sel:DWORD
	v_bfrev_b32_e32 v3, 1
	s_and_saveexec_b64 s[78:79], s[88:89]
	s_cbranch_execz .LBB6_1755
; %bb.1752:                             ;   in Loop: Header=BB6_126 Depth=2
	v_bfe_u32 v11, v16, 16, 7
	v_cmp_ne_u32_e32 vcc, s53, v11
	v_mov_b32_e32 v3, 0x7f800001
	s_and_saveexec_b64 s[88:89], vcc
	s_cbranch_execz .LBB6_1754
; %bb.1753:                             ;   in Loop: Header=BB6_126 Depth=2
	v_and_b32_e32 v3, 7, v10
	v_lshrrev_b32_e32 v32, 3, v11
	v_cmp_gt_u32_e32 vcc, 8, v11
	v_ffbh_u32_e32 v11, v3
	v_min_u32_e32 v11, 32, v11
	v_subrev_u32_e32 v14, 28, v11
	v_lshlrev_b64 v[14:15], v14, v[10:11]
	v_sub_u32_e32 v11, 29, v11
	v_and_b32_e32 v14, 7, v14
	v_cndmask_b32_e32 v11, v32, v11, vcc
	v_cndmask_b32_e32 v3, v3, v14, vcc
	v_lshlrev_b32_e32 v10, 24, v10
	v_lshlrev_b32_e32 v3, 20, v3
	v_and_b32_e32 v10, 0x80000000, v10
	v_lshl_add_u32 v11, v11, 23, v62
	v_or3_b32 v3, v10, v11, v3
.LBB6_1754:                             ;   in Loop: Header=BB6_126 Depth=2
	s_or_b64 exec, exec, s[88:89]
.LBB6_1755:                             ;   in Loop: Header=BB6_126 Depth=2
	s_or_b64 exec, exec, s[78:79]
.LBB6_1756:                             ;   in Loop: Header=BB6_126 Depth=2
	s_or_b64 exec, exec, s[20:21]
	v_lshrrev_b32_e32 v10, 16, v12
	v_cmp_ne_u16_sdwa s[78:79], v10, v61 src0_sel:BYTE_0 src1_sel:DWORD
	s_and_saveexec_b64 s[20:21], s[78:79]
	s_cbranch_execz .LBB6_1762
; %bb.1757:                             ;   in Loop: Header=BB6_126 Depth=2
	v_cmp_ne_u16_sdwa s[88:89], v10, s52 src0_sel:BYTE_0 src1_sel:DWORD
	v_bfrev_b32_e32 v2, 1
	s_and_saveexec_b64 s[78:79], s[88:89]
	s_cbranch_execz .LBB6_1761
; %bb.1758:                             ;   in Loop: Header=BB6_126 Depth=2
	v_bfe_u32 v11, v12, 16, 7
	v_cmp_ne_u32_e32 vcc, s53, v11
	v_mov_b32_e32 v2, 0x7f800001
	s_and_saveexec_b64 s[88:89], vcc
	s_cbranch_execz .LBB6_1760
; %bb.1759:                             ;   in Loop: Header=BB6_126 Depth=2
	v_and_b32_e32 v2, 7, v10
	v_lshrrev_b32_e32 v14, 3, v11
	v_cmp_gt_u32_e32 vcc, 8, v11
	v_ffbh_u32_e32 v11, v2
	v_min_u32_e32 v15, 32, v11
	v_subrev_u32_e32 v11, 28, v15
	v_lshlrev_b64 v[10:11], v11, v[10:11]
	v_sub_u32_e32 v11, 29, v15
	v_and_b32_e32 v10, 7, v10
	v_cndmask_b32_e32 v11, v14, v11, vcc
	v_cndmask_b32_e32 v2, v2, v10, vcc
	v_lshlrev_b32_e32 v10, 8, v12
	v_lshlrev_b32_e32 v2, 20, v2
	v_and_b32_e32 v10, 0x80000000, v10
	v_lshl_add_u32 v11, v11, 23, v62
	v_or3_b32 v2, v10, v11, v2
.LBB6_1760:                             ;   in Loop: Header=BB6_126 Depth=2
	s_or_b64 exec, exec, s[88:89]
.LBB6_1761:                             ;   in Loop: Header=BB6_126 Depth=2
	s_or_b64 exec, exec, s[78:79]
.LBB6_1762:                             ;   in Loop: Header=BB6_126 Depth=2
	s_or_b64 exec, exec, s[20:21]
	v_add_f32_e32 v10, v3, v2
	v_and_b32_e32 v60, 0x7f800000, v10
	v_cmp_ne_u64_e32 vcc, s[56:57], v[60:61]
                                        ; implicit-def: $vgpr2
	s_and_saveexec_b64 s[20:21], vcc
	s_xor_b64 s[78:79], exec, s[20:21]
	s_cbranch_execz .LBB6_1776
; %bb.1763:                             ;   in Loop: Header=BB6_126 Depth=2
	v_and_b32_e32 v60, 0x7fffffff, v10
	v_cmp_gt_u64_e32 vcc, s[58:59], v[60:61]
	v_and_b32_sdwa v3, v10, s52 dst_sel:DWORD dst_unused:UNUSED_PAD src0_sel:BYTE_3 src1_sel:DWORD
                                        ; implicit-def: $vgpr2
	s_and_saveexec_b64 s[20:21], vcc
	s_xor_b64 s[88:89], exec, s[20:21]
	s_cbranch_execz .LBB6_1773
; %bb.1764:                             ;   in Loop: Header=BB6_126 Depth=2
	v_mov_b32_e32 v2, 0
	v_cmp_ne_u32_e32 vcc, 0, v10
	s_and_saveexec_b64 s[90:91], vcc
	s_cbranch_execz .LBB6_1772
; %bb.1765:                             ;   in Loop: Header=BB6_126 Depth=2
	v_bfe_u32 v2, v10, 23, 8
	v_and_b32_e32 v11, 0x7fffff, v10
	v_cmp_gt_u32_e64 s[20:21], s54, v2
	v_sub_u32_e32 v10, 0x79, v2
	v_cmp_eq_u32_e32 vcc, 0, v2
	v_cndmask_b32_e64 v10, 0, v10, s[20:21]
	v_mov_b32_e32 v15, 0x78
	v_cndmask_b32_e32 v48, v10, v15, vcc
	v_or_b32_e32 v14, 0x800000, v11
	v_add_u32_e32 v10, 20, v48
	v_cndmask_b32_e32 v60, v14, v11, vcc
	v_lshlrev_b64 v[10:11], v10, -1
	v_add_u32_e32 v14, 19, v48
	v_lshlrev_b64 v[14:15], v14, 1
	v_bfi_b32 v11, v11, 0, 0
	v_bfi_b32 v10, v10, 0, v60
	v_cmp_eq_u64_e64 s[20:21], v[10:11], v[14:15]
	v_lshrrev_b64 v[10:11], v48, v[60:61]
	v_mov_b32_e32 v15, v11
	v_mov_b32_e32 v14, v10
	s_and_saveexec_b64 s[92:93], s[20:21]
; %bb.1766:                             ;   in Loop: Header=BB6_126 Depth=2
	v_bfe_u32 v11, v10, 20, 1
	v_add_co_u32_e64 v11, s[20:21], v10, v11
	v_add_co_u32_e64 v14, s[20:21], -1, v11
; %bb.1767:                             ;   in Loop: Header=BB6_126 Depth=2
	s_or_b64 exec, exec, s[92:93]
	v_add_u32_e32 v2, 0xffffff81, v2
	v_mov_b32_e32 v11, 0xffffff82
	v_cndmask_b32_e32 v2, v2, v11, vcc
	v_lshrrev_b32_e32 v11, 23, v10
	v_add3_u32 v48, v48, v2, v11
	v_add_u32_e32 v15, 6, v48
	v_and_b32_e32 v2, 0xfffff, v14
	v_add_u32_e32 v60, v2, v10
	v_cmp_ne_u32_e32 vcc, 0, v15
                                        ; implicit-def: $vgpr10_vgpr11
                                        ; implicit-def: $vgpr2
	s_and_saveexec_b64 s[20:21], vcc
	s_xor_b64 s[20:21], exec, s[20:21]
; %bb.1768:                             ;   in Loop: Header=BB6_126 Depth=2
	v_cmp_lt_u64_e32 vcc, s[60:61], v[60:61]
	v_add_u32_e32 v2, 7, v48
	v_cndmask_b32_e64 v10, 0, 1, vcc
	v_lshrrev_b64 v[10:11], v10, v[60:61]
	v_cndmask_b32_e32 v2, v15, v2, vcc
; %bb.1769:                             ;   in Loop: Header=BB6_126 Depth=2
	s_andn2_saveexec_b64 s[20:21], s[20:21]
; %bb.1770:                             ;   in Loop: Header=BB6_126 Depth=2
	v_mov_b32_e32 v10, v60
	v_bfe_u32 v2, v60, 23, 1
	v_mov_b32_e32 v11, v61
; %bb.1771:                             ;   in Loop: Header=BB6_126 Depth=2
	s_or_b64 exec, exec, s[20:21]
	v_lshrrev_b64 v[10:11], 20, v[10:11]
	v_cmp_gt_i32_e32 vcc, 16, v2
	v_cndmask_b32_e32 v11, 0, v11, vcc
	v_cndmask_b32_e32 v10, 7, v10, vcc
	v_cmp_eq_u32_e32 vcc, 0, v2
	v_min_i32_e32 v2, 15, v2
	v_cmp_eq_u64_e64 s[20:21], 0, v[10:11]
	v_lshlrev_b32_e32 v2, 3, v2
	v_and_b32_e32 v2, 0xf8, v2
	v_and_or_b32 v2, v10, 7, v2
	s_and_b64 s[20:21], vcc, s[20:21]
	v_cndmask_b32_e64 v2, v2, 0, s[20:21]
	v_or_b32_e32 v2, v2, v3
.LBB6_1772:                             ;   in Loop: Header=BB6_126 Depth=2
	s_or_b64 exec, exec, s[90:91]
                                        ; implicit-def: $vgpr3
.LBB6_1773:                             ;   in Loop: Header=BB6_126 Depth=2
	s_andn2_saveexec_b64 s[20:21], s[88:89]
; %bb.1774:                             ;   in Loop: Header=BB6_126 Depth=2
	v_or_b32_e32 v2, 0x7e, v3
; %bb.1775:                             ;   in Loop: Header=BB6_126 Depth=2
	s_or_b64 exec, exec, s[20:21]
                                        ; implicit-def: $vgpr10
.LBB6_1776:                             ;   in Loop: Header=BB6_126 Depth=2
	s_andn2_saveexec_b64 s[20:21], s[78:79]
; %bb.1777:                             ;   in Loop: Header=BB6_126 Depth=2
	v_or_b32_sdwa v2, v10, s53 dst_sel:DWORD dst_unused:UNUSED_PAD src0_sel:BYTE_3 src1_sel:DWORD
; %bb.1778:                             ;   in Loop: Header=BB6_126 Depth=2
	s_or_b64 exec, exec, s[20:21]
	v_cmp_lt_u32_e32 vcc, s63, v16
	v_mov_b32_e32 v3, 0
	v_mov_b32_e32 v11, 0
	s_and_saveexec_b64 s[20:21], vcc
	s_cbranch_execz .LBB6_1784
; %bb.1779:                             ;   in Loop: Header=BB6_126 Depth=2
	v_lshrrev_b32_e32 v10, 24, v16
	v_cmp_ne_u32_e32 vcc, s52, v10
	v_bfrev_b32_e32 v11, 1
	s_and_saveexec_b64 s[78:79], vcc
	s_cbranch_execz .LBB6_1783
; %bb.1780:                             ;   in Loop: Header=BB6_126 Depth=2
	v_bfe_u32 v14, v16, 24, 7
	v_cmp_ne_u32_e32 vcc, s53, v14
	v_mov_b32_e32 v11, 0x7f800001
	s_and_saveexec_b64 s[88:89], vcc
	s_cbranch_execz .LBB6_1782
; %bb.1781:                             ;   in Loop: Header=BB6_126 Depth=2
	v_and_b32_e32 v11, 7, v10
	v_lshrrev_b32_e32 v32, 3, v14
	v_cmp_gt_u32_e32 vcc, 8, v14
	v_ffbh_u32_e32 v14, v11
	v_min_u32_e32 v33, 32, v14
	v_subrev_u32_e32 v14, 28, v33
	v_lshlrev_b64 v[14:15], v14, v[10:11]
	v_sub_u32_e32 v15, 29, v33
	v_and_b32_e32 v14, 7, v14
	v_cndmask_b32_e32 v15, v32, v15, vcc
	v_cndmask_b32_e32 v11, v11, v14, vcc
	v_lshlrev_b32_e32 v10, 24, v10
	v_lshlrev_b32_e32 v11, 20, v11
	v_and_b32_e32 v10, 0x80000000, v10
	v_lshl_add_u32 v14, v15, 23, v62
	v_or3_b32 v11, v10, v14, v11
.LBB6_1782:                             ;   in Loop: Header=BB6_126 Depth=2
	s_or_b64 exec, exec, s[88:89]
.LBB6_1783:                             ;   in Loop: Header=BB6_126 Depth=2
	s_or_b64 exec, exec, s[78:79]
.LBB6_1784:                             ;   in Loop: Header=BB6_126 Depth=2
	s_or_b64 exec, exec, s[20:21]
	v_cmp_lt_u32_e32 vcc, s63, v12
	s_and_saveexec_b64 s[20:21], vcc
	s_cbranch_execz .LBB6_1790
; %bb.1785:                             ;   in Loop: Header=BB6_126 Depth=2
	v_lshrrev_b32_e32 v10, 24, v12
	v_cmp_ne_u32_e32 vcc, s52, v10
	v_bfrev_b32_e32 v3, 1
	s_and_saveexec_b64 s[78:79], vcc
	s_cbranch_execz .LBB6_1789
; %bb.1786:                             ;   in Loop: Header=BB6_126 Depth=2
	v_bfe_u32 v14, v12, 24, 7
	v_cmp_ne_u32_e32 vcc, s53, v14
	v_mov_b32_e32 v3, 0x7f800001
	s_and_saveexec_b64 s[88:89], vcc
	s_cbranch_execz .LBB6_1788
; %bb.1787:                             ;   in Loop: Header=BB6_126 Depth=2
	v_and_b32_e32 v3, 7, v10
	v_lshrrev_b32_e32 v32, 3, v14
	v_cmp_gt_u32_e32 vcc, 8, v14
	v_ffbh_u32_e32 v14, v3
	v_min_u32_e32 v33, 32, v14
	v_subrev_u32_e32 v14, 28, v33
	v_lshlrev_b64 v[14:15], v14, v[10:11]
	v_sub_u32_e32 v15, 29, v33
	v_and_b32_e32 v14, 7, v14
	v_cndmask_b32_e32 v15, v32, v15, vcc
	v_cndmask_b32_e32 v3, v3, v14, vcc
	v_lshlrev_b32_e32 v10, 24, v10
	v_lshlrev_b32_e32 v3, 20, v3
	v_and_b32_e32 v10, 0x80000000, v10
	v_lshl_add_u32 v14, v15, 23, v62
	v_or3_b32 v3, v10, v14, v3
.LBB6_1788:                             ;   in Loop: Header=BB6_126 Depth=2
	s_or_b64 exec, exec, s[88:89]
.LBB6_1789:                             ;   in Loop: Header=BB6_126 Depth=2
	s_or_b64 exec, exec, s[78:79]
.LBB6_1790:                             ;   in Loop: Header=BB6_126 Depth=2
	s_or_b64 exec, exec, s[20:21]
	v_add_f32_e32 v10, v11, v3
	v_and_b32_e32 v60, 0x7f800000, v10
	v_cmp_ne_u64_e32 vcc, s[56:57], v[60:61]
                                        ; implicit-def: $vgpr3
	s_and_saveexec_b64 s[20:21], vcc
	s_xor_b64 s[78:79], exec, s[20:21]
	s_cbranch_execz .LBB6_1804
; %bb.1791:                             ;   in Loop: Header=BB6_126 Depth=2
	v_and_b32_e32 v60, 0x7fffffff, v10
	v_cmp_gt_u64_e32 vcc, s[58:59], v[60:61]
	v_and_b32_sdwa v48, v10, s52 dst_sel:DWORD dst_unused:UNUSED_PAD src0_sel:BYTE_3 src1_sel:DWORD
                                        ; implicit-def: $vgpr3
	s_and_saveexec_b64 s[20:21], vcc
	s_xor_b64 s[88:89], exec, s[20:21]
	s_cbranch_execz .LBB6_1801
; %bb.1792:                             ;   in Loop: Header=BB6_126 Depth=2
	v_mov_b32_e32 v3, 0
	v_cmp_ne_u32_e32 vcc, 0, v10
	s_and_saveexec_b64 s[90:91], vcc
	s_cbranch_execz .LBB6_1800
; %bb.1793:                             ;   in Loop: Header=BB6_126 Depth=2
	v_bfe_u32 v3, v10, 23, 8
	v_and_b32_e32 v11, 0x7fffff, v10
	v_cmp_gt_u32_e64 s[20:21], s54, v3
	v_sub_u32_e32 v10, 0x79, v3
	v_cmp_eq_u32_e32 vcc, 0, v3
	v_cndmask_b32_e64 v10, 0, v10, s[20:21]
	v_mov_b32_e32 v15, 0x78
	v_cndmask_b32_e32 v49, v10, v15, vcc
	v_or_b32_e32 v14, 0x800000, v11
	v_add_u32_e32 v10, 20, v49
	v_cndmask_b32_e32 v60, v14, v11, vcc
	v_lshlrev_b64 v[10:11], v10, -1
	v_add_u32_e32 v14, 19, v49
	v_lshlrev_b64 v[14:15], v14, 1
	v_bfi_b32 v11, v11, 0, 0
	v_bfi_b32 v10, v10, 0, v60
	v_cmp_eq_u64_e64 s[20:21], v[10:11], v[14:15]
	v_lshrrev_b64 v[10:11], v49, v[60:61]
	v_mov_b32_e32 v15, v11
	v_mov_b32_e32 v14, v10
	s_and_saveexec_b64 s[92:93], s[20:21]
; %bb.1794:                             ;   in Loop: Header=BB6_126 Depth=2
	v_bfe_u32 v11, v10, 20, 1
	v_add_co_u32_e64 v11, s[20:21], v10, v11
	v_add_co_u32_e64 v14, s[20:21], -1, v11
; %bb.1795:                             ;   in Loop: Header=BB6_126 Depth=2
	s_or_b64 exec, exec, s[92:93]
	v_add_u32_e32 v3, 0xffffff81, v3
	v_mov_b32_e32 v11, 0xffffff82
	v_cndmask_b32_e32 v3, v3, v11, vcc
	v_lshrrev_b32_e32 v11, 23, v10
	v_add3_u32 v49, v49, v3, v11
	v_add_u32_e32 v15, 6, v49
	v_and_b32_e32 v3, 0xfffff, v14
	v_add_u32_e32 v60, v3, v10
	v_cmp_ne_u32_e32 vcc, 0, v15
                                        ; implicit-def: $vgpr10_vgpr11
                                        ; implicit-def: $vgpr3
	s_and_saveexec_b64 s[20:21], vcc
	s_xor_b64 s[20:21], exec, s[20:21]
; %bb.1796:                             ;   in Loop: Header=BB6_126 Depth=2
	v_cmp_lt_u64_e32 vcc, s[60:61], v[60:61]
	v_add_u32_e32 v3, 7, v49
	v_cndmask_b32_e64 v10, 0, 1, vcc
	v_lshrrev_b64 v[10:11], v10, v[60:61]
	v_cndmask_b32_e32 v3, v15, v3, vcc
; %bb.1797:                             ;   in Loop: Header=BB6_126 Depth=2
	s_andn2_saveexec_b64 s[20:21], s[20:21]
; %bb.1798:                             ;   in Loop: Header=BB6_126 Depth=2
	v_mov_b32_e32 v10, v60
	v_bfe_u32 v3, v60, 23, 1
	v_mov_b32_e32 v11, v61
; %bb.1799:                             ;   in Loop: Header=BB6_126 Depth=2
	s_or_b64 exec, exec, s[20:21]
	v_lshrrev_b64 v[10:11], 20, v[10:11]
	v_cmp_gt_i32_e32 vcc, 16, v3
	v_cndmask_b32_e32 v11, 0, v11, vcc
	v_cndmask_b32_e32 v10, 7, v10, vcc
	v_cmp_eq_u32_e32 vcc, 0, v3
	v_min_i32_e32 v3, 15, v3
	v_cmp_eq_u64_e64 s[20:21], 0, v[10:11]
	v_lshlrev_b32_e32 v3, 3, v3
	v_and_b32_e32 v3, 0xf8, v3
	v_and_or_b32 v3, v10, 7, v3
	s_and_b64 s[20:21], vcc, s[20:21]
	v_cndmask_b32_e64 v3, v3, 0, s[20:21]
	v_or_b32_e32 v3, v3, v48
.LBB6_1800:                             ;   in Loop: Header=BB6_126 Depth=2
	s_or_b64 exec, exec, s[90:91]
                                        ; implicit-def: $vgpr48
.LBB6_1801:                             ;   in Loop: Header=BB6_126 Depth=2
	s_andn2_saveexec_b64 s[20:21], s[88:89]
; %bb.1802:                             ;   in Loop: Header=BB6_126 Depth=2
	v_or_b32_e32 v3, 0x7e, v48
; %bb.1803:                             ;   in Loop: Header=BB6_126 Depth=2
	s_or_b64 exec, exec, s[20:21]
                                        ; implicit-def: $vgpr10
.LBB6_1804:                             ;   in Loop: Header=BB6_126 Depth=2
	s_andn2_saveexec_b64 s[20:21], s[78:79]
; %bb.1805:                             ;   in Loop: Header=BB6_126 Depth=2
	v_or_b32_sdwa v3, v10, s53 dst_sel:DWORD dst_unused:UNUSED_PAD src0_sel:BYTE_3 src1_sel:DWORD
; %bb.1806:                             ;   in Loop: Header=BB6_126 Depth=2
	s_or_b64 exec, exec, s[20:21]
	v_mov_b32_e32 v60, v17
	v_cmp_ne_u16_sdwa s[78:79], v17, v61 src0_sel:BYTE_0 src1_sel:DWORD
	v_mov_b32_e32 v11, 0
	v_mov_b32_e32 v10, 0
	s_and_saveexec_b64 s[20:21], s[78:79]
	s_cbranch_execz .LBB6_1812
; %bb.1807:                             ;   in Loop: Header=BB6_126 Depth=2
	v_cmp_ne_u16_sdwa s[88:89], v17, s52 src0_sel:BYTE_0 src1_sel:DWORD
	v_bfrev_b32_e32 v10, 1
	s_and_saveexec_b64 s[78:79], s[88:89]
	s_cbranch_execz .LBB6_1811
; %bb.1808:                             ;   in Loop: Header=BB6_126 Depth=2
	v_and_b32_e32 v14, 0x7f, v17
	v_cmp_ne_u32_e32 vcc, s53, v14
	v_mov_b32_e32 v10, 0x7f800001
	s_and_saveexec_b64 s[88:89], vcc
	s_cbranch_execz .LBB6_1810
; %bb.1809:                             ;   in Loop: Header=BB6_126 Depth=2
	v_and_b32_e32 v10, 7, v17
	v_ffbh_u32_e32 v10, v10
	v_min_u32_e32 v10, 32, v10
	v_lshrrev_b32_e32 v15, 3, v14
	v_cmp_gt_u32_e32 vcc, 8, v14
	v_subrev_u32_e32 v14, 28, v10
	v_sub_u32_e32 v10, 29, v10
	v_cndmask_b32_e32 v14, 0, v14, vcc
	v_cndmask_b32_e32 v10, v15, v10, vcc
	v_lshlrev_b64 v[14:15], v14, v[60:61]
	v_lshlrev_b32_e32 v15, 24, v60
	v_lshlrev_b32_e32 v14, 20, v14
	v_and_b32_e32 v14, 0x700000, v14
	v_and_b32_e32 v15, 0x80000000, v15
	v_lshl_add_u32 v10, v10, 23, v62
	v_or3_b32 v10, v15, v10, v14
.LBB6_1810:                             ;   in Loop: Header=BB6_126 Depth=2
	s_or_b64 exec, exec, s[88:89]
.LBB6_1811:                             ;   in Loop: Header=BB6_126 Depth=2
	s_or_b64 exec, exec, s[78:79]
.LBB6_1812:                             ;   in Loop: Header=BB6_126 Depth=2
	s_or_b64 exec, exec, s[20:21]
	v_cmp_ne_u16_sdwa s[78:79], v13, v61 src0_sel:BYTE_0 src1_sel:DWORD
	s_and_saveexec_b64 s[20:21], s[78:79]
	s_cbranch_execz .LBB6_1818
; %bb.1813:                             ;   in Loop: Header=BB6_126 Depth=2
	v_cmp_ne_u16_sdwa s[88:89], v13, s52 src0_sel:BYTE_0 src1_sel:DWORD
	v_bfrev_b32_e32 v11, 1
	s_and_saveexec_b64 s[78:79], s[88:89]
	s_cbranch_execz .LBB6_1817
; %bb.1814:                             ;   in Loop: Header=BB6_126 Depth=2
	v_and_b32_e32 v14, 0x7f, v13
	v_cmp_ne_u32_e32 vcc, s53, v14
	v_mov_b32_e32 v11, 0x7f800001
	s_and_saveexec_b64 s[88:89], vcc
	s_cbranch_execz .LBB6_1816
; %bb.1815:                             ;   in Loop: Header=BB6_126 Depth=2
	v_and_b32_e32 v11, 7, v13
	v_ffbh_u32_e32 v11, v11
	v_min_u32_e32 v11, 32, v11
	v_lshrrev_b32_e32 v15, 3, v14
	v_cmp_gt_u32_e32 vcc, 8, v14
	v_subrev_u32_e32 v14, 28, v11
	v_mov_b32_e32 v32, v13
	v_mov_b32_e32 v33, v61
	v_sub_u32_e32 v11, 29, v11
	v_cndmask_b32_e32 v14, 0, v14, vcc
	v_cndmask_b32_e32 v11, v15, v11, vcc
	v_lshlrev_b64 v[14:15], v14, v[32:33]
	v_lshlrev_b32_e32 v15, 24, v32
	v_lshlrev_b32_e32 v14, 20, v14
	v_and_b32_e32 v14, 0x700000, v14
	v_and_b32_e32 v15, 0x80000000, v15
	v_lshl_add_u32 v11, v11, 23, v62
	v_or3_b32 v11, v15, v11, v14
.LBB6_1816:                             ;   in Loop: Header=BB6_126 Depth=2
	s_or_b64 exec, exec, s[88:89]
.LBB6_1817:                             ;   in Loop: Header=BB6_126 Depth=2
	s_or_b64 exec, exec, s[78:79]
.LBB6_1818:                             ;   in Loop: Header=BB6_126 Depth=2
	s_or_b64 exec, exec, s[20:21]
	v_add_f32_e32 v10, v10, v11
	v_and_b32_e32 v14, 0x7f800000, v10
	v_mov_b32_e32 v15, v61
	v_cmp_ne_u64_e32 vcc, s[56:57], v[14:15]
                                        ; implicit-def: $vgpr48
	s_and_saveexec_b64 s[20:21], vcc
	s_xor_b64 s[78:79], exec, s[20:21]
	s_cbranch_execz .LBB6_1832
; %bb.1819:                             ;   in Loop: Header=BB6_126 Depth=2
	v_and_b32_e32 v14, 0x7fffffff, v10
	v_mov_b32_e32 v15, v61
	v_cmp_gt_u64_e32 vcc, s[58:59], v[14:15]
	v_and_b32_sdwa v40, v10, s52 dst_sel:DWORD dst_unused:UNUSED_PAD src0_sel:BYTE_3 src1_sel:DWORD
                                        ; implicit-def: $vgpr48
	s_and_saveexec_b64 s[20:21], vcc
	s_xor_b64 s[88:89], exec, s[20:21]
	s_cbranch_execz .LBB6_1829
; %bb.1820:                             ;   in Loop: Header=BB6_126 Depth=2
	v_mov_b32_e32 v48, 0
	v_cmp_ne_u32_e32 vcc, 0, v10
	s_and_saveexec_b64 s[90:91], vcc
	s_cbranch_execz .LBB6_1828
; %bb.1821:                             ;   in Loop: Header=BB6_126 Depth=2
	v_bfe_u32 v48, v10, 23, 8
	v_and_b32_e32 v11, 0x7fffff, v10
	v_cmp_gt_u32_e64 s[20:21], s54, v48
	v_sub_u32_e32 v10, 0x79, v48
	v_cmp_eq_u32_e32 vcc, 0, v48
	v_cndmask_b32_e64 v10, 0, v10, s[20:21]
	v_mov_b32_e32 v15, 0x78
	v_or_b32_e32 v14, 0x800000, v11
	v_cndmask_b32_e32 v49, v10, v15, vcc
	v_cndmask_b32_e32 v10, v14, v11, vcc
	v_add_u32_e32 v14, 20, v49
	v_lshlrev_b64 v[14:15], v14, -1
	v_mov_b32_e32 v11, v61
	v_add_u32_e32 v32, 19, v49
	v_bfi_b32 v14, v14, 0, v10
	v_lshlrev_b64 v[32:33], v32, 1
	v_lshrrev_b64 v[10:11], v49, v[10:11]
	v_bfi_b32 v15, v15, 0, 0
	v_cmp_eq_u64_e64 s[20:21], v[14:15], v[32:33]
	v_mov_b32_e32 v15, v11
	v_mov_b32_e32 v14, v10
	s_and_saveexec_b64 s[92:93], s[20:21]
; %bb.1822:                             ;   in Loop: Header=BB6_126 Depth=2
	v_bfe_u32 v11, v10, 20, 1
	v_add_co_u32_e64 v11, s[20:21], v10, v11
	v_add_co_u32_e64 v14, s[20:21], -1, v11
; %bb.1823:                             ;   in Loop: Header=BB6_126 Depth=2
	s_or_b64 exec, exec, s[92:93]
	v_add_u32_e32 v11, 0xffffff81, v48
	v_mov_b32_e32 v15, 0xffffff82
	v_cndmask_b32_e32 v11, v11, v15, vcc
	v_lshrrev_b32_e32 v15, 23, v10
	v_add3_u32 v48, v49, v11, v15
	v_add_u32_e32 v15, 6, v48
	v_and_b32_e32 v11, 0xfffff, v14
	v_add_u32_e32 v10, v11, v10
	v_mov_b32_e32 v11, v61
	v_cmp_ne_u32_e32 vcc, 0, v15
                                        ; implicit-def: $vgpr14
	s_and_saveexec_b64 s[20:21], vcc
	s_xor_b64 s[20:21], exec, s[20:21]
; %bb.1824:                             ;   in Loop: Header=BB6_126 Depth=2
	v_cmp_lt_u64_e32 vcc, s[60:61], v[10:11]
	v_add_u32_e32 v14, 7, v48
	v_cndmask_b32_e32 v14, v15, v14, vcc
	v_cndmask_b32_e64 v15, 0, 1, vcc
	v_lshrrev_b64 v[10:11], v15, v[10:11]
; %bb.1825:                             ;   in Loop: Header=BB6_126 Depth=2
	s_andn2_saveexec_b64 s[20:21], s[20:21]
; %bb.1826:                             ;   in Loop: Header=BB6_126 Depth=2
	v_bfe_u32 v14, v10, 23, 1
; %bb.1827:                             ;   in Loop: Header=BB6_126 Depth=2
	s_or_b64 exec, exec, s[20:21]
	v_lshrrev_b64 v[10:11], 20, v[10:11]
	v_cmp_gt_i32_e32 vcc, 16, v14
	v_cndmask_b32_e32 v11, 0, v11, vcc
	v_cndmask_b32_e32 v10, 7, v10, vcc
	v_cmp_eq_u64_e64 s[20:21], 0, v[10:11]
	v_min_i32_e32 v11, 15, v14
	v_lshlrev_b32_e32 v11, 3, v11
	v_cmp_eq_u32_e32 vcc, 0, v14
	v_and_b32_e32 v11, 0xf8, v11
	v_and_or_b32 v10, v10, 7, v11
	s_and_b64 s[20:21], vcc, s[20:21]
	v_cndmask_b32_e64 v10, v10, 0, s[20:21]
	v_or_b32_e32 v48, v10, v40
.LBB6_1828:                             ;   in Loop: Header=BB6_126 Depth=2
	s_or_b64 exec, exec, s[90:91]
                                        ; implicit-def: $vgpr40
.LBB6_1829:                             ;   in Loop: Header=BB6_126 Depth=2
	s_andn2_saveexec_b64 s[20:21], s[88:89]
; %bb.1830:                             ;   in Loop: Header=BB6_126 Depth=2
	v_or_b32_e32 v48, 0x7e, v40
; %bb.1831:                             ;   in Loop: Header=BB6_126 Depth=2
	s_or_b64 exec, exec, s[20:21]
                                        ; implicit-def: $vgpr10
.LBB6_1832:                             ;   in Loop: Header=BB6_126 Depth=2
	s_andn2_saveexec_b64 s[20:21], s[78:79]
; %bb.1833:                             ;   in Loop: Header=BB6_126 Depth=2
	v_or_b32_sdwa v48, v10, s53 dst_sel:DWORD dst_unused:UNUSED_PAD src0_sel:BYTE_3 src1_sel:DWORD
; %bb.1834:                             ;   in Loop: Header=BB6_126 Depth=2
	s_or_b64 exec, exec, s[20:21]
	v_lshrrev_b16_e32 v10, 8, v60
	v_cmp_ne_u16_e32 vcc, 0, v10
	v_mov_b32_e32 v11, 0
	v_mov_b32_e32 v14, 0
	s_and_saveexec_b64 s[20:21], vcc
	s_cbranch_execz .LBB6_1840
; %bb.1835:                             ;   in Loop: Header=BB6_126 Depth=2
	v_cmp_ne_u16_e32 vcc, s52, v10
	v_bfrev_b32_e32 v14, 1
	s_and_saveexec_b64 s[78:79], vcc
	s_cbranch_execz .LBB6_1839
; %bb.1836:                             ;   in Loop: Header=BB6_126 Depth=2
	v_and_b32_e32 v15, 0x7f, v10
	v_cmp_ne_u32_e32 vcc, s53, v15
	v_mov_b32_e32 v14, 0x7f800001
	s_and_saveexec_b64 s[88:89], vcc
	s_cbranch_execz .LBB6_1838
; %bb.1837:                             ;   in Loop: Header=BB6_126 Depth=2
	v_and_b32_e32 v32, 7, v10
	v_ffbh_u32_e32 v14, v32
	v_min_u32_e32 v49, 32, v14
	v_subrev_u32_e32 v14, 28, v49
	v_lshrrev_b32_e32 v33, 3, v15
	v_cmp_gt_u32_e32 vcc, 8, v15
	v_lshlrev_b64 v[14:15], v14, v[10:11]
	v_sub_u32_e32 v10, 29, v49
	v_and_b32_e32 v14, 7, v14
	v_cndmask_b32_e32 v10, v33, v10, vcc
	v_cndmask_b32_e32 v14, v32, v14, vcc
	v_lshlrev_b32_e32 v15, 16, v60
	v_lshlrev_b32_e32 v14, 20, v14
	v_and_b32_e32 v15, 0x80000000, v15
	v_lshl_add_u32 v10, v10, 23, v62
	v_or3_b32 v14, v15, v10, v14
.LBB6_1838:                             ;   in Loop: Header=BB6_126 Depth=2
	s_or_b64 exec, exec, s[88:89]
.LBB6_1839:                             ;   in Loop: Header=BB6_126 Depth=2
	s_or_b64 exec, exec, s[78:79]
.LBB6_1840:                             ;   in Loop: Header=BB6_126 Depth=2
	s_or_b64 exec, exec, s[20:21]
	v_lshrrev_b16_e32 v10, 8, v13
	v_cmp_ne_u16_e32 vcc, 0, v10
	s_and_saveexec_b64 s[20:21], vcc
	s_cbranch_execz .LBB6_1846
; %bb.1841:                             ;   in Loop: Header=BB6_126 Depth=2
	v_cmp_ne_u16_e32 vcc, s52, v10
	v_bfrev_b32_e32 v11, 1
	s_and_saveexec_b64 s[78:79], vcc
	s_cbranch_execz .LBB6_1845
; %bb.1842:                             ;   in Loop: Header=BB6_126 Depth=2
	v_and_b32_e32 v15, 0x7f, v10
	v_cmp_ne_u32_e32 vcc, s53, v15
	v_mov_b32_e32 v11, 0x7f800001
	s_and_saveexec_b64 s[88:89], vcc
	s_cbranch_execz .LBB6_1844
; %bb.1843:                             ;   in Loop: Header=BB6_126 Depth=2
	v_and_b32_e32 v32, 7, v10
	v_ffbh_u32_e32 v11, v32
	v_lshrrev_b32_e32 v33, 3, v15
	v_cmp_gt_u32_e32 vcc, 8, v15
	v_min_u32_e32 v15, 32, v11
	v_subrev_u32_e32 v11, 28, v15
	v_lshlrev_b64 v[10:11], v11, v[10:11]
	v_sub_u32_e32 v11, 29, v15
	v_and_b32_e32 v10, 7, v10
	v_cndmask_b32_e32 v11, v33, v11, vcc
	v_cndmask_b32_e32 v10, v32, v10, vcc
	v_lshlrev_b32_e32 v15, 16, v13
	v_lshlrev_b32_e32 v10, 20, v10
	v_and_b32_e32 v15, 0x80000000, v15
	v_lshl_add_u32 v11, v11, 23, v62
	v_or3_b32 v11, v15, v11, v10
.LBB6_1844:                             ;   in Loop: Header=BB6_126 Depth=2
	s_or_b64 exec, exec, s[88:89]
.LBB6_1845:                             ;   in Loop: Header=BB6_126 Depth=2
	s_or_b64 exec, exec, s[78:79]
.LBB6_1846:                             ;   in Loop: Header=BB6_126 Depth=2
	s_or_b64 exec, exec, s[20:21]
	v_add_f32_e32 v10, v14, v11
	v_and_b32_e32 v60, 0x7f800000, v10
	v_cmp_ne_u64_e32 vcc, s[56:57], v[60:61]
                                        ; implicit-def: $vgpr40
	s_and_saveexec_b64 s[20:21], vcc
	s_xor_b64 s[78:79], exec, s[20:21]
	s_cbranch_execz .LBB6_1860
; %bb.1847:                             ;   in Loop: Header=BB6_126 Depth=2
	v_and_b32_e32 v60, 0x7fffffff, v10
	v_cmp_gt_u64_e32 vcc, s[58:59], v[60:61]
	v_and_b32_sdwa v41, v10, s52 dst_sel:DWORD dst_unused:UNUSED_PAD src0_sel:BYTE_3 src1_sel:DWORD
                                        ; implicit-def: $vgpr40
	s_and_saveexec_b64 s[20:21], vcc
	s_xor_b64 s[88:89], exec, s[20:21]
	s_cbranch_execz .LBB6_1857
; %bb.1848:                             ;   in Loop: Header=BB6_126 Depth=2
	v_mov_b32_e32 v40, 0
	v_cmp_ne_u32_e32 vcc, 0, v10
	s_and_saveexec_b64 s[90:91], vcc
	s_cbranch_execz .LBB6_1856
; %bb.1849:                             ;   in Loop: Header=BB6_126 Depth=2
	v_bfe_u32 v40, v10, 23, 8
	v_and_b32_e32 v11, 0x7fffff, v10
	v_cmp_gt_u32_e64 s[20:21], s54, v40
	v_sub_u32_e32 v10, 0x79, v40
	v_cmp_eq_u32_e32 vcc, 0, v40
	v_cndmask_b32_e64 v10, 0, v10, s[20:21]
	v_mov_b32_e32 v15, 0x78
	v_cndmask_b32_e32 v49, v10, v15, vcc
	v_or_b32_e32 v14, 0x800000, v11
	v_add_u32_e32 v10, 20, v49
	v_cndmask_b32_e32 v60, v14, v11, vcc
	v_lshlrev_b64 v[10:11], v10, -1
	v_add_u32_e32 v14, 19, v49
	v_lshlrev_b64 v[14:15], v14, 1
	v_bfi_b32 v11, v11, 0, 0
	v_bfi_b32 v10, v10, 0, v60
	v_cmp_eq_u64_e64 s[20:21], v[10:11], v[14:15]
	v_lshrrev_b64 v[10:11], v49, v[60:61]
	v_mov_b32_e32 v15, v11
	v_mov_b32_e32 v14, v10
	s_and_saveexec_b64 s[92:93], s[20:21]
; %bb.1850:                             ;   in Loop: Header=BB6_126 Depth=2
	v_bfe_u32 v11, v10, 20, 1
	v_add_co_u32_e64 v11, s[20:21], v10, v11
	v_add_co_u32_e64 v14, s[20:21], -1, v11
; %bb.1851:                             ;   in Loop: Header=BB6_126 Depth=2
	s_or_b64 exec, exec, s[92:93]
	v_add_u32_e32 v11, 0xffffff81, v40
	v_mov_b32_e32 v15, 0xffffff82
	v_cndmask_b32_e32 v11, v11, v15, vcc
	v_lshrrev_b32_e32 v15, 23, v10
	v_add3_u32 v49, v49, v11, v15
	v_add_u32_e32 v15, 6, v49
	v_and_b32_e32 v11, 0xfffff, v14
	v_add_u32_e32 v60, v11, v10
	v_cmp_ne_u32_e32 vcc, 0, v15
                                        ; implicit-def: $vgpr10_vgpr11
                                        ; implicit-def: $vgpr14
	s_and_saveexec_b64 s[20:21], vcc
	s_xor_b64 s[20:21], exec, s[20:21]
; %bb.1852:                             ;   in Loop: Header=BB6_126 Depth=2
	v_cmp_lt_u64_e32 vcc, s[60:61], v[60:61]
	v_add_u32_e32 v10, 7, v49
	v_cndmask_b32_e32 v14, v15, v10, vcc
	v_cndmask_b32_e64 v10, 0, 1, vcc
	v_lshrrev_b64 v[10:11], v10, v[60:61]
; %bb.1853:                             ;   in Loop: Header=BB6_126 Depth=2
	s_andn2_saveexec_b64 s[20:21], s[20:21]
; %bb.1854:                             ;   in Loop: Header=BB6_126 Depth=2
	v_mov_b32_e32 v10, v60
	v_bfe_u32 v14, v60, 23, 1
	v_mov_b32_e32 v11, v61
; %bb.1855:                             ;   in Loop: Header=BB6_126 Depth=2
	s_or_b64 exec, exec, s[20:21]
	v_lshrrev_b64 v[10:11], 20, v[10:11]
	v_cmp_gt_i32_e32 vcc, 16, v14
	v_cndmask_b32_e32 v11, 0, v11, vcc
	v_cndmask_b32_e32 v10, 7, v10, vcc
	v_cmp_eq_u64_e64 s[20:21], 0, v[10:11]
	v_min_i32_e32 v11, 15, v14
	v_lshlrev_b32_e32 v11, 3, v11
	v_cmp_eq_u32_e32 vcc, 0, v14
	v_and_b32_e32 v11, 0xf8, v11
	v_and_or_b32 v10, v10, 7, v11
	s_and_b64 s[20:21], vcc, s[20:21]
	v_cndmask_b32_e64 v10, v10, 0, s[20:21]
	v_or_b32_e32 v40, v10, v41
.LBB6_1856:                             ;   in Loop: Header=BB6_126 Depth=2
	s_or_b64 exec, exec, s[90:91]
                                        ; implicit-def: $vgpr41
.LBB6_1857:                             ;   in Loop: Header=BB6_126 Depth=2
	s_andn2_saveexec_b64 s[20:21], s[88:89]
; %bb.1858:                             ;   in Loop: Header=BB6_126 Depth=2
	v_or_b32_e32 v40, 0x7e, v41
; %bb.1859:                             ;   in Loop: Header=BB6_126 Depth=2
	s_or_b64 exec, exec, s[20:21]
                                        ; implicit-def: $vgpr10
.LBB6_1860:                             ;   in Loop: Header=BB6_126 Depth=2
	s_andn2_saveexec_b64 s[20:21], s[78:79]
; %bb.1861:                             ;   in Loop: Header=BB6_126 Depth=2
	v_or_b32_sdwa v40, v10, s53 dst_sel:DWORD dst_unused:UNUSED_PAD src0_sel:BYTE_3 src1_sel:DWORD
; %bb.1862:                             ;   in Loop: Header=BB6_126 Depth=2
	s_or_b64 exec, exec, s[20:21]
	v_lshrrev_b32_e32 v10, 16, v17
	v_cmp_ne_u16_sdwa s[78:79], v10, v61 src0_sel:BYTE_0 src1_sel:DWORD
	v_mov_b32_e32 v11, 0
	v_mov_b32_e32 v14, 0
	s_and_saveexec_b64 s[20:21], s[78:79]
	s_cbranch_execz .LBB6_1868
; %bb.1863:                             ;   in Loop: Header=BB6_126 Depth=2
	v_cmp_ne_u16_sdwa s[88:89], v10, s52 src0_sel:BYTE_0 src1_sel:DWORD
	v_bfrev_b32_e32 v14, 1
	s_and_saveexec_b64 s[78:79], s[88:89]
	s_cbranch_execz .LBB6_1867
; %bb.1864:                             ;   in Loop: Header=BB6_126 Depth=2
	v_bfe_u32 v15, v17, 16, 7
	v_cmp_ne_u32_e32 vcc, s53, v15
	v_mov_b32_e32 v14, 0x7f800001
	s_and_saveexec_b64 s[88:89], vcc
	s_cbranch_execz .LBB6_1866
; %bb.1865:                             ;   in Loop: Header=BB6_126 Depth=2
	v_and_b32_e32 v32, 7, v10
	v_ffbh_u32_e32 v14, v32
	v_min_u32_e32 v49, 32, v14
	v_subrev_u32_e32 v14, 28, v49
	v_lshrrev_b32_e32 v33, 3, v15
	v_cmp_gt_u32_e32 vcc, 8, v15
	v_lshlrev_b64 v[14:15], v14, v[10:11]
	v_sub_u32_e32 v15, 29, v49
	v_and_b32_e32 v14, 7, v14
	v_cndmask_b32_e32 v15, v33, v15, vcc
	v_cndmask_b32_e32 v14, v32, v14, vcc
	v_lshlrev_b32_e32 v10, 24, v10
	v_lshlrev_b32_e32 v14, 20, v14
	v_and_b32_e32 v10, 0x80000000, v10
	v_lshl_add_u32 v15, v15, 23, v62
	v_or3_b32 v14, v10, v15, v14
.LBB6_1866:                             ;   in Loop: Header=BB6_126 Depth=2
	s_or_b64 exec, exec, s[88:89]
.LBB6_1867:                             ;   in Loop: Header=BB6_126 Depth=2
	s_or_b64 exec, exec, s[78:79]
.LBB6_1868:                             ;   in Loop: Header=BB6_126 Depth=2
	s_or_b64 exec, exec, s[20:21]
	v_lshrrev_b32_e32 v10, 16, v13
	v_cmp_ne_u16_sdwa s[78:79], v10, v61 src0_sel:BYTE_0 src1_sel:DWORD
	s_and_saveexec_b64 s[20:21], s[78:79]
	s_cbranch_execz .LBB6_1874
; %bb.1869:                             ;   in Loop: Header=BB6_126 Depth=2
	v_cmp_ne_u16_sdwa s[88:89], v10, s52 src0_sel:BYTE_0 src1_sel:DWORD
	v_bfrev_b32_e32 v11, 1
	s_and_saveexec_b64 s[78:79], s[88:89]
	s_cbranch_execz .LBB6_1873
; %bb.1870:                             ;   in Loop: Header=BB6_126 Depth=2
	v_bfe_u32 v15, v13, 16, 7
	v_cmp_ne_u32_e32 vcc, s53, v15
	v_mov_b32_e32 v11, 0x7f800001
	s_and_saveexec_b64 s[88:89], vcc
	s_cbranch_execz .LBB6_1872
; %bb.1871:                             ;   in Loop: Header=BB6_126 Depth=2
	v_and_b32_e32 v32, 7, v10
	v_ffbh_u32_e32 v11, v32
	v_lshrrev_b32_e32 v33, 3, v15
	v_cmp_gt_u32_e32 vcc, 8, v15
	v_min_u32_e32 v15, 32, v11
	v_subrev_u32_e32 v11, 28, v15
	v_lshlrev_b64 v[10:11], v11, v[10:11]
	v_sub_u32_e32 v11, 29, v15
	v_and_b32_e32 v10, 7, v10
	v_cndmask_b32_e32 v11, v33, v11, vcc
	v_cndmask_b32_e32 v10, v32, v10, vcc
	v_lshlrev_b32_e32 v15, 8, v13
	v_lshlrev_b32_e32 v10, 20, v10
	v_and_b32_e32 v15, 0x80000000, v15
	v_lshl_add_u32 v11, v11, 23, v62
	v_or3_b32 v11, v15, v11, v10
.LBB6_1872:                             ;   in Loop: Header=BB6_126 Depth=2
	s_or_b64 exec, exec, s[88:89]
.LBB6_1873:                             ;   in Loop: Header=BB6_126 Depth=2
	s_or_b64 exec, exec, s[78:79]
.LBB6_1874:                             ;   in Loop: Header=BB6_126 Depth=2
	s_or_b64 exec, exec, s[20:21]
	v_add_f32_e32 v10, v14, v11
	v_and_b32_e32 v60, 0x7f800000, v10
	v_cmp_ne_u64_e32 vcc, s[56:57], v[60:61]
                                        ; implicit-def: $vgpr14
	s_and_saveexec_b64 s[20:21], vcc
	s_xor_b64 s[78:79], exec, s[20:21]
	s_cbranch_execz .LBB6_1888
; %bb.1875:                             ;   in Loop: Header=BB6_126 Depth=2
	v_and_b32_e32 v60, 0x7fffffff, v10
	v_cmp_gt_u64_e32 vcc, s[58:59], v[60:61]
	v_and_b32_sdwa v41, v10, s52 dst_sel:DWORD dst_unused:UNUSED_PAD src0_sel:BYTE_3 src1_sel:DWORD
                                        ; implicit-def: $vgpr14
	s_and_saveexec_b64 s[20:21], vcc
	s_xor_b64 s[88:89], exec, s[20:21]
	s_cbranch_execz .LBB6_1885
; %bb.1876:                             ;   in Loop: Header=BB6_126 Depth=2
	v_mov_b32_e32 v14, 0
	v_cmp_ne_u32_e32 vcc, 0, v10
	s_and_saveexec_b64 s[90:91], vcc
	s_cbranch_execz .LBB6_1884
; %bb.1877:                             ;   in Loop: Header=BB6_126 Depth=2
	v_bfe_u32 v49, v10, 23, 8
	v_and_b32_e32 v11, 0x7fffff, v10
	v_cmp_gt_u32_e64 s[20:21], s54, v49
	v_sub_u32_e32 v10, 0x79, v49
	v_cmp_eq_u32_e32 vcc, 0, v49
	v_cndmask_b32_e64 v10, 0, v10, s[20:21]
	v_mov_b32_e32 v15, 0x78
	v_cndmask_b32_e32 v43, v10, v15, vcc
	v_or_b32_e32 v14, 0x800000, v11
	v_add_u32_e32 v10, 20, v43
	v_cndmask_b32_e32 v60, v14, v11, vcc
	v_lshlrev_b64 v[10:11], v10, -1
	v_add_u32_e32 v14, 19, v43
	v_lshlrev_b64 v[14:15], v14, 1
	v_bfi_b32 v11, v11, 0, 0
	v_bfi_b32 v10, v10, 0, v60
	v_cmp_eq_u64_e64 s[20:21], v[10:11], v[14:15]
	v_lshrrev_b64 v[10:11], v43, v[60:61]
	v_mov_b32_e32 v15, v11
	v_mov_b32_e32 v14, v10
	s_and_saveexec_b64 s[92:93], s[20:21]
; %bb.1878:                             ;   in Loop: Header=BB6_126 Depth=2
	v_bfe_u32 v11, v10, 20, 1
	v_add_co_u32_e64 v11, s[20:21], v10, v11
	v_add_co_u32_e64 v14, s[20:21], -1, v11
; %bb.1879:                             ;   in Loop: Header=BB6_126 Depth=2
	s_or_b64 exec, exec, s[92:93]
	v_add_u32_e32 v11, 0xffffff81, v49
	v_mov_b32_e32 v15, 0xffffff82
	v_cndmask_b32_e32 v11, v11, v15, vcc
	v_lshrrev_b32_e32 v15, 23, v10
	v_add3_u32 v49, v43, v11, v15
	v_add_u32_e32 v15, 6, v49
	v_and_b32_e32 v11, 0xfffff, v14
	v_add_u32_e32 v60, v11, v10
	v_cmp_ne_u32_e32 vcc, 0, v15
                                        ; implicit-def: $vgpr10_vgpr11
                                        ; implicit-def: $vgpr14
	s_and_saveexec_b64 s[20:21], vcc
	s_xor_b64 s[20:21], exec, s[20:21]
; %bb.1880:                             ;   in Loop: Header=BB6_126 Depth=2
	v_cmp_lt_u64_e32 vcc, s[60:61], v[60:61]
	v_add_u32_e32 v10, 7, v49
	v_cndmask_b32_e32 v14, v15, v10, vcc
	v_cndmask_b32_e64 v10, 0, 1, vcc
	v_lshrrev_b64 v[10:11], v10, v[60:61]
; %bb.1881:                             ;   in Loop: Header=BB6_126 Depth=2
	s_andn2_saveexec_b64 s[20:21], s[20:21]
; %bb.1882:                             ;   in Loop: Header=BB6_126 Depth=2
	v_mov_b32_e32 v10, v60
	v_bfe_u32 v14, v60, 23, 1
	v_mov_b32_e32 v11, v61
; %bb.1883:                             ;   in Loop: Header=BB6_126 Depth=2
	s_or_b64 exec, exec, s[20:21]
	v_lshrrev_b64 v[10:11], 20, v[10:11]
	v_cmp_gt_i32_e32 vcc, 16, v14
	v_cndmask_b32_e32 v11, 0, v11, vcc
	v_cndmask_b32_e32 v10, 7, v10, vcc
	v_cmp_eq_u64_e64 s[20:21], 0, v[10:11]
	v_min_i32_e32 v11, 15, v14
	v_lshlrev_b32_e32 v11, 3, v11
	v_cmp_eq_u32_e32 vcc, 0, v14
	v_and_b32_e32 v11, 0xf8, v11
	v_and_or_b32 v10, v10, 7, v11
	s_and_b64 s[20:21], vcc, s[20:21]
	v_cndmask_b32_e64 v10, v10, 0, s[20:21]
	v_or_b32_e32 v14, v10, v41
.LBB6_1884:                             ;   in Loop: Header=BB6_126 Depth=2
	s_or_b64 exec, exec, s[90:91]
                                        ; implicit-def: $vgpr41
.LBB6_1885:                             ;   in Loop: Header=BB6_126 Depth=2
	s_andn2_saveexec_b64 s[20:21], s[88:89]
; %bb.1886:                             ;   in Loop: Header=BB6_126 Depth=2
	v_or_b32_e32 v14, 0x7e, v41
; %bb.1887:                             ;   in Loop: Header=BB6_126 Depth=2
	s_or_b64 exec, exec, s[20:21]
                                        ; implicit-def: $vgpr10
.LBB6_1888:                             ;   in Loop: Header=BB6_126 Depth=2
	s_andn2_saveexec_b64 s[20:21], s[78:79]
; %bb.1889:                             ;   in Loop: Header=BB6_126 Depth=2
	v_or_b32_sdwa v14, v10, s53 dst_sel:DWORD dst_unused:UNUSED_PAD src0_sel:BYTE_3 src1_sel:DWORD
; %bb.1890:                             ;   in Loop: Header=BB6_126 Depth=2
	s_or_b64 exec, exec, s[20:21]
	v_cmp_lt_u64_e32 vcc, s[62:63], v[16:17]
	v_mov_b32_e32 v11, 0
	v_mov_b32_e32 v15, 0
	s_and_saveexec_b64 s[20:21], vcc
	s_cbranch_execz .LBB6_1896
; %bb.1891:                             ;   in Loop: Header=BB6_126 Depth=2
	v_lshrrev_b32_e32 v10, 24, v17
	v_cmp_ne_u32_e32 vcc, s52, v10
	v_bfrev_b32_e32 v15, 1
	s_and_saveexec_b64 s[78:79], vcc
	s_cbranch_execz .LBB6_1895
; %bb.1892:                             ;   in Loop: Header=BB6_126 Depth=2
	v_bfe_u32 v16, v17, 24, 7
	v_cmp_ne_u32_e32 vcc, s53, v16
	v_mov_b32_e32 v15, 0x7f800001
	s_and_saveexec_b64 s[88:89], vcc
	s_cbranch_execz .LBB6_1894
; %bb.1893:                             ;   in Loop: Header=BB6_126 Depth=2
	v_and_b32_e32 v17, 7, v10
	v_ffbh_u32_e32 v15, v17
	v_min_u32_e32 v33, 32, v15
	v_subrev_u32_e32 v15, 28, v33
	v_lshrrev_b32_e32 v32, 3, v16
	v_cmp_gt_u32_e32 vcc, 8, v16
	v_lshlrev_b64 v[15:16], v15, v[10:11]
	v_sub_u32_e32 v16, 29, v33
	v_and_b32_e32 v15, 7, v15
	v_cndmask_b32_e32 v16, v32, v16, vcc
	v_cndmask_b32_e32 v15, v17, v15, vcc
	v_lshlrev_b32_e32 v10, 24, v10
	v_lshlrev_b32_e32 v15, 20, v15
	v_and_b32_e32 v10, 0x80000000, v10
	v_lshl_add_u32 v16, v16, 23, v62
	v_or3_b32 v15, v10, v16, v15
.LBB6_1894:                             ;   in Loop: Header=BB6_126 Depth=2
	s_or_b64 exec, exec, s[88:89]
.LBB6_1895:                             ;   in Loop: Header=BB6_126 Depth=2
	s_or_b64 exec, exec, s[78:79]
.LBB6_1896:                             ;   in Loop: Header=BB6_126 Depth=2
	s_or_b64 exec, exec, s[20:21]
	v_cmp_lt_u64_e32 vcc, s[62:63], v[12:13]
	s_and_saveexec_b64 s[20:21], vcc
	s_cbranch_execz .LBB6_1902
; %bb.1897:                             ;   in Loop: Header=BB6_126 Depth=2
	v_lshrrev_b32_e32 v10, 24, v13
	v_cmp_ne_u32_e32 vcc, s52, v10
	v_bfrev_b32_e32 v11, 1
	s_and_saveexec_b64 s[78:79], vcc
	s_cbranch_execz .LBB6_1901
; %bb.1898:                             ;   in Loop: Header=BB6_126 Depth=2
	v_bfe_u32 v12, v13, 24, 7
	v_cmp_ne_u32_e32 vcc, s53, v12
	v_mov_b32_e32 v11, 0x7f800001
	s_and_saveexec_b64 s[88:89], vcc
	s_cbranch_execz .LBB6_1900
; %bb.1899:                             ;   in Loop: Header=BB6_126 Depth=2
	v_and_b32_e32 v13, 7, v10
	v_ffbh_u32_e32 v11, v13
	v_min_u32_e32 v17, 32, v11
	v_subrev_u32_e32 v11, 28, v17
	v_lshrrev_b32_e32 v16, 3, v12
	v_cmp_gt_u32_e32 vcc, 8, v12
	v_lshlrev_b64 v[11:12], v11, v[10:11]
	v_sub_u32_e32 v12, 29, v17
	v_and_b32_e32 v11, 7, v11
	v_cndmask_b32_e32 v12, v16, v12, vcc
	v_cndmask_b32_e32 v11, v13, v11, vcc
	v_lshlrev_b32_e32 v10, 24, v10
	v_lshlrev_b32_e32 v11, 20, v11
	v_and_b32_e32 v10, 0x80000000, v10
	v_lshl_add_u32 v12, v12, 23, v62
	v_or3_b32 v11, v10, v12, v11
.LBB6_1900:                             ;   in Loop: Header=BB6_126 Depth=2
	s_or_b64 exec, exec, s[88:89]
.LBB6_1901:                             ;   in Loop: Header=BB6_126 Depth=2
	s_or_b64 exec, exec, s[78:79]
.LBB6_1902:                             ;   in Loop: Header=BB6_126 Depth=2
	s_or_b64 exec, exec, s[20:21]
	v_add_f32_e32 v11, v15, v11
	v_and_b32_e32 v60, 0x7f800000, v11
	v_cmp_ne_u64_e32 vcc, s[56:57], v[60:61]
                                        ; implicit-def: $vgpr10
	s_and_saveexec_b64 s[20:21], vcc
	s_xor_b64 s[78:79], exec, s[20:21]
	s_cbranch_execz .LBB6_1916
; %bb.1903:                             ;   in Loop: Header=BB6_126 Depth=2
	v_and_b32_e32 v60, 0x7fffffff, v11
	v_cmp_gt_u64_e32 vcc, s[58:59], v[60:61]
	v_and_b32_sdwa v13, v11, s52 dst_sel:DWORD dst_unused:UNUSED_PAD src0_sel:BYTE_3 src1_sel:DWORD
                                        ; implicit-def: $vgpr10
	s_and_saveexec_b64 s[20:21], vcc
	s_xor_b64 s[88:89], exec, s[20:21]
	s_cbranch_execz .LBB6_1913
; %bb.1904:                             ;   in Loop: Header=BB6_126 Depth=2
	v_mov_b32_e32 v10, 0
	v_cmp_ne_u32_e32 vcc, 0, v11
	s_and_saveexec_b64 s[90:91], vcc
	s_cbranch_execz .LBB6_1912
; %bb.1905:                             ;   in Loop: Header=BB6_126 Depth=2
	v_bfe_u32 v15, v11, 23, 8
	v_and_b32_e32 v10, 0x7fffff, v11
	v_cmp_gt_u32_e64 s[20:21], s54, v15
	v_sub_u32_e32 v11, 0x79, v15
	v_cmp_eq_u32_e32 vcc, 0, v15
	v_cndmask_b32_e64 v11, 0, v11, s[20:21]
	v_mov_b32_e32 v16, 0x78
	v_or_b32_e32 v12, 0x800000, v10
	v_cndmask_b32_e32 v16, v11, v16, vcc
	v_cndmask_b32_e32 v60, v12, v10, vcc
	v_add_u32_e32 v10, 20, v16
	v_lshlrev_b64 v[10:11], v10, -1
	v_add_u32_e32 v12, 19, v16
	v_lshlrev_b64 v[32:33], v12, 1
	v_bfi_b32 v11, v11, 0, 0
	v_bfi_b32 v10, v10, 0, v60
	v_cmp_eq_u64_e64 s[20:21], v[10:11], v[32:33]
	v_lshrrev_b64 v[10:11], v16, v[60:61]
	v_mov_b32_e32 v12, v11
	v_mov_b32_e32 v11, v10
	s_and_saveexec_b64 s[92:93], s[20:21]
; %bb.1906:                             ;   in Loop: Header=BB6_126 Depth=2
	v_bfe_u32 v11, v10, 20, 1
	v_add_co_u32_e64 v11, s[20:21], v10, v11
	v_add_co_u32_e64 v11, s[20:21], -1, v11
; %bb.1907:                             ;   in Loop: Header=BB6_126 Depth=2
	s_or_b64 exec, exec, s[92:93]
	v_add_u32_e32 v12, 0xffffff81, v15
	v_mov_b32_e32 v15, 0xffffff82
	v_cndmask_b32_e32 v12, v12, v15, vcc
	v_lshrrev_b32_e32 v15, 23, v10
	v_add3_u32 v16, v16, v12, v15
	v_add_u32_e32 v15, 6, v16
	v_and_b32_e32 v11, 0xfffff, v11
	v_add_u32_e32 v60, v11, v10
	v_cmp_ne_u32_e32 vcc, 0, v15
                                        ; implicit-def: $vgpr10_vgpr11
                                        ; implicit-def: $vgpr12
	s_and_saveexec_b64 s[20:21], vcc
	s_xor_b64 s[20:21], exec, s[20:21]
; %bb.1908:                             ;   in Loop: Header=BB6_126 Depth=2
	v_cmp_lt_u64_e32 vcc, s[60:61], v[60:61]
	v_add_u32_e32 v10, 7, v16
	v_cndmask_b32_e32 v12, v15, v10, vcc
	v_cndmask_b32_e64 v10, 0, 1, vcc
	v_lshrrev_b64 v[10:11], v10, v[60:61]
; %bb.1909:                             ;   in Loop: Header=BB6_126 Depth=2
	s_andn2_saveexec_b64 s[20:21], s[20:21]
; %bb.1910:                             ;   in Loop: Header=BB6_126 Depth=2
	v_mov_b32_e32 v10, v60
	v_bfe_u32 v12, v60, 23, 1
	v_mov_b32_e32 v11, v61
; %bb.1911:                             ;   in Loop: Header=BB6_126 Depth=2
	s_or_b64 exec, exec, s[20:21]
	v_lshrrev_b64 v[10:11], 20, v[10:11]
	v_cmp_gt_i32_e32 vcc, 16, v12
	v_cndmask_b32_e32 v11, 0, v11, vcc
	v_cndmask_b32_e32 v10, 7, v10, vcc
	v_cmp_eq_u64_e64 s[20:21], 0, v[10:11]
	v_min_i32_e32 v11, 15, v12
	v_lshlrev_b32_e32 v11, 3, v11
	v_cmp_eq_u32_e32 vcc, 0, v12
	v_and_b32_e32 v11, 0xf8, v11
	v_and_or_b32 v10, v10, 7, v11
	s_and_b64 s[20:21], vcc, s[20:21]
	v_cndmask_b32_e64 v10, v10, 0, s[20:21]
	v_or_b32_e32 v10, v10, v13
.LBB6_1912:                             ;   in Loop: Header=BB6_126 Depth=2
	s_or_b64 exec, exec, s[90:91]
                                        ; implicit-def: $vgpr13
.LBB6_1913:                             ;   in Loop: Header=BB6_126 Depth=2
	s_andn2_saveexec_b64 s[20:21], s[88:89]
; %bb.1914:                             ;   in Loop: Header=BB6_126 Depth=2
	v_or_b32_e32 v10, 0x7e, v13
; %bb.1915:                             ;   in Loop: Header=BB6_126 Depth=2
	s_or_b64 exec, exec, s[20:21]
                                        ; implicit-def: $vgpr11
.LBB6_1916:                             ;   in Loop: Header=BB6_126 Depth=2
	s_andn2_saveexec_b64 s[20:21], s[78:79]
	s_cbranch_execz .LBB6_125
; %bb.1917:                             ;   in Loop: Header=BB6_126 Depth=2
	v_or_b32_sdwa v10, v11, s53 dst_sel:DWORD dst_unused:UNUSED_PAD src0_sel:BYTE_3 src1_sel:DWORD
	s_branch .LBB6_125
.LBB6_1918:                             ;   in Loop: Header=BB6_49 Depth=1
	s_or_b64 exec, exec, s[76:77]
	buffer_load_dword v36, off, s[0:3], s33 offset:268 ; 4-byte Folded Reload
	buffer_load_dword v37, off, s[0:3], s33 offset:272 ; 4-byte Folded Reload
	;; [unrolled: 1-line block ×17, first 2 shown]
	v_mov_b32_e32 v54, 1
	v_mov_b32_e32 v55, 0xc8
	;; [unrolled: 1-line block ×4, first 2 shown]
	v_bfrev_b32_e32 v42, 1
.LBB6_1919:                             ;   in Loop: Header=BB6_49 Depth=1
	s_or_b64 exec, exec, s[22:23]
	s_waitcnt vmcnt(4)
	v_and_b32_e32 v1, 0x3ffff000, v50
	v_cmp_ne_u32_e32 vcc, v50, v1
	s_mov_b64 s[20:21], 0
	v_mov_b32_e32 v7, 0
                                        ; implicit-def: $vgpr3
                                        ; implicit-def: $vgpr2
                                        ; implicit-def: $vgpr0
	s_and_saveexec_b64 s[76:77], vcc
	s_cbranch_execz .LBB6_2375
; %bb.1920:                             ;   in Loop: Header=BB6_49 Depth=1
	buffer_load_dword v3, off, s[0:3], s33 offset:372 ; 4-byte Folded Reload
	v_lshlrev_b32_e32 v0, 6, v57
	s_waitcnt vmcnt(1)
	v_and_b32_e32 v2, 0xfff, v50
	v_and_b32_e32 v6, 0x3ff, v50
	v_cmp_lt_u32_e32 vcc, 15, v6
	s_waitcnt vmcnt(0)
	v_sub_u32_e32 v0, v3, v0
	v_ashrrev_i32_e32 v3, 31, v0
	v_lshrrev_b32_e32 v3, 26, v3
	v_add_u32_e32 v3, v0, v3
	v_ashrrev_i32_e32 v5, 6, v3
	v_and_b32_e32 v3, 0xffffffc0, v3
	v_sub_u32_e32 v4, v0, v3
	v_lshlrev_b32_e32 v0, 4, v4
	v_lshl_add_u32 v0, v5, 10, v0
	v_sub_u32_e32 v7, v2, v0
	v_bfe_u32 v2, v50, 10, 2
	v_addc_co_u32_e64 v2, s[20:21], 0, v2, vcc
	v_sub_u32_e32 v5, v2, v5
	v_cmp_lt_i32_e64 s[20:21], 15, v7
	s_and_saveexec_b64 s[78:79], s[20:21]
	s_cbranch_execz .LBB6_2372
; %bb.1921:                             ;   in Loop: Header=BB6_49 Depth=1
	s_trap 2
	ds_read_b64 v[2:3], v0
	v_add_u32_e32 v8, v0, v1
	v_ashrrev_i32_e32 v9, 31, v8
	v_add_co_u32_e64 v0, s[20:21], v8, v58
	v_addc_co_u32_e64 v1, s[20:21], v9, v59, s[20:21]
	s_waitcnt lgkmcnt(0)
	v_add_co_u32_e64 v18, s[20:21], v2, v8
	v_addc_co_u32_e64 v19, s[20:21], v3, v9, s[20:21]
	v_add_co_u32_e64 v20, s[20:21], v8, v44
	v_addc_co_u32_e64 v21, s[20:21], v9, v45, s[20:21]
	s_mov_b64 s[88:89], 0
	s_branch .LBB6_1923
.LBB6_1922:                             ;   in Loop: Header=BB6_1923 Depth=2
	s_or_b64 exec, exec, s[20:21]
	v_lshl_or_b32 v11, v28, 8, v25
	v_lshlrev_b32_e32 v12, 16, v24
	v_lshlrev_b32_e32 v13, 24, v29
	v_or3_b32 v12, v11, v12, v13
	v_lshl_or_b32 v8, v9, 8, v8
	v_lshlrev_b32_e32 v9, 16, v26
	v_lshlrev_b32_e32 v11, 24, v27
	v_or3_b32 v11, v8, v9, v11
	;; [unrolled: 4-line block ×3, first 2 shown]
	v_lshlrev_b32_e32 v2, 24, v10
	v_lshlrev_b32_e32 v3, 16, v14
	v_lshl_or_b32 v8, v23, 8, v22
	v_or3_b32 v14, v8, v3, v2
	buffer_load_dword v2, off, s[0:3], s33 offset:84 ; 4-byte Folded Reload
	v_add_co_u32_e64 v0, s[20:21], v0, v39
	v_addc_co_u32_e64 v1, s[20:21], 0, v1, s[20:21]
	v_add_co_u32_e64 v18, s[20:21], v18, v39
	v_addc_co_u32_e64 v19, s[20:21], 0, v19, s[20:21]
	global_store_dwordx4 v[20:21], v[11:14], off glc slc
	v_add_co_u32_e64 v20, s[20:21], v20, v39
	v_addc_co_u32_e64 v21, s[20:21], 0, v21, s[20:21]
	v_sub_u32_e32 v7, v7, v39
	v_cmp_gt_i32_e64 s[20:21], 16, v7
	s_or_b64 s[88:89], s[20:21], s[88:89]
	s_waitcnt vmcnt(1)
	v_sub_u32_e32 v5, v5, v2
	s_andn2_b64 exec, exec, s[88:89]
	s_cbranch_execz .LBB6_2371
.LBB6_1923:                             ;   Parent Loop BB6_49 Depth=1
                                        ; =>  This Inner Loop Header: Depth=2
	global_load_dwordx4 v[14:17], v[0:1], off glc slc
	global_load_dwordx4 v[10:13], v[18:19], off glc slc
	v_mov_b32_e32 v2, 0
	s_waitcnt vmcnt(1)
	v_cmp_ne_u16_sdwa s[20:21], v14, v61 src0_sel:BYTE_0 src1_sel:DWORD
	s_and_saveexec_b64 s[22:23], s[20:21]
	s_cbranch_execz .LBB6_1929
; %bb.1924:                             ;   in Loop: Header=BB6_1923 Depth=2
	v_cmp_ne_u16_sdwa s[20:21], v14, s52 src0_sel:BYTE_0 src1_sel:DWORD
	v_bfrev_b32_e32 v2, 1
	s_and_saveexec_b64 s[90:91], s[20:21]
	s_cbranch_execz .LBB6_1928
; %bb.1925:                             ;   in Loop: Header=BB6_1923 Depth=2
	v_and_b32_e32 v3, 0x7f, v14
	v_cmp_ne_u32_e64 s[20:21], s53, v3
	v_mov_b32_e32 v2, 0x7f800001
	s_and_saveexec_b64 s[92:93], s[20:21]
	s_cbranch_execz .LBB6_1927
; %bb.1926:                             ;   in Loop: Header=BB6_1923 Depth=2
	v_and_b32_e32 v2, 7, v14
	v_ffbh_u32_e32 v2, v2
	v_min_u32_e32 v2, 32, v2
	v_lshrrev_b32_e32 v8, 3, v3
	v_cmp_gt_u32_e64 s[20:21], 8, v3
	v_subrev_u32_e32 v3, 28, v2
	v_sub_u32_e32 v2, 29, v2
	v_cndmask_b32_e64 v8, v8, v2, s[20:21]
	v_cndmask_b32_e64 v2, 0, v3, s[20:21]
	v_lshlrev_b64 v[2:3], v2, v[14:15]
	v_lshlrev_b32_e32 v3, 24, v14
	v_lshlrev_b32_e32 v2, 20, v2
	v_and_b32_e32 v2, 0x700000, v2
	v_and_b32_e32 v3, 0x80000000, v3
	v_lshl_add_u32 v8, v8, 23, v62
	v_or3_b32 v2, v3, v8, v2
.LBB6_1927:                             ;   in Loop: Header=BB6_1923 Depth=2
	s_or_b64 exec, exec, s[92:93]
.LBB6_1928:                             ;   in Loop: Header=BB6_1923 Depth=2
	s_or_b64 exec, exec, s[90:91]
.LBB6_1929:                             ;   in Loop: Header=BB6_1923 Depth=2
	s_or_b64 exec, exec, s[22:23]
	s_waitcnt vmcnt(0)
	v_cmp_gt_i16_sdwa s[22:23], v10, s53 src0_sel:BYTE_0 src1_sel:DWORD
	s_mov_b64 s[20:21], 0
	s_and_saveexec_b64 s[90:91], s[22:23]
	s_xor_b64 s[22:23], exec, s[90:91]
	s_cbranch_execz .LBB6_2351
; %bb.1930:                             ;   in Loop: Header=BB6_1923 Depth=2
	v_cmp_eq_u16_sdwa s[92:93], v10, s52 src0_sel:BYTE_0 src1_sel:DWORD
	s_mov_b64 s[20:21], -1
	s_and_saveexec_b64 s[90:91], s[92:93]
; %bb.1931:                             ;   in Loop: Header=BB6_1923 Depth=2
	s_xor_b64 s[20:21], exec, -1
; %bb.1932:                             ;   in Loop: Header=BB6_1923 Depth=2
	s_or_b64 exec, exec, s[90:91]
	s_and_b64 s[20:21], s[20:21], exec
	s_or_saveexec_b64 s[22:23], s[22:23]
	v_bfrev_b32_e32 v3, 1
	s_xor_b64 exec, exec, s[22:23]
	s_cbranch_execnz .LBB6_2352
.LBB6_1933:                             ;   in Loop: Header=BB6_1923 Depth=2
	s_or_b64 exec, exec, s[22:23]
	s_and_saveexec_b64 s[22:23], s[20:21]
	s_cbranch_execz .LBB6_1935
.LBB6_1934:                             ;   in Loop: Header=BB6_1923 Depth=2
	v_and_b32_e32 v3, 7, v10
	v_ffbh_u32_e32 v3, v3
	v_and_b32_e32 v22, 0x7f, v10
	v_min_u32_e32 v3, 32, v3
	v_bfe_u32 v8, v10, 3, 4
	v_subrev_u32_e32 v9, 28, v3
	v_sub_u32_e32 v3, 29, v3
	v_cmp_gt_u32_e64 s[20:21], 8, v22
	v_cndmask_b32_e64 v3, v8, v3, s[20:21]
	v_cndmask_b32_e64 v8, 0, v9, s[20:21]
	v_lshlrev_b64 v[8:9], v8, v[10:11]
	v_lshlrev_b32_e32 v9, 24, v10
	v_lshlrev_b32_e32 v8, 20, v8
	v_and_b32_e32 v8, 0x700000, v8
	v_and_b32_e32 v9, 0x80000000, v9
	v_lshl_add_u32 v3, v3, 23, v62
	v_or3_b32 v3, v9, v3, v8
	v_cmp_ne_u32_e64 s[20:21], s53, v22
	v_cndmask_b32_e64 v3, v41, v3, s[20:21]
.LBB6_1935:                             ;   in Loop: Header=BB6_1923 Depth=2
	s_or_b64 exec, exec, s[22:23]
	v_add_f32_e32 v3, v2, v3
	v_and_b32_e32 v60, 0x7f800000, v3
	v_cmp_ne_u64_e64 s[20:21], s[56:57], v[60:61]
                                        ; implicit-def: $vgpr8
	s_and_saveexec_b64 s[22:23], s[20:21]
	s_xor_b64 s[90:91], exec, s[22:23]
	s_cbranch_execz .LBB6_1949
; %bb.1936:                             ;   in Loop: Header=BB6_1923 Depth=2
	v_and_b32_e32 v60, 0x7fffffff, v3
	v_cmp_gt_u64_e64 s[20:21], s[58:59], v[60:61]
	v_and_b32_sdwa v2, v3, s52 dst_sel:DWORD dst_unused:UNUSED_PAD src0_sel:BYTE_3 src1_sel:DWORD
                                        ; implicit-def: $vgpr8
	s_and_saveexec_b64 s[22:23], s[20:21]
	s_xor_b64 s[92:93], exec, s[22:23]
	s_cbranch_execz .LBB6_1946
; %bb.1937:                             ;   in Loop: Header=BB6_1923 Depth=2
	v_mov_b32_e32 v8, 0
	v_cmp_ne_u32_e64 s[20:21], 0, v3
	s_and_saveexec_b64 s[94:95], s[20:21]
	s_cbranch_execz .LBB6_1945
; %bb.1938:                             ;   in Loop: Header=BB6_1923 Depth=2
	v_and_b32_e32 v9, 0x7fffff, v3
	v_bfe_u32 v3, v3, 23, 8
	v_cmp_gt_u32_e64 s[22:23], s54, v3
	v_sub_u32_e32 v8, 0x79, v3
	v_cmp_eq_u32_e64 s[20:21], 0, v3
	v_cndmask_b32_e64 v8, 0, v8, s[22:23]
	v_mov_b32_e32 v23, 0x78
	v_or_b32_e32 v22, 0x800000, v9
	v_cndmask_b32_e64 v8, v8, v23, s[20:21]
	v_cndmask_b32_e64 v60, v22, v9, s[20:21]
	v_add_u32_e32 v9, 20, v8
	v_lshlrev_b64 v[22:23], v9, -1
	v_add_u32_e32 v9, 19, v8
	v_lshlrev_b64 v[24:25], v9, 1
	v_bfi_b32 v23, v23, 0, 0
	v_bfi_b32 v22, v22, 0, v60
	v_cmp_eq_u64_e64 s[22:23], v[22:23], v[24:25]
	v_lshrrev_b64 v[22:23], v8, v[60:61]
	v_mov_b32_e32 v24, v23
	v_mov_b32_e32 v23, v22
	s_and_saveexec_b64 s[30:31], s[22:23]
; %bb.1939:                             ;   in Loop: Header=BB6_1923 Depth=2
	v_bfe_u32 v9, v22, 20, 1
	v_add_co_u32_e64 v9, s[22:23], v22, v9
	v_add_co_u32_e64 v23, s[22:23], -1, v9
; %bb.1940:                             ;   in Loop: Header=BB6_1923 Depth=2
	s_or_b64 exec, exec, s[30:31]
	v_add_u32_e32 v3, 0xffffff81, v3
	v_mov_b32_e32 v9, 0xffffff82
	v_cndmask_b32_e64 v3, v3, v9, s[20:21]
	v_lshrrev_b32_e32 v9, 23, v22
	v_add3_u32 v9, v8, v3, v9
	v_add_u32_e32 v8, 6, v9
	v_and_b32_e32 v3, 0xfffff, v23
	v_add_u32_e32 v60, v3, v22
	v_cmp_ne_u32_e64 s[20:21], 0, v8
                                        ; implicit-def: $vgpr22_vgpr23
                                        ; implicit-def: $vgpr3
	s_and_saveexec_b64 s[22:23], s[20:21]
	s_xor_b64 s[22:23], exec, s[22:23]
; %bb.1941:                             ;   in Loop: Header=BB6_1923 Depth=2
	v_cmp_lt_u64_e64 s[20:21], s[60:61], v[60:61]
	v_add_u32_e32 v3, 7, v9
	v_cndmask_b32_e64 v3, v8, v3, s[20:21]
	v_cndmask_b32_e64 v8, 0, 1, s[20:21]
	v_lshrrev_b64 v[22:23], v8, v[60:61]
; %bb.1942:                             ;   in Loop: Header=BB6_1923 Depth=2
	s_andn2_saveexec_b64 s[20:21], s[22:23]
; %bb.1943:                             ;   in Loop: Header=BB6_1923 Depth=2
	v_mov_b32_e32 v22, v60
	v_bfe_u32 v3, v60, 23, 1
	v_mov_b32_e32 v23, v61
; %bb.1944:                             ;   in Loop: Header=BB6_1923 Depth=2
	s_or_b64 exec, exec, s[20:21]
	v_lshrrev_b64 v[8:9], 20, v[22:23]
	v_cmp_gt_i32_e64 s[20:21], 16, v3
	v_cndmask_b32_e64 v9, 0, v9, s[20:21]
	v_cndmask_b32_e64 v8, 7, v8, s[20:21]
	v_cmp_eq_u32_e64 s[20:21], 0, v3
	v_min_i32_e32 v3, 15, v3
	v_cmp_eq_u64_e64 s[22:23], 0, v[8:9]
	v_lshlrev_b32_e32 v3, 3, v3
	v_and_b32_e32 v3, 0xf8, v3
	v_and_or_b32 v3, v8, 7, v3
	s_and_b64 s[20:21], s[20:21], s[22:23]
	v_cndmask_b32_e64 v3, v3, 0, s[20:21]
	v_or_b32_e32 v8, v3, v2
.LBB6_1945:                             ;   in Loop: Header=BB6_1923 Depth=2
	s_or_b64 exec, exec, s[94:95]
                                        ; implicit-def: $vgpr2
.LBB6_1946:                             ;   in Loop: Header=BB6_1923 Depth=2
	s_andn2_saveexec_b64 s[20:21], s[92:93]
; %bb.1947:                             ;   in Loop: Header=BB6_1923 Depth=2
	v_or_b32_e32 v8, 0x7e, v2
; %bb.1948:                             ;   in Loop: Header=BB6_1923 Depth=2
	s_or_b64 exec, exec, s[20:21]
                                        ; implicit-def: $vgpr3
.LBB6_1949:                             ;   in Loop: Header=BB6_1923 Depth=2
	s_andn2_saveexec_b64 s[20:21], s[90:91]
; %bb.1950:                             ;   in Loop: Header=BB6_1923 Depth=2
	v_or_b32_sdwa v8, v3, s53 dst_sel:DWORD dst_unused:UNUSED_PAD src0_sel:BYTE_3 src1_sel:DWORD
; %bb.1951:                             ;   in Loop: Header=BB6_1923 Depth=2
	s_or_b64 exec, exec, s[20:21]
	v_lshrrev_b16_e32 v22, 8, v14
	v_cmp_ne_u16_e64 s[20:21], 0, v22
	v_mov_b32_e32 v2, 0
	s_and_saveexec_b64 s[22:23], s[20:21]
	s_cbranch_execz .LBB6_1957
; %bb.1952:                             ;   in Loop: Header=BB6_1923 Depth=2
	v_cmp_ne_u16_e64 s[20:21], s52, v22
	v_bfrev_b32_e32 v2, 1
	s_and_saveexec_b64 s[90:91], s[20:21]
	s_cbranch_execz .LBB6_1956
; %bb.1953:                             ;   in Loop: Header=BB6_1923 Depth=2
	v_and_b32_e32 v3, 0x7f, v22
	v_cmp_ne_u32_e64 s[20:21], s53, v3
	v_mov_b32_e32 v2, 0x7f800001
	s_and_saveexec_b64 s[92:93], s[20:21]
	s_cbranch_execz .LBB6_1955
; %bb.1954:                             ;   in Loop: Header=BB6_1923 Depth=2
	v_and_b32_e32 v9, 7, v22
	v_ffbh_u32_e32 v2, v9
	v_min_u32_e32 v24, 32, v2
	v_lshrrev_b32_e32 v23, 3, v3
	v_subrev_u32_e32 v2, 28, v24
	v_cmp_gt_u32_e64 s[20:21], 8, v3
	v_lshlrev_b64 v[2:3], v2, v[22:23]
	v_sub_u32_e32 v3, 29, v24
	v_and_b32_e32 v2, 7, v2
	v_cndmask_b32_e64 v3, v23, v3, s[20:21]
	v_cndmask_b32_e64 v2, v9, v2, s[20:21]
	v_lshlrev_b32_e32 v9, 16, v14
	v_lshlrev_b32_e32 v2, 20, v2
	v_and_b32_e32 v9, 0x80000000, v9
	v_lshl_add_u32 v3, v3, 23, v62
	v_or3_b32 v2, v9, v3, v2
.LBB6_1955:                             ;   in Loop: Header=BB6_1923 Depth=2
	s_or_b64 exec, exec, s[92:93]
.LBB6_1956:                             ;   in Loop: Header=BB6_1923 Depth=2
	s_or_b64 exec, exec, s[90:91]
.LBB6_1957:                             ;   in Loop: Header=BB6_1923 Depth=2
	s_or_b64 exec, exec, s[22:23]
	v_lshrrev_b16_e32 v60, 8, v10
	v_cmp_lt_i16_e64 s[20:21], s53, v60
	s_mov_b64 s[22:23], 0
	s_and_saveexec_b64 s[90:91], s[20:21]
	s_xor_b64 s[90:91], exec, s[90:91]
	s_cbranch_execz .LBB6_2353
; %bb.1958:                             ;   in Loop: Header=BB6_1923 Depth=2
	v_cmp_eq_u16_e64 s[20:21], s52, v60
	s_mov_b64 s[22:23], -1
	s_and_saveexec_b64 s[92:93], s[20:21]
; %bb.1959:                             ;   in Loop: Header=BB6_1923 Depth=2
	s_xor_b64 s[22:23], exec, -1
; %bb.1960:                             ;   in Loop: Header=BB6_1923 Depth=2
	s_or_b64 exec, exec, s[92:93]
	s_and_b64 s[22:23], s[22:23], exec
	s_or_saveexec_b64 s[90:91], s[90:91]
	v_bfrev_b32_e32 v3, 1
	s_xor_b64 exec, exec, s[90:91]
	s_cbranch_execnz .LBB6_2354
.LBB6_1961:                             ;   in Loop: Header=BB6_1923 Depth=2
	s_or_b64 exec, exec, s[90:91]
	s_and_saveexec_b64 s[90:91], s[22:23]
	s_cbranch_execz .LBB6_1963
.LBB6_1962:                             ;   in Loop: Header=BB6_1923 Depth=2
	v_and_b32_e32 v3, 7, v60
	v_ffbh_u32_e32 v22, v3
	v_min_u32_e32 v25, 32, v22
	v_subrev_u32_e32 v22, 28, v25
	v_lshlrev_b64 v[22:23], v22, v[60:61]
	v_and_b32_e32 v9, 0x7f, v60
	v_bfe_u32 v24, v60, 3, 4
	v_sub_u32_e32 v23, 29, v25
	v_and_b32_e32 v22, 7, v22
	v_cmp_gt_u32_e64 s[20:21], 8, v9
	v_cndmask_b32_e64 v23, v24, v23, s[20:21]
	v_cndmask_b32_e64 v3, v3, v22, s[20:21]
	v_lshlrev_b32_e32 v22, 24, v60
	v_lshlrev_b32_e32 v3, 20, v3
	v_and_b32_e32 v22, 0x80000000, v22
	v_lshl_add_u32 v23, v23, 23, v62
	v_or3_b32 v3, v22, v23, v3
	v_cmp_ne_u32_e64 s[20:21], s53, v9
	v_cndmask_b32_e64 v3, v41, v3, s[20:21]
.LBB6_1963:                             ;   in Loop: Header=BB6_1923 Depth=2
	s_or_b64 exec, exec, s[90:91]
	v_add_f32_e32 v3, v2, v3
	v_and_b32_e32 v60, 0x7f800000, v3
	v_cmp_ne_u64_e64 s[20:21], s[56:57], v[60:61]
                                        ; implicit-def: $vgpr9
	s_and_saveexec_b64 s[22:23], s[20:21]
	s_xor_b64 s[90:91], exec, s[22:23]
	s_cbranch_execz .LBB6_1977
; %bb.1964:                             ;   in Loop: Header=BB6_1923 Depth=2
	v_and_b32_e32 v60, 0x7fffffff, v3
	v_cmp_gt_u64_e64 s[20:21], s[58:59], v[60:61]
	v_and_b32_sdwa v2, v3, s52 dst_sel:DWORD dst_unused:UNUSED_PAD src0_sel:BYTE_3 src1_sel:DWORD
                                        ; implicit-def: $vgpr9
	s_and_saveexec_b64 s[22:23], s[20:21]
	s_xor_b64 s[92:93], exec, s[22:23]
	s_cbranch_execz .LBB6_1974
; %bb.1965:                             ;   in Loop: Header=BB6_1923 Depth=2
	v_mov_b32_e32 v9, 0
	v_cmp_ne_u32_e64 s[20:21], 0, v3
	s_and_saveexec_b64 s[94:95], s[20:21]
	s_cbranch_execz .LBB6_1973
; %bb.1966:                             ;   in Loop: Header=BB6_1923 Depth=2
	v_and_b32_e32 v22, 0x7fffff, v3
	v_bfe_u32 v3, v3, 23, 8
	v_cmp_gt_u32_e64 s[22:23], s54, v3
	v_sub_u32_e32 v9, 0x79, v3
	v_cmp_eq_u32_e64 s[20:21], 0, v3
	v_cndmask_b32_e64 v9, 0, v9, s[22:23]
	v_mov_b32_e32 v24, 0x78
	v_or_b32_e32 v23, 0x800000, v22
	v_cndmask_b32_e64 v9, v9, v24, s[20:21]
	v_cndmask_b32_e64 v60, v23, v22, s[20:21]
	v_add_u32_e32 v22, 20, v9
	v_lshlrev_b64 v[22:23], v22, -1
	v_add_u32_e32 v24, 19, v9
	v_lshlrev_b64 v[24:25], v24, 1
	v_bfi_b32 v23, v23, 0, 0
	v_bfi_b32 v22, v22, 0, v60
	v_cmp_eq_u64_e64 s[22:23], v[22:23], v[24:25]
	v_lshrrev_b64 v[22:23], v9, v[60:61]
	v_mov_b32_e32 v24, v23
	v_mov_b32_e32 v23, v22
	s_and_saveexec_b64 s[30:31], s[22:23]
; %bb.1967:                             ;   in Loop: Header=BB6_1923 Depth=2
	v_bfe_u32 v23, v22, 20, 1
	v_add_co_u32_e64 v23, s[22:23], v22, v23
	v_add_co_u32_e64 v23, s[22:23], -1, v23
; %bb.1968:                             ;   in Loop: Header=BB6_1923 Depth=2
	s_or_b64 exec, exec, s[30:31]
	v_add_u32_e32 v3, 0xffffff81, v3
	v_mov_b32_e32 v24, 0xffffff82
	v_cndmask_b32_e64 v3, v3, v24, s[20:21]
	v_lshrrev_b32_e32 v24, 23, v22
	v_add3_u32 v24, v9, v3, v24
	v_add_u32_e32 v9, 6, v24
	v_and_b32_e32 v3, 0xfffff, v23
	v_add_u32_e32 v60, v3, v22
	v_cmp_ne_u32_e64 s[20:21], 0, v9
                                        ; implicit-def: $vgpr22_vgpr23
                                        ; implicit-def: $vgpr3
	s_and_saveexec_b64 s[22:23], s[20:21]
	s_xor_b64 s[22:23], exec, s[22:23]
; %bb.1969:                             ;   in Loop: Header=BB6_1923 Depth=2
	v_cmp_lt_u64_e64 s[20:21], s[60:61], v[60:61]
	v_add_u32_e32 v3, 7, v24
	v_cndmask_b32_e64 v3, v9, v3, s[20:21]
	v_cndmask_b32_e64 v9, 0, 1, s[20:21]
	v_lshrrev_b64 v[22:23], v9, v[60:61]
; %bb.1970:                             ;   in Loop: Header=BB6_1923 Depth=2
	s_andn2_saveexec_b64 s[20:21], s[22:23]
; %bb.1971:                             ;   in Loop: Header=BB6_1923 Depth=2
	v_mov_b32_e32 v22, v60
	v_bfe_u32 v3, v60, 23, 1
	v_mov_b32_e32 v23, v61
; %bb.1972:                             ;   in Loop: Header=BB6_1923 Depth=2
	s_or_b64 exec, exec, s[20:21]
	v_lshrrev_b64 v[22:23], 20, v[22:23]
	v_cmp_gt_i32_e64 s[20:21], 16, v3
	v_cndmask_b32_e64 v23, 0, v23, s[20:21]
	v_cndmask_b32_e64 v22, 7, v22, s[20:21]
	v_cmp_eq_u32_e64 s[20:21], 0, v3
	v_min_i32_e32 v3, 15, v3
	v_cmp_eq_u64_e64 s[22:23], 0, v[22:23]
	v_lshlrev_b32_e32 v3, 3, v3
	v_and_b32_e32 v3, 0xf8, v3
	v_and_or_b32 v3, v22, 7, v3
	s_and_b64 s[20:21], s[20:21], s[22:23]
	v_cndmask_b32_e64 v3, v3, 0, s[20:21]
	v_or_b32_e32 v9, v3, v2
.LBB6_1973:                             ;   in Loop: Header=BB6_1923 Depth=2
	s_or_b64 exec, exec, s[94:95]
                                        ; implicit-def: $vgpr2
.LBB6_1974:                             ;   in Loop: Header=BB6_1923 Depth=2
	s_andn2_saveexec_b64 s[20:21], s[92:93]
; %bb.1975:                             ;   in Loop: Header=BB6_1923 Depth=2
	v_or_b32_e32 v9, 0x7e, v2
; %bb.1976:                             ;   in Loop: Header=BB6_1923 Depth=2
	s_or_b64 exec, exec, s[20:21]
                                        ; implicit-def: $vgpr3
.LBB6_1977:                             ;   in Loop: Header=BB6_1923 Depth=2
	s_andn2_saveexec_b64 s[20:21], s[90:91]
; %bb.1978:                             ;   in Loop: Header=BB6_1923 Depth=2
	v_or_b32_sdwa v9, v3, s53 dst_sel:DWORD dst_unused:UNUSED_PAD src0_sel:BYTE_3 src1_sel:DWORD
; %bb.1979:                             ;   in Loop: Header=BB6_1923 Depth=2
	s_or_b64 exec, exec, s[20:21]
	v_lshrrev_b32_e32 v22, 16, v14
	v_cmp_ne_u16_sdwa s[20:21], v22, v61 src0_sel:BYTE_0 src1_sel:DWORD
	v_mov_b32_e32 v2, 0
	s_and_saveexec_b64 s[22:23], s[20:21]
	s_cbranch_execz .LBB6_1985
; %bb.1980:                             ;   in Loop: Header=BB6_1923 Depth=2
	v_cmp_ne_u16_sdwa s[20:21], v22, s52 src0_sel:BYTE_0 src1_sel:DWORD
	v_bfrev_b32_e32 v2, 1
	s_and_saveexec_b64 s[90:91], s[20:21]
	s_cbranch_execz .LBB6_1984
; %bb.1981:                             ;   in Loop: Header=BB6_1923 Depth=2
	v_bfe_u32 v3, v14, 16, 7
	v_cmp_ne_u32_e64 s[20:21], s53, v3
	v_mov_b32_e32 v2, 0x7f800001
	s_and_saveexec_b64 s[92:93], s[20:21]
	s_cbranch_execz .LBB6_1983
; %bb.1982:                             ;   in Loop: Header=BB6_1923 Depth=2
	v_and_b32_e32 v23, 7, v22
	v_ffbh_u32_e32 v2, v23
	v_min_u32_e32 v25, 32, v2
	v_subrev_u32_e32 v2, 28, v25
	v_lshrrev_b32_e32 v24, 3, v3
	v_cmp_gt_u32_e64 s[20:21], 8, v3
	v_lshlrev_b64 v[2:3], v2, v[22:23]
	v_sub_u32_e32 v3, 29, v25
	v_and_b32_e32 v2, 7, v2
	v_cndmask_b32_e64 v3, v24, v3, s[20:21]
	v_cndmask_b32_e64 v2, v23, v2, s[20:21]
	v_lshlrev_b32_e32 v22, 24, v22
	v_lshlrev_b32_e32 v2, 20, v2
	v_and_b32_e32 v22, 0x80000000, v22
	v_lshl_add_u32 v3, v3, 23, v62
	v_or3_b32 v2, v22, v3, v2
.LBB6_1983:                             ;   in Loop: Header=BB6_1923 Depth=2
	s_or_b64 exec, exec, s[92:93]
.LBB6_1984:                             ;   in Loop: Header=BB6_1923 Depth=2
	s_or_b64 exec, exec, s[90:91]
.LBB6_1985:                             ;   in Loop: Header=BB6_1923 Depth=2
	s_or_b64 exec, exec, s[22:23]
	v_lshrrev_b32_e32 v22, 16, v10
	v_cmp_gt_i16_sdwa s[22:23], v22, s53 src0_sel:BYTE_0 src1_sel:DWORD
	s_mov_b64 s[20:21], 0
	s_and_saveexec_b64 s[90:91], s[22:23]
	s_xor_b64 s[22:23], exec, s[90:91]
	s_cbranch_execz .LBB6_2355
; %bb.1986:                             ;   in Loop: Header=BB6_1923 Depth=2
	v_cmp_eq_u16_sdwa s[92:93], v22, s52 src0_sel:BYTE_0 src1_sel:DWORD
	s_mov_b64 s[20:21], -1
	s_and_saveexec_b64 s[90:91], s[92:93]
; %bb.1987:                             ;   in Loop: Header=BB6_1923 Depth=2
	s_xor_b64 s[20:21], exec, -1
; %bb.1988:                             ;   in Loop: Header=BB6_1923 Depth=2
	s_or_b64 exec, exec, s[90:91]
	s_and_b64 s[20:21], s[20:21], exec
	s_or_saveexec_b64 s[22:23], s[22:23]
	v_bfrev_b32_e32 v3, 1
	s_xor_b64 exec, exec, s[22:23]
	s_cbranch_execnz .LBB6_2356
.LBB6_1989:                             ;   in Loop: Header=BB6_1923 Depth=2
	s_or_b64 exec, exec, s[22:23]
	s_and_saveexec_b64 s[22:23], s[20:21]
	s_cbranch_execz .LBB6_1991
.LBB6_1990:                             ;   in Loop: Header=BB6_1923 Depth=2
	v_and_b32_e32 v3, 7, v22
	v_ffbh_u32_e32 v23, v3
	v_min_u32_e32 v27, 32, v23
	v_subrev_u32_e32 v23, 28, v27
	v_lshlrev_b64 v[23:24], v23, v[22:23]
	v_and_b32_e32 v25, 0x7f, v22
	v_bfe_u32 v26, v22, 3, 4
	v_sub_u32_e32 v24, 29, v27
	v_and_b32_e32 v23, 7, v23
	v_cmp_gt_u32_e64 s[20:21], 8, v25
	v_cndmask_b32_e64 v24, v26, v24, s[20:21]
	v_cndmask_b32_e64 v3, v3, v23, s[20:21]
	v_lshlrev_b32_e32 v22, 24, v22
	v_lshlrev_b32_e32 v3, 20, v3
	v_and_b32_e32 v22, 0x80000000, v22
	v_lshl_add_u32 v23, v24, 23, v62
	v_or3_b32 v3, v22, v23, v3
	v_cmp_ne_u32_e64 s[20:21], s53, v25
	v_cndmask_b32_e64 v3, v41, v3, s[20:21]
.LBB6_1991:                             ;   in Loop: Header=BB6_1923 Depth=2
	s_or_b64 exec, exec, s[22:23]
	v_add_f32_e32 v3, v2, v3
	v_and_b32_e32 v60, 0x7f800000, v3
	v_cmp_ne_u64_e64 s[20:21], s[56:57], v[60:61]
                                        ; implicit-def: $vgpr26
	s_and_saveexec_b64 s[22:23], s[20:21]
	s_xor_b64 s[90:91], exec, s[22:23]
	s_cbranch_execz .LBB6_2005
; %bb.1992:                             ;   in Loop: Header=BB6_1923 Depth=2
	v_and_b32_e32 v60, 0x7fffffff, v3
	v_cmp_gt_u64_e64 s[20:21], s[58:59], v[60:61]
	v_and_b32_sdwa v2, v3, s52 dst_sel:DWORD dst_unused:UNUSED_PAD src0_sel:BYTE_3 src1_sel:DWORD
                                        ; implicit-def: $vgpr26
	s_and_saveexec_b64 s[22:23], s[20:21]
	s_xor_b64 s[92:93], exec, s[22:23]
	s_cbranch_execz .LBB6_2002
; %bb.1993:                             ;   in Loop: Header=BB6_1923 Depth=2
	v_mov_b32_e32 v26, 0
	v_cmp_ne_u32_e64 s[20:21], 0, v3
	s_and_saveexec_b64 s[94:95], s[20:21]
	s_cbranch_execz .LBB6_2001
; %bb.1994:                             ;   in Loop: Header=BB6_1923 Depth=2
	v_and_b32_e32 v22, 0x7fffff, v3
	v_bfe_u32 v3, v3, 23, 8
	v_cmp_gt_u32_e64 s[22:23], s54, v3
	v_sub_u32_e32 v23, 0x79, v3
	v_cmp_eq_u32_e64 s[20:21], 0, v3
	v_cndmask_b32_e64 v23, 0, v23, s[22:23]
	v_mov_b32_e32 v25, 0x78
	v_or_b32_e32 v24, 0x800000, v22
	v_cndmask_b32_e64 v25, v23, v25, s[20:21]
	v_cndmask_b32_e64 v60, v24, v22, s[20:21]
	v_add_u32_e32 v22, 20, v25
	v_lshlrev_b64 v[22:23], v22, -1
	v_add_u32_e32 v24, 19, v25
	v_lshlrev_b64 v[26:27], v24, 1
	v_bfi_b32 v23, v23, 0, 0
	v_bfi_b32 v22, v22, 0, v60
	v_cmp_eq_u64_e64 s[22:23], v[22:23], v[26:27]
	v_lshrrev_b64 v[22:23], v25, v[60:61]
	v_mov_b32_e32 v24, v23
	v_mov_b32_e32 v23, v22
	s_and_saveexec_b64 s[30:31], s[22:23]
; %bb.1995:                             ;   in Loop: Header=BB6_1923 Depth=2
	v_bfe_u32 v23, v22, 20, 1
	v_add_co_u32_e64 v23, s[22:23], v22, v23
	v_add_co_u32_e64 v23, s[22:23], -1, v23
; %bb.1996:                             ;   in Loop: Header=BB6_1923 Depth=2
	s_or_b64 exec, exec, s[30:31]
	v_add_u32_e32 v3, 0xffffff81, v3
	v_mov_b32_e32 v24, 0xffffff82
	v_cndmask_b32_e64 v3, v3, v24, s[20:21]
	v_lshrrev_b32_e32 v24, 23, v22
	v_add3_u32 v25, v25, v3, v24
	v_add_u32_e32 v24, 6, v25
	v_and_b32_e32 v3, 0xfffff, v23
	v_add_u32_e32 v60, v3, v22
	v_cmp_ne_u32_e64 s[20:21], 0, v24
                                        ; implicit-def: $vgpr22_vgpr23
                                        ; implicit-def: $vgpr3
	s_and_saveexec_b64 s[22:23], s[20:21]
	s_xor_b64 s[22:23], exec, s[22:23]
; %bb.1997:                             ;   in Loop: Header=BB6_1923 Depth=2
	v_cmp_lt_u64_e64 s[20:21], s[60:61], v[60:61]
	v_add_u32_e32 v3, 7, v25
	v_cndmask_b32_e64 v22, 0, 1, s[20:21]
	v_cndmask_b32_e64 v3, v24, v3, s[20:21]
	v_lshrrev_b64 v[22:23], v22, v[60:61]
; %bb.1998:                             ;   in Loop: Header=BB6_1923 Depth=2
	s_andn2_saveexec_b64 s[20:21], s[22:23]
; %bb.1999:                             ;   in Loop: Header=BB6_1923 Depth=2
	v_mov_b32_e32 v22, v60
	v_bfe_u32 v3, v60, 23, 1
	v_mov_b32_e32 v23, v61
; %bb.2000:                             ;   in Loop: Header=BB6_1923 Depth=2
	s_or_b64 exec, exec, s[20:21]
	v_lshrrev_b64 v[22:23], 20, v[22:23]
	v_cmp_gt_i32_e64 s[20:21], 16, v3
	v_cndmask_b32_e64 v23, 0, v23, s[20:21]
	v_cndmask_b32_e64 v22, 7, v22, s[20:21]
	v_cmp_eq_u32_e64 s[20:21], 0, v3
	v_min_i32_e32 v3, 15, v3
	v_cmp_eq_u64_e64 s[22:23], 0, v[22:23]
	v_lshlrev_b32_e32 v3, 3, v3
	v_and_b32_e32 v3, 0xf8, v3
	v_and_or_b32 v3, v22, 7, v3
	s_and_b64 s[20:21], s[20:21], s[22:23]
	v_cndmask_b32_e64 v3, v3, 0, s[20:21]
	v_or_b32_e32 v26, v3, v2
.LBB6_2001:                             ;   in Loop: Header=BB6_1923 Depth=2
	s_or_b64 exec, exec, s[94:95]
                                        ; implicit-def: $vgpr2
.LBB6_2002:                             ;   in Loop: Header=BB6_1923 Depth=2
	s_andn2_saveexec_b64 s[20:21], s[92:93]
; %bb.2003:                             ;   in Loop: Header=BB6_1923 Depth=2
	v_or_b32_e32 v26, 0x7e, v2
; %bb.2004:                             ;   in Loop: Header=BB6_1923 Depth=2
	s_or_b64 exec, exec, s[20:21]
                                        ; implicit-def: $vgpr3
.LBB6_2005:                             ;   in Loop: Header=BB6_1923 Depth=2
	s_andn2_saveexec_b64 s[20:21], s[90:91]
; %bb.2006:                             ;   in Loop: Header=BB6_1923 Depth=2
	v_or_b32_sdwa v26, v3, s53 dst_sel:DWORD dst_unused:UNUSED_PAD src0_sel:BYTE_3 src1_sel:DWORD
; %bb.2007:                             ;   in Loop: Header=BB6_1923 Depth=2
	s_or_b64 exec, exec, s[20:21]
	v_cmp_lt_u32_e64 s[20:21], s63, v14
	v_mov_b32_e32 v2, 0
	s_and_saveexec_b64 s[22:23], s[20:21]
	s_cbranch_execz .LBB6_2013
; %bb.2008:                             ;   in Loop: Header=BB6_1923 Depth=2
	v_lshrrev_b32_e32 v22, 24, v14
	v_cmp_ne_u32_e64 s[20:21], s52, v22
	v_bfrev_b32_e32 v2, 1
	s_and_saveexec_b64 s[90:91], s[20:21]
	s_cbranch_execz .LBB6_2012
; %bb.2009:                             ;   in Loop: Header=BB6_1923 Depth=2
	v_bfe_u32 v3, v14, 24, 7
	v_cmp_ne_u32_e64 s[20:21], s53, v3
	v_mov_b32_e32 v2, 0x7f800001
	s_and_saveexec_b64 s[92:93], s[20:21]
	s_cbranch_execz .LBB6_2011
; %bb.2010:                             ;   in Loop: Header=BB6_1923 Depth=2
	v_and_b32_e32 v23, 7, v22
	v_ffbh_u32_e32 v2, v23
	v_min_u32_e32 v25, 32, v2
	v_subrev_u32_e32 v2, 28, v25
	v_lshrrev_b32_e32 v24, 3, v3
	v_cmp_gt_u32_e64 s[20:21], 8, v3
	v_lshlrev_b64 v[2:3], v2, v[22:23]
	v_sub_u32_e32 v3, 29, v25
	v_and_b32_e32 v2, 7, v2
	v_cndmask_b32_e64 v3, v24, v3, s[20:21]
	v_cndmask_b32_e64 v2, v23, v2, s[20:21]
	v_lshlrev_b32_e32 v22, 24, v22
	v_lshlrev_b32_e32 v2, 20, v2
	v_and_b32_e32 v22, 0x80000000, v22
	v_lshl_add_u32 v3, v3, 23, v62
	v_or3_b32 v2, v22, v3, v2
.LBB6_2011:                             ;   in Loop: Header=BB6_1923 Depth=2
	s_or_b64 exec, exec, s[92:93]
.LBB6_2012:                             ;   in Loop: Header=BB6_1923 Depth=2
	s_or_b64 exec, exec, s[90:91]
.LBB6_2013:                             ;   in Loop: Header=BB6_1923 Depth=2
	s_or_b64 exec, exec, s[22:23]
	v_bfe_u32 v24, v10, 24, 3
	v_ffbh_u32_e32 v22, v24
	v_min_u32_e32 v28, 32, v22
	v_lshrrev_b32_e32 v3, 24, v10
	v_subrev_u32_e32 v22, 28, v28
	v_lshlrev_b64 v[22:23], v22, v[3:4]
	v_bfe_u32 v25, v10, 24, 7
	v_bfe_u32 v27, v3, 3, 4
	v_sub_u32_e32 v23, 29, v28
	v_and_b32_e32 v22, 7, v22
	v_cmp_gt_u32_e64 s[20:21], 8, v25
	v_cndmask_b32_e64 v23, v27, v23, s[20:21]
	v_cndmask_b32_e64 v22, v24, v22, s[20:21]
	v_lshlrev_b32_e32 v22, 20, v22
	v_and_b32_e32 v24, 0x80000000, v10
	v_lshl_add_u32 v23, v23, 23, v62
	v_or3_b32 v22, v24, v23, v22
	v_cmp_ne_u32_e64 s[20:21], s53, v25
	v_cndmask_b32_e64 v22, v41, v22, s[20:21]
	v_cmp_ne_u32_e64 s[20:21], s52, v3
	v_cndmask_b32_e64 v3, v42, v22, s[20:21]
	v_cmp_lt_u32_e64 s[20:21], s63, v10
	v_cndmask_b32_e64 v3, 0, v3, s[20:21]
	v_add_f32_e32 v3, v3, v2
	v_and_b32_e32 v60, 0x7f800000, v3
	v_cmp_ne_u64_e64 s[20:21], s[56:57], v[60:61]
                                        ; implicit-def: $vgpr27
	s_and_saveexec_b64 s[22:23], s[20:21]
	s_xor_b64 s[90:91], exec, s[22:23]
	s_cbranch_execz .LBB6_2027
; %bb.2014:                             ;   in Loop: Header=BB6_1923 Depth=2
	v_and_b32_e32 v60, 0x7fffffff, v3
	v_cmp_gt_u64_e64 s[20:21], s[58:59], v[60:61]
	v_and_b32_sdwa v2, v3, s52 dst_sel:DWORD dst_unused:UNUSED_PAD src0_sel:BYTE_3 src1_sel:DWORD
                                        ; implicit-def: $vgpr27
	s_and_saveexec_b64 s[22:23], s[20:21]
	s_xor_b64 s[92:93], exec, s[22:23]
	s_cbranch_execz .LBB6_2024
; %bb.2015:                             ;   in Loop: Header=BB6_1923 Depth=2
	v_mov_b32_e32 v27, 0
	v_cmp_ne_u32_e64 s[20:21], 0, v3
	s_and_saveexec_b64 s[94:95], s[20:21]
	s_cbranch_execz .LBB6_2023
; %bb.2016:                             ;   in Loop: Header=BB6_1923 Depth=2
	v_and_b32_e32 v22, 0x7fffff, v3
	v_bfe_u32 v3, v3, 23, 8
	v_cmp_gt_u32_e64 s[22:23], s54, v3
	v_sub_u32_e32 v23, 0x79, v3
	v_cmp_eq_u32_e64 s[20:21], 0, v3
	v_cndmask_b32_e64 v23, 0, v23, s[22:23]
	v_mov_b32_e32 v25, 0x78
	v_or_b32_e32 v24, 0x800000, v22
	v_cndmask_b32_e64 v25, v23, v25, s[20:21]
	v_cndmask_b32_e64 v60, v24, v22, s[20:21]
	v_add_u32_e32 v22, 20, v25
	v_lshlrev_b64 v[22:23], v22, -1
	v_add_u32_e32 v24, 19, v25
	v_lshlrev_b64 v[27:28], v24, 1
	v_bfi_b32 v23, v23, 0, 0
	v_bfi_b32 v22, v22, 0, v60
	v_cmp_eq_u64_e64 s[22:23], v[22:23], v[27:28]
	v_lshrrev_b64 v[22:23], v25, v[60:61]
	v_mov_b32_e32 v24, v23
	v_mov_b32_e32 v23, v22
	s_and_saveexec_b64 s[30:31], s[22:23]
; %bb.2017:                             ;   in Loop: Header=BB6_1923 Depth=2
	v_bfe_u32 v23, v22, 20, 1
	v_add_co_u32_e64 v23, s[22:23], v22, v23
	v_add_co_u32_e64 v23, s[22:23], -1, v23
; %bb.2018:                             ;   in Loop: Header=BB6_1923 Depth=2
	s_or_b64 exec, exec, s[30:31]
	v_add_u32_e32 v3, 0xffffff81, v3
	v_mov_b32_e32 v24, 0xffffff82
	v_cndmask_b32_e64 v3, v3, v24, s[20:21]
	v_lshrrev_b32_e32 v24, 23, v22
	v_add3_u32 v25, v25, v3, v24
	v_add_u32_e32 v24, 6, v25
	v_and_b32_e32 v3, 0xfffff, v23
	v_add_u32_e32 v60, v3, v22
	v_cmp_ne_u32_e64 s[20:21], 0, v24
                                        ; implicit-def: $vgpr22_vgpr23
                                        ; implicit-def: $vgpr3
	s_and_saveexec_b64 s[22:23], s[20:21]
	s_xor_b64 s[22:23], exec, s[22:23]
; %bb.2019:                             ;   in Loop: Header=BB6_1923 Depth=2
	v_cmp_lt_u64_e64 s[20:21], s[60:61], v[60:61]
	v_add_u32_e32 v3, 7, v25
	v_cndmask_b32_e64 v22, 0, 1, s[20:21]
	v_cndmask_b32_e64 v3, v24, v3, s[20:21]
	v_lshrrev_b64 v[22:23], v22, v[60:61]
; %bb.2020:                             ;   in Loop: Header=BB6_1923 Depth=2
	s_andn2_saveexec_b64 s[20:21], s[22:23]
; %bb.2021:                             ;   in Loop: Header=BB6_1923 Depth=2
	v_mov_b32_e32 v22, v60
	v_bfe_u32 v3, v60, 23, 1
	v_mov_b32_e32 v23, v61
; %bb.2022:                             ;   in Loop: Header=BB6_1923 Depth=2
	s_or_b64 exec, exec, s[20:21]
	v_lshrrev_b64 v[22:23], 20, v[22:23]
	v_cmp_gt_i32_e64 s[20:21], 16, v3
	v_cndmask_b32_e64 v23, 0, v23, s[20:21]
	v_cndmask_b32_e64 v22, 7, v22, s[20:21]
	v_cmp_eq_u32_e64 s[20:21], 0, v3
	v_min_i32_e32 v3, 15, v3
	v_cmp_eq_u64_e64 s[22:23], 0, v[22:23]
	v_lshlrev_b32_e32 v3, 3, v3
	v_and_b32_e32 v3, 0xf8, v3
	v_and_or_b32 v3, v22, 7, v3
	s_and_b64 s[20:21], s[20:21], s[22:23]
	v_cndmask_b32_e64 v3, v3, 0, s[20:21]
	v_or_b32_e32 v27, v3, v2
.LBB6_2023:                             ;   in Loop: Header=BB6_1923 Depth=2
	s_or_b64 exec, exec, s[94:95]
                                        ; implicit-def: $vgpr2
.LBB6_2024:                             ;   in Loop: Header=BB6_1923 Depth=2
	s_andn2_saveexec_b64 s[20:21], s[92:93]
; %bb.2025:                             ;   in Loop: Header=BB6_1923 Depth=2
	v_or_b32_e32 v27, 0x7e, v2
; %bb.2026:                             ;   in Loop: Header=BB6_1923 Depth=2
	s_or_b64 exec, exec, s[20:21]
                                        ; implicit-def: $vgpr3
.LBB6_2027:                             ;   in Loop: Header=BB6_1923 Depth=2
	s_andn2_saveexec_b64 s[20:21], s[90:91]
; %bb.2028:                             ;   in Loop: Header=BB6_1923 Depth=2
	v_or_b32_sdwa v27, v3, s53 dst_sel:DWORD dst_unused:UNUSED_PAD src0_sel:BYTE_3 src1_sel:DWORD
; %bb.2029:                             ;   in Loop: Header=BB6_1923 Depth=2
	s_or_b64 exec, exec, s[20:21]
	v_mov_b32_e32 v60, v15
	v_cmp_ne_u16_sdwa s[20:21], v15, v61 src0_sel:BYTE_0 src1_sel:DWORD
	v_mov_b32_e32 v2, 0
	s_and_saveexec_b64 s[22:23], s[20:21]
	s_cbranch_execz .LBB6_2035
; %bb.2030:                             ;   in Loop: Header=BB6_1923 Depth=2
	v_cmp_ne_u16_sdwa s[20:21], v15, s52 src0_sel:BYTE_0 src1_sel:DWORD
	v_bfrev_b32_e32 v2, 1
	s_and_saveexec_b64 s[90:91], s[20:21]
	s_cbranch_execz .LBB6_2034
; %bb.2031:                             ;   in Loop: Header=BB6_1923 Depth=2
	v_and_b32_e32 v3, 0x7f, v15
	v_cmp_ne_u32_e64 s[20:21], s53, v3
	v_mov_b32_e32 v2, 0x7f800001
	s_and_saveexec_b64 s[92:93], s[20:21]
	s_cbranch_execz .LBB6_2033
; %bb.2032:                             ;   in Loop: Header=BB6_1923 Depth=2
	v_and_b32_e32 v2, 7, v15
	v_ffbh_u32_e32 v2, v2
	v_min_u32_e32 v2, 32, v2
	v_lshrrev_b32_e32 v22, 3, v3
	v_cmp_gt_u32_e64 s[20:21], 8, v3
	v_subrev_u32_e32 v3, 28, v2
	v_sub_u32_e32 v2, 29, v2
	v_cndmask_b32_e64 v22, v22, v2, s[20:21]
	v_cndmask_b32_e64 v2, 0, v3, s[20:21]
	v_lshlrev_b64 v[2:3], v2, v[60:61]
	v_lshlrev_b32_e32 v3, 24, v60
	v_lshlrev_b32_e32 v2, 20, v2
	v_and_b32_e32 v2, 0x700000, v2
	v_and_b32_e32 v3, 0x80000000, v3
	v_lshl_add_u32 v22, v22, 23, v62
	v_or3_b32 v2, v3, v22, v2
.LBB6_2033:                             ;   in Loop: Header=BB6_1923 Depth=2
	s_or_b64 exec, exec, s[92:93]
.LBB6_2034:                             ;   in Loop: Header=BB6_1923 Depth=2
	s_or_b64 exec, exec, s[90:91]
.LBB6_2035:                             ;   in Loop: Header=BB6_1923 Depth=2
	s_or_b64 exec, exec, s[22:23]
	v_cmp_gt_i16_sdwa s[22:23], v11, s53 src0_sel:BYTE_0 src1_sel:DWORD
	s_mov_b64 s[20:21], 0
	s_and_saveexec_b64 s[90:91], s[22:23]
	s_xor_b64 s[22:23], exec, s[90:91]
	s_cbranch_execz .LBB6_2039
; %bb.2036:                             ;   in Loop: Header=BB6_1923 Depth=2
	v_cmp_eq_u16_sdwa s[92:93], v11, s52 src0_sel:BYTE_0 src1_sel:DWORD
	s_mov_b64 s[20:21], -1
	s_and_saveexec_b64 s[90:91], s[92:93]
; %bb.2037:                             ;   in Loop: Header=BB6_1923 Depth=2
	s_xor_b64 s[20:21], exec, -1
; %bb.2038:                             ;   in Loop: Header=BB6_1923 Depth=2
	s_or_b64 exec, exec, s[90:91]
	s_and_b64 s[20:21], s[20:21], exec
.LBB6_2039:                             ;   in Loop: Header=BB6_1923 Depth=2
	s_or_saveexec_b64 s[22:23], s[22:23]
	v_bfrev_b32_e32 v3, 1
	s_xor_b64 exec, exec, s[22:23]
; %bb.2040:                             ;   in Loop: Header=BB6_1923 Depth=2
	v_cmp_ne_u16_sdwa s[90:91], v11, v61 src0_sel:BYTE_0 src1_sel:DWORD
	s_andn2_b64 s[20:21], s[20:21], exec
	s_and_b64 s[90:91], s[90:91], exec
	v_mov_b32_e32 v3, 0
	s_or_b64 s[20:21], s[20:21], s[90:91]
; %bb.2041:                             ;   in Loop: Header=BB6_1923 Depth=2
	s_or_b64 exec, exec, s[22:23]
	v_mov_b32_e32 v22, v11
	v_mov_b32_e32 v23, v61
	s_and_saveexec_b64 s[22:23], s[20:21]
	s_cbranch_execz .LBB6_2043
; %bb.2042:                             ;   in Loop: Header=BB6_1923 Depth=2
	v_and_b32_e32 v3, 7, v11
	v_ffbh_u32_e32 v3, v3
	v_and_b32_e32 v25, 0x7f, v11
	v_min_u32_e32 v3, 32, v3
	v_bfe_u32 v24, v11, 3, 4
	v_subrev_u32_e32 v28, 28, v3
	v_sub_u32_e32 v3, 29, v3
	v_cmp_gt_u32_e64 s[20:21], 8, v25
	v_cndmask_b32_e64 v3, v24, v3, s[20:21]
	v_cndmask_b32_e64 v24, 0, v28, s[20:21]
	v_lshlrev_b64 v[23:24], v24, v[22:23]
	v_lshlrev_b32_e32 v24, 24, v22
	v_lshlrev_b32_e32 v23, 20, v23
	v_and_b32_e32 v23, 0x700000, v23
	v_and_b32_e32 v24, 0x80000000, v24
	v_lshl_add_u32 v3, v3, 23, v62
	v_or3_b32 v3, v24, v3, v23
	v_cmp_ne_u32_e64 s[20:21], s53, v25
	v_cndmask_b32_e64 v3, v41, v3, s[20:21]
.LBB6_2043:                             ;   in Loop: Header=BB6_1923 Depth=2
	s_or_b64 exec, exec, s[22:23]
	v_add_f32_e32 v3, v2, v3
	v_and_b32_e32 v23, 0x7f800000, v3
	v_mov_b32_e32 v24, v61
	v_cmp_ne_u64_e64 s[20:21], s[56:57], v[23:24]
                                        ; implicit-def: $vgpr25
	s_and_saveexec_b64 s[22:23], s[20:21]
	s_xor_b64 s[90:91], exec, s[22:23]
	s_cbranch_execz .LBB6_2057
; %bb.2044:                             ;   in Loop: Header=BB6_1923 Depth=2
	v_and_b32_e32 v23, 0x7fffffff, v3
	v_mov_b32_e32 v24, v61
	v_cmp_gt_u64_e64 s[20:21], s[58:59], v[23:24]
	v_and_b32_sdwa v2, v3, s52 dst_sel:DWORD dst_unused:UNUSED_PAD src0_sel:BYTE_3 src1_sel:DWORD
                                        ; implicit-def: $vgpr25
	s_and_saveexec_b64 s[22:23], s[20:21]
	s_xor_b64 s[92:93], exec, s[22:23]
	s_cbranch_execz .LBB6_2054
; %bb.2045:                             ;   in Loop: Header=BB6_1923 Depth=2
	v_mov_b32_e32 v25, 0
	v_cmp_ne_u32_e64 s[20:21], 0, v3
	s_and_saveexec_b64 s[94:95], s[20:21]
	s_cbranch_execz .LBB6_2053
; %bb.2046:                             ;   in Loop: Header=BB6_1923 Depth=2
	v_and_b32_e32 v23, 0x7fffff, v3
	v_bfe_u32 v3, v3, 23, 8
	v_cmp_gt_u32_e64 s[22:23], s54, v3
	v_sub_u32_e32 v24, 0x79, v3
	v_cmp_eq_u32_e64 s[20:21], 0, v3
	v_cndmask_b32_e64 v24, 0, v24, s[22:23]
	v_mov_b32_e32 v28, 0x78
	v_or_b32_e32 v25, 0x800000, v23
	v_cndmask_b32_e64 v28, v24, v28, s[20:21]
	v_cndmask_b32_e64 v23, v25, v23, s[20:21]
	v_add_u32_e32 v25, 20, v28
	v_lshlrev_b64 v[29:30], v25, -1
	v_mov_b32_e32 v24, v61
	v_add_u32_e32 v25, 19, v28
	v_bfi_b32 v29, v29, 0, v23
	v_lshlrev_b64 v[31:32], v25, 1
	v_lshrrev_b64 v[23:24], v28, v[23:24]
	v_bfi_b32 v30, v30, 0, 0
	v_cmp_eq_u64_e64 s[22:23], v[29:30], v[31:32]
	v_mov_b32_e32 v25, v24
	v_mov_b32_e32 v24, v23
	s_and_saveexec_b64 s[30:31], s[22:23]
; %bb.2047:                             ;   in Loop: Header=BB6_1923 Depth=2
	v_bfe_u32 v24, v23, 20, 1
	v_add_co_u32_e64 v24, s[22:23], v23, v24
	v_add_co_u32_e64 v24, s[22:23], -1, v24
; %bb.2048:                             ;   in Loop: Header=BB6_1923 Depth=2
	s_or_b64 exec, exec, s[30:31]
	v_add_u32_e32 v3, 0xffffff81, v3
	v_mov_b32_e32 v25, 0xffffff82
	v_cndmask_b32_e64 v3, v3, v25, s[20:21]
	v_lshrrev_b32_e32 v25, 23, v23
	v_add3_u32 v28, v28, v3, v25
	v_add_u32_e32 v25, 6, v28
	v_and_b32_e32 v3, 0xfffff, v24
	v_add_u32_e32 v23, v3, v23
	v_mov_b32_e32 v24, v61
	v_cmp_ne_u32_e64 s[20:21], 0, v25
                                        ; implicit-def: $vgpr3
	s_and_saveexec_b64 s[22:23], s[20:21]
	s_xor_b64 s[22:23], exec, s[22:23]
; %bb.2049:                             ;   in Loop: Header=BB6_1923 Depth=2
	v_cmp_lt_u64_e64 s[20:21], s[60:61], v[23:24]
	v_add_u32_e32 v3, 7, v28
	v_cndmask_b32_e64 v3, v25, v3, s[20:21]
	v_cndmask_b32_e64 v25, 0, 1, s[20:21]
	v_lshrrev_b64 v[23:24], v25, v[23:24]
; %bb.2050:                             ;   in Loop: Header=BB6_1923 Depth=2
	s_andn2_saveexec_b64 s[20:21], s[22:23]
; %bb.2051:                             ;   in Loop: Header=BB6_1923 Depth=2
	v_bfe_u32 v3, v23, 23, 1
; %bb.2052:                             ;   in Loop: Header=BB6_1923 Depth=2
	s_or_b64 exec, exec, s[20:21]
	v_lshrrev_b64 v[23:24], 20, v[23:24]
	v_cmp_gt_i32_e64 s[20:21], 16, v3
	v_cndmask_b32_e64 v24, 0, v24, s[20:21]
	v_cndmask_b32_e64 v23, 7, v23, s[20:21]
	v_cmp_eq_u32_e64 s[20:21], 0, v3
	v_min_i32_e32 v3, 15, v3
	v_cmp_eq_u64_e64 s[22:23], 0, v[23:24]
	v_lshlrev_b32_e32 v3, 3, v3
	v_and_b32_e32 v3, 0xf8, v3
	v_and_or_b32 v3, v23, 7, v3
	s_and_b64 s[20:21], s[20:21], s[22:23]
	v_cndmask_b32_e64 v3, v3, 0, s[20:21]
	v_or_b32_e32 v25, v3, v2
.LBB6_2053:                             ;   in Loop: Header=BB6_1923 Depth=2
	s_or_b64 exec, exec, s[94:95]
                                        ; implicit-def: $vgpr2
.LBB6_2054:                             ;   in Loop: Header=BB6_1923 Depth=2
	s_andn2_saveexec_b64 s[20:21], s[92:93]
; %bb.2055:                             ;   in Loop: Header=BB6_1923 Depth=2
	v_or_b32_e32 v25, 0x7e, v2
; %bb.2056:                             ;   in Loop: Header=BB6_1923 Depth=2
	s_or_b64 exec, exec, s[20:21]
                                        ; implicit-def: $vgpr3
.LBB6_2057:                             ;   in Loop: Header=BB6_1923 Depth=2
	s_andn2_saveexec_b64 s[20:21], s[90:91]
; %bb.2058:                             ;   in Loop: Header=BB6_1923 Depth=2
	v_or_b32_sdwa v25, v3, s53 dst_sel:DWORD dst_unused:UNUSED_PAD src0_sel:BYTE_3 src1_sel:DWORD
; %bb.2059:                             ;   in Loop: Header=BB6_1923 Depth=2
	s_or_b64 exec, exec, s[20:21]
	v_lshrrev_b16_e32 v23, 8, v60
	v_cmp_ne_u16_e64 s[20:21], 0, v23
	v_mov_b32_e32 v2, 0
	s_and_saveexec_b64 s[22:23], s[20:21]
	s_cbranch_execz .LBB6_2065
; %bb.2060:                             ;   in Loop: Header=BB6_1923 Depth=2
	v_cmp_ne_u16_e64 s[20:21], s52, v23
	v_bfrev_b32_e32 v2, 1
	s_and_saveexec_b64 s[90:91], s[20:21]
	s_cbranch_execz .LBB6_2064
; %bb.2061:                             ;   in Loop: Header=BB6_1923 Depth=2
	v_and_b32_e32 v3, 0x7f, v23
	v_cmp_ne_u32_e64 s[20:21], s53, v3
	v_mov_b32_e32 v2, 0x7f800001
	s_and_saveexec_b64 s[92:93], s[20:21]
	s_cbranch_execz .LBB6_2063
; %bb.2062:                             ;   in Loop: Header=BB6_1923 Depth=2
	v_and_b32_e32 v24, 7, v23
	v_ffbh_u32_e32 v2, v24
	v_min_u32_e32 v29, 32, v2
	v_subrev_u32_e32 v2, 28, v29
	v_lshrrev_b32_e32 v28, 3, v3
	v_cmp_gt_u32_e64 s[20:21], 8, v3
	v_lshlrev_b64 v[2:3], v2, v[23:24]
	v_sub_u32_e32 v3, 29, v29
	v_and_b32_e32 v2, 7, v2
	v_cndmask_b32_e64 v3, v28, v3, s[20:21]
	v_cndmask_b32_e64 v2, v24, v2, s[20:21]
	v_lshlrev_b32_e32 v23, 16, v60
	v_lshlrev_b32_e32 v2, 20, v2
	v_and_b32_e32 v23, 0x80000000, v23
	v_lshl_add_u32 v3, v3, 23, v62
	v_or3_b32 v2, v23, v3, v2
.LBB6_2063:                             ;   in Loop: Header=BB6_1923 Depth=2
	s_or_b64 exec, exec, s[92:93]
.LBB6_2064:                             ;   in Loop: Header=BB6_1923 Depth=2
	s_or_b64 exec, exec, s[90:91]
.LBB6_2065:                             ;   in Loop: Header=BB6_1923 Depth=2
	s_or_b64 exec, exec, s[22:23]
	v_lshrrev_b16_e32 v60, 8, v22
	v_cmp_lt_i16_e64 s[20:21], s53, v60
	s_mov_b64 s[22:23], 0
	s_and_saveexec_b64 s[90:91], s[20:21]
	s_xor_b64 s[90:91], exec, s[90:91]
	s_cbranch_execz .LBB6_2357
; %bb.2066:                             ;   in Loop: Header=BB6_1923 Depth=2
	v_cmp_eq_u16_e64 s[20:21], s52, v60
	s_mov_b64 s[22:23], -1
	s_and_saveexec_b64 s[92:93], s[20:21]
; %bb.2067:                             ;   in Loop: Header=BB6_1923 Depth=2
	s_xor_b64 s[22:23], exec, -1
; %bb.2068:                             ;   in Loop: Header=BB6_1923 Depth=2
	s_or_b64 exec, exec, s[92:93]
	s_and_b64 s[22:23], s[22:23], exec
	s_or_saveexec_b64 s[90:91], s[90:91]
	v_bfrev_b32_e32 v3, 1
	s_xor_b64 exec, exec, s[90:91]
	s_cbranch_execnz .LBB6_2358
.LBB6_2069:                             ;   in Loop: Header=BB6_1923 Depth=2
	s_or_b64 exec, exec, s[90:91]
	s_and_saveexec_b64 s[90:91], s[22:23]
	s_cbranch_execz .LBB6_2071
.LBB6_2070:                             ;   in Loop: Header=BB6_1923 Depth=2
	v_and_b32_e32 v3, 7, v60
	v_ffbh_u32_e32 v22, v3
	v_min_u32_e32 v29, 32, v22
	v_subrev_u32_e32 v22, 28, v29
	v_lshlrev_b64 v[22:23], v22, v[60:61]
	v_and_b32_e32 v24, 0x7f, v60
	v_bfe_u32 v28, v60, 3, 4
	v_sub_u32_e32 v23, 29, v29
	v_and_b32_e32 v22, 7, v22
	v_cmp_gt_u32_e64 s[20:21], 8, v24
	v_cndmask_b32_e64 v23, v28, v23, s[20:21]
	v_cndmask_b32_e64 v3, v3, v22, s[20:21]
	v_lshlrev_b32_e32 v22, 24, v60
	v_lshlrev_b32_e32 v3, 20, v3
	v_and_b32_e32 v22, 0x80000000, v22
	v_lshl_add_u32 v23, v23, 23, v62
	v_or3_b32 v3, v22, v23, v3
	v_cmp_ne_u32_e64 s[20:21], s53, v24
	v_cndmask_b32_e64 v3, v41, v3, s[20:21]
.LBB6_2071:                             ;   in Loop: Header=BB6_1923 Depth=2
	s_or_b64 exec, exec, s[90:91]
	v_add_f32_e32 v3, v2, v3
	v_and_b32_e32 v60, 0x7f800000, v3
	v_cmp_ne_u64_e64 s[20:21], s[56:57], v[60:61]
                                        ; implicit-def: $vgpr28
	s_and_saveexec_b64 s[22:23], s[20:21]
	s_xor_b64 s[90:91], exec, s[22:23]
	s_cbranch_execz .LBB6_2085
; %bb.2072:                             ;   in Loop: Header=BB6_1923 Depth=2
	v_and_b32_e32 v60, 0x7fffffff, v3
	v_cmp_gt_u64_e64 s[20:21], s[58:59], v[60:61]
	v_and_b32_sdwa v2, v3, s52 dst_sel:DWORD dst_unused:UNUSED_PAD src0_sel:BYTE_3 src1_sel:DWORD
                                        ; implicit-def: $vgpr28
	s_and_saveexec_b64 s[22:23], s[20:21]
	s_xor_b64 s[92:93], exec, s[22:23]
	s_cbranch_execz .LBB6_2082
; %bb.2073:                             ;   in Loop: Header=BB6_1923 Depth=2
	v_mov_b32_e32 v28, 0
	v_cmp_ne_u32_e64 s[20:21], 0, v3
	s_and_saveexec_b64 s[94:95], s[20:21]
	s_cbranch_execz .LBB6_2081
; %bb.2074:                             ;   in Loop: Header=BB6_1923 Depth=2
	v_and_b32_e32 v22, 0x7fffff, v3
	v_bfe_u32 v3, v3, 23, 8
	v_cmp_gt_u32_e64 s[22:23], s54, v3
	v_sub_u32_e32 v23, 0x79, v3
	v_cmp_eq_u32_e64 s[20:21], 0, v3
	v_cndmask_b32_e64 v23, 0, v23, s[22:23]
	v_mov_b32_e32 v28, 0x78
	v_or_b32_e32 v24, 0x800000, v22
	v_cndmask_b32_e64 v28, v23, v28, s[20:21]
	v_cndmask_b32_e64 v60, v24, v22, s[20:21]
	v_add_u32_e32 v22, 20, v28
	v_lshlrev_b64 v[22:23], v22, -1
	v_add_u32_e32 v24, 19, v28
	v_lshlrev_b64 v[29:30], v24, 1
	v_bfi_b32 v23, v23, 0, 0
	v_bfi_b32 v22, v22, 0, v60
	v_cmp_eq_u64_e64 s[22:23], v[22:23], v[29:30]
	v_lshrrev_b64 v[22:23], v28, v[60:61]
	v_mov_b32_e32 v24, v23
	v_mov_b32_e32 v23, v22
	s_and_saveexec_b64 s[30:31], s[22:23]
; %bb.2075:                             ;   in Loop: Header=BB6_1923 Depth=2
	v_bfe_u32 v23, v22, 20, 1
	v_add_co_u32_e64 v23, s[22:23], v22, v23
	v_add_co_u32_e64 v23, s[22:23], -1, v23
; %bb.2076:                             ;   in Loop: Header=BB6_1923 Depth=2
	s_or_b64 exec, exec, s[30:31]
	v_add_u32_e32 v3, 0xffffff81, v3
	v_mov_b32_e32 v24, 0xffffff82
	v_cndmask_b32_e64 v3, v3, v24, s[20:21]
	v_lshrrev_b32_e32 v24, 23, v22
	v_add3_u32 v28, v28, v3, v24
	v_add_u32_e32 v24, 6, v28
	v_and_b32_e32 v3, 0xfffff, v23
	v_add_u32_e32 v60, v3, v22
	v_cmp_ne_u32_e64 s[20:21], 0, v24
                                        ; implicit-def: $vgpr22_vgpr23
                                        ; implicit-def: $vgpr3
	s_and_saveexec_b64 s[22:23], s[20:21]
	s_xor_b64 s[22:23], exec, s[22:23]
; %bb.2077:                             ;   in Loop: Header=BB6_1923 Depth=2
	v_cmp_lt_u64_e64 s[20:21], s[60:61], v[60:61]
	v_add_u32_e32 v3, 7, v28
	v_cndmask_b32_e64 v22, 0, 1, s[20:21]
	v_cndmask_b32_e64 v3, v24, v3, s[20:21]
	v_lshrrev_b64 v[22:23], v22, v[60:61]
; %bb.2078:                             ;   in Loop: Header=BB6_1923 Depth=2
	s_andn2_saveexec_b64 s[20:21], s[22:23]
; %bb.2079:                             ;   in Loop: Header=BB6_1923 Depth=2
	v_mov_b32_e32 v22, v60
	v_bfe_u32 v3, v60, 23, 1
	v_mov_b32_e32 v23, v61
; %bb.2080:                             ;   in Loop: Header=BB6_1923 Depth=2
	s_or_b64 exec, exec, s[20:21]
	v_lshrrev_b64 v[22:23], 20, v[22:23]
	v_cmp_gt_i32_e64 s[20:21], 16, v3
	v_cndmask_b32_e64 v23, 0, v23, s[20:21]
	v_cndmask_b32_e64 v22, 7, v22, s[20:21]
	v_cmp_eq_u32_e64 s[20:21], 0, v3
	v_min_i32_e32 v3, 15, v3
	v_cmp_eq_u64_e64 s[22:23], 0, v[22:23]
	v_lshlrev_b32_e32 v3, 3, v3
	v_and_b32_e32 v3, 0xf8, v3
	v_and_or_b32 v3, v22, 7, v3
	s_and_b64 s[20:21], s[20:21], s[22:23]
	v_cndmask_b32_e64 v3, v3, 0, s[20:21]
	v_or_b32_e32 v28, v3, v2
.LBB6_2081:                             ;   in Loop: Header=BB6_1923 Depth=2
	s_or_b64 exec, exec, s[94:95]
                                        ; implicit-def: $vgpr2
.LBB6_2082:                             ;   in Loop: Header=BB6_1923 Depth=2
	s_andn2_saveexec_b64 s[20:21], s[92:93]
; %bb.2083:                             ;   in Loop: Header=BB6_1923 Depth=2
	v_or_b32_e32 v28, 0x7e, v2
; %bb.2084:                             ;   in Loop: Header=BB6_1923 Depth=2
	s_or_b64 exec, exec, s[20:21]
                                        ; implicit-def: $vgpr3
.LBB6_2085:                             ;   in Loop: Header=BB6_1923 Depth=2
	s_andn2_saveexec_b64 s[20:21], s[90:91]
; %bb.2086:                             ;   in Loop: Header=BB6_1923 Depth=2
	v_or_b32_sdwa v28, v3, s53 dst_sel:DWORD dst_unused:UNUSED_PAD src0_sel:BYTE_3 src1_sel:DWORD
; %bb.2087:                             ;   in Loop: Header=BB6_1923 Depth=2
	s_or_b64 exec, exec, s[20:21]
	v_lshrrev_b32_e32 v22, 16, v15
	v_cmp_ne_u16_sdwa s[20:21], v22, v61 src0_sel:BYTE_0 src1_sel:DWORD
	v_mov_b32_e32 v2, 0
	s_and_saveexec_b64 s[22:23], s[20:21]
	s_cbranch_execz .LBB6_2093
; %bb.2088:                             ;   in Loop: Header=BB6_1923 Depth=2
	v_cmp_ne_u16_sdwa s[20:21], v22, s52 src0_sel:BYTE_0 src1_sel:DWORD
	v_bfrev_b32_e32 v2, 1
	s_and_saveexec_b64 s[90:91], s[20:21]
	s_cbranch_execz .LBB6_2092
; %bb.2089:                             ;   in Loop: Header=BB6_1923 Depth=2
	v_bfe_u32 v3, v15, 16, 7
	v_cmp_ne_u32_e64 s[20:21], s53, v3
	v_mov_b32_e32 v2, 0x7f800001
	s_and_saveexec_b64 s[92:93], s[20:21]
	s_cbranch_execz .LBB6_2091
; %bb.2090:                             ;   in Loop: Header=BB6_1923 Depth=2
	v_and_b32_e32 v23, 7, v22
	v_ffbh_u32_e32 v2, v23
	v_min_u32_e32 v29, 32, v2
	v_subrev_u32_e32 v2, 28, v29
	v_lshrrev_b32_e32 v24, 3, v3
	v_cmp_gt_u32_e64 s[20:21], 8, v3
	v_lshlrev_b64 v[2:3], v2, v[22:23]
	v_sub_u32_e32 v3, 29, v29
	v_and_b32_e32 v2, 7, v2
	v_cndmask_b32_e64 v3, v24, v3, s[20:21]
	v_cndmask_b32_e64 v2, v23, v2, s[20:21]
	v_lshlrev_b32_e32 v22, 24, v22
	v_lshlrev_b32_e32 v2, 20, v2
	v_and_b32_e32 v22, 0x80000000, v22
	v_lshl_add_u32 v3, v3, 23, v62
	v_or3_b32 v2, v22, v3, v2
.LBB6_2091:                             ;   in Loop: Header=BB6_1923 Depth=2
	s_or_b64 exec, exec, s[92:93]
.LBB6_2092:                             ;   in Loop: Header=BB6_1923 Depth=2
	s_or_b64 exec, exec, s[90:91]
.LBB6_2093:                             ;   in Loop: Header=BB6_1923 Depth=2
	s_or_b64 exec, exec, s[22:23]
	v_lshrrev_b32_e32 v22, 16, v11
	v_cmp_gt_i16_sdwa s[22:23], v22, s53 src0_sel:BYTE_0 src1_sel:DWORD
	s_mov_b64 s[20:21], 0
	s_and_saveexec_b64 s[90:91], s[22:23]
	s_xor_b64 s[22:23], exec, s[90:91]
	s_cbranch_execz .LBB6_2359
; %bb.2094:                             ;   in Loop: Header=BB6_1923 Depth=2
	v_cmp_eq_u16_sdwa s[92:93], v22, s52 src0_sel:BYTE_0 src1_sel:DWORD
	s_mov_b64 s[20:21], -1
	s_and_saveexec_b64 s[90:91], s[92:93]
; %bb.2095:                             ;   in Loop: Header=BB6_1923 Depth=2
	s_xor_b64 s[20:21], exec, -1
; %bb.2096:                             ;   in Loop: Header=BB6_1923 Depth=2
	s_or_b64 exec, exec, s[90:91]
	s_and_b64 s[20:21], s[20:21], exec
	s_or_saveexec_b64 s[22:23], s[22:23]
	v_bfrev_b32_e32 v3, 1
	s_xor_b64 exec, exec, s[22:23]
	s_cbranch_execnz .LBB6_2360
.LBB6_2097:                             ;   in Loop: Header=BB6_1923 Depth=2
	s_or_b64 exec, exec, s[22:23]
	s_and_saveexec_b64 s[22:23], s[20:21]
	s_cbranch_execz .LBB6_2099
.LBB6_2098:                             ;   in Loop: Header=BB6_1923 Depth=2
	v_and_b32_e32 v3, 7, v22
	v_ffbh_u32_e32 v23, v3
	v_min_u32_e32 v31, 32, v23
	v_subrev_u32_e32 v23, 28, v31
	v_lshlrev_b64 v[23:24], v23, v[22:23]
	v_and_b32_e32 v29, 0x7f, v22
	v_bfe_u32 v30, v22, 3, 4
	v_sub_u32_e32 v24, 29, v31
	v_and_b32_e32 v23, 7, v23
	v_cmp_gt_u32_e64 s[20:21], 8, v29
	v_cndmask_b32_e64 v24, v30, v24, s[20:21]
	v_cndmask_b32_e64 v3, v3, v23, s[20:21]
	v_lshlrev_b32_e32 v22, 24, v22
	v_lshlrev_b32_e32 v3, 20, v3
	v_and_b32_e32 v22, 0x80000000, v22
	v_lshl_add_u32 v23, v24, 23, v62
	v_or3_b32 v3, v22, v23, v3
	v_cmp_ne_u32_e64 s[20:21], s53, v29
	v_cndmask_b32_e64 v3, v41, v3, s[20:21]
.LBB6_2099:                             ;   in Loop: Header=BB6_1923 Depth=2
	s_or_b64 exec, exec, s[22:23]
	v_add_f32_e32 v3, v2, v3
	v_and_b32_e32 v60, 0x7f800000, v3
	v_cmp_ne_u64_e64 s[20:21], s[56:57], v[60:61]
                                        ; implicit-def: $vgpr24
	s_and_saveexec_b64 s[22:23], s[20:21]
	s_xor_b64 s[90:91], exec, s[22:23]
	s_cbranch_execz .LBB6_2113
; %bb.2100:                             ;   in Loop: Header=BB6_1923 Depth=2
	v_and_b32_e32 v60, 0x7fffffff, v3
	v_cmp_gt_u64_e64 s[20:21], s[58:59], v[60:61]
	v_and_b32_sdwa v2, v3, s52 dst_sel:DWORD dst_unused:UNUSED_PAD src0_sel:BYTE_3 src1_sel:DWORD
                                        ; implicit-def: $vgpr24
	s_and_saveexec_b64 s[22:23], s[20:21]
	s_xor_b64 s[92:93], exec, s[22:23]
	s_cbranch_execz .LBB6_2110
; %bb.2101:                             ;   in Loop: Header=BB6_1923 Depth=2
	v_mov_b32_e32 v24, 0
	v_cmp_ne_u32_e64 s[20:21], 0, v3
	s_and_saveexec_b64 s[94:95], s[20:21]
	s_cbranch_execz .LBB6_2109
; %bb.2102:                             ;   in Loop: Header=BB6_1923 Depth=2
	v_and_b32_e32 v22, 0x7fffff, v3
	v_bfe_u32 v3, v3, 23, 8
	v_cmp_gt_u32_e64 s[22:23], s54, v3
	v_sub_u32_e32 v23, 0x79, v3
	v_cmp_eq_u32_e64 s[20:21], 0, v3
	v_cndmask_b32_e64 v23, 0, v23, s[22:23]
	v_mov_b32_e32 v29, 0x78
	v_or_b32_e32 v24, 0x800000, v22
	v_cndmask_b32_e64 v29, v23, v29, s[20:21]
	v_cndmask_b32_e64 v60, v24, v22, s[20:21]
	v_add_u32_e32 v22, 20, v29
	v_lshlrev_b64 v[22:23], v22, -1
	v_add_u32_e32 v24, 19, v29
	v_lshlrev_b64 v[30:31], v24, 1
	v_bfi_b32 v23, v23, 0, 0
	v_bfi_b32 v22, v22, 0, v60
	v_cmp_eq_u64_e64 s[22:23], v[22:23], v[30:31]
	v_lshrrev_b64 v[22:23], v29, v[60:61]
	v_mov_b32_e32 v24, v23
	v_mov_b32_e32 v23, v22
	s_and_saveexec_b64 s[30:31], s[22:23]
; %bb.2103:                             ;   in Loop: Header=BB6_1923 Depth=2
	v_bfe_u32 v23, v22, 20, 1
	v_add_co_u32_e64 v23, s[22:23], v22, v23
	v_add_co_u32_e64 v23, s[22:23], -1, v23
; %bb.2104:                             ;   in Loop: Header=BB6_1923 Depth=2
	s_or_b64 exec, exec, s[30:31]
	v_add_u32_e32 v3, 0xffffff81, v3
	v_mov_b32_e32 v24, 0xffffff82
	v_cndmask_b32_e64 v3, v3, v24, s[20:21]
	v_lshrrev_b32_e32 v24, 23, v22
	v_add3_u32 v29, v29, v3, v24
	v_add_u32_e32 v24, 6, v29
	v_and_b32_e32 v3, 0xfffff, v23
	v_add_u32_e32 v60, v3, v22
	v_cmp_ne_u32_e64 s[20:21], 0, v24
                                        ; implicit-def: $vgpr22_vgpr23
                                        ; implicit-def: $vgpr3
	s_and_saveexec_b64 s[22:23], s[20:21]
	s_xor_b64 s[22:23], exec, s[22:23]
; %bb.2105:                             ;   in Loop: Header=BB6_1923 Depth=2
	v_cmp_lt_u64_e64 s[20:21], s[60:61], v[60:61]
	v_add_u32_e32 v3, 7, v29
	v_cndmask_b32_e64 v22, 0, 1, s[20:21]
	v_cndmask_b32_e64 v3, v24, v3, s[20:21]
	v_lshrrev_b64 v[22:23], v22, v[60:61]
; %bb.2106:                             ;   in Loop: Header=BB6_1923 Depth=2
	s_andn2_saveexec_b64 s[20:21], s[22:23]
; %bb.2107:                             ;   in Loop: Header=BB6_1923 Depth=2
	v_mov_b32_e32 v22, v60
	v_bfe_u32 v3, v60, 23, 1
	v_mov_b32_e32 v23, v61
; %bb.2108:                             ;   in Loop: Header=BB6_1923 Depth=2
	s_or_b64 exec, exec, s[20:21]
	v_lshrrev_b64 v[22:23], 20, v[22:23]
	v_cmp_gt_i32_e64 s[20:21], 16, v3
	v_cndmask_b32_e64 v23, 0, v23, s[20:21]
	v_cndmask_b32_e64 v22, 7, v22, s[20:21]
	v_cmp_eq_u32_e64 s[20:21], 0, v3
	v_min_i32_e32 v3, 15, v3
	v_cmp_eq_u64_e64 s[22:23], 0, v[22:23]
	v_lshlrev_b32_e32 v3, 3, v3
	v_and_b32_e32 v3, 0xf8, v3
	v_and_or_b32 v3, v22, 7, v3
	s_and_b64 s[20:21], s[20:21], s[22:23]
	v_cndmask_b32_e64 v3, v3, 0, s[20:21]
	v_or_b32_e32 v24, v3, v2
.LBB6_2109:                             ;   in Loop: Header=BB6_1923 Depth=2
	s_or_b64 exec, exec, s[94:95]
                                        ; implicit-def: $vgpr2
.LBB6_2110:                             ;   in Loop: Header=BB6_1923 Depth=2
	s_andn2_saveexec_b64 s[20:21], s[92:93]
; %bb.2111:                             ;   in Loop: Header=BB6_1923 Depth=2
	v_or_b32_e32 v24, 0x7e, v2
; %bb.2112:                             ;   in Loop: Header=BB6_1923 Depth=2
	s_or_b64 exec, exec, s[20:21]
                                        ; implicit-def: $vgpr3
.LBB6_2113:                             ;   in Loop: Header=BB6_1923 Depth=2
	s_andn2_saveexec_b64 s[20:21], s[90:91]
; %bb.2114:                             ;   in Loop: Header=BB6_1923 Depth=2
	v_or_b32_sdwa v24, v3, s53 dst_sel:DWORD dst_unused:UNUSED_PAD src0_sel:BYTE_3 src1_sel:DWORD
; %bb.2115:                             ;   in Loop: Header=BB6_1923 Depth=2
	s_or_b64 exec, exec, s[20:21]
	v_cmp_lt_u64_e64 s[20:21], s[62:63], v[14:15]
	v_mov_b32_e32 v2, 0
	s_and_saveexec_b64 s[22:23], s[20:21]
	s_cbranch_execz .LBB6_2121
; %bb.2116:                             ;   in Loop: Header=BB6_1923 Depth=2
	v_lshrrev_b32_e32 v14, 24, v15
	v_cmp_ne_u32_e64 s[20:21], s52, v14
	v_bfrev_b32_e32 v2, 1
	s_and_saveexec_b64 s[90:91], s[20:21]
	s_cbranch_execz .LBB6_2120
; %bb.2117:                             ;   in Loop: Header=BB6_1923 Depth=2
	v_bfe_u32 v3, v15, 24, 7
	v_cmp_ne_u32_e64 s[20:21], s53, v3
	v_mov_b32_e32 v2, 0x7f800001
	s_and_saveexec_b64 s[92:93], s[20:21]
	s_cbranch_execz .LBB6_2119
; %bb.2118:                             ;   in Loop: Header=BB6_1923 Depth=2
	v_and_b32_e32 v15, 7, v14
	v_ffbh_u32_e32 v2, v15
	v_min_u32_e32 v23, 32, v2
	v_subrev_u32_e32 v2, 28, v23
	v_lshrrev_b32_e32 v22, 3, v3
	v_cmp_gt_u32_e64 s[20:21], 8, v3
	v_lshlrev_b64 v[2:3], v2, v[14:15]
	v_sub_u32_e32 v3, 29, v23
	v_and_b32_e32 v2, 7, v2
	v_cndmask_b32_e64 v3, v22, v3, s[20:21]
	v_cndmask_b32_e64 v2, v15, v2, s[20:21]
	v_lshlrev_b32_e32 v14, 24, v14
	v_lshlrev_b32_e32 v2, 20, v2
	v_and_b32_e32 v14, 0x80000000, v14
	v_lshl_add_u32 v3, v3, 23, v62
	v_or3_b32 v2, v14, v3, v2
.LBB6_2119:                             ;   in Loop: Header=BB6_1923 Depth=2
	s_or_b64 exec, exec, s[92:93]
.LBB6_2120:                             ;   in Loop: Header=BB6_1923 Depth=2
	s_or_b64 exec, exec, s[90:91]
.LBB6_2121:                             ;   in Loop: Header=BB6_1923 Depth=2
	s_or_b64 exec, exec, s[22:23]
	v_bfe_u32 v22, v11, 24, 3
	v_ffbh_u32_e32 v14, v22
	v_min_u32_e32 v30, 32, v14
	v_lshrrev_b32_e32 v3, 24, v11
	v_subrev_u32_e32 v14, 28, v30
	v_lshlrev_b64 v[14:15], v14, v[3:4]
	v_bfe_u32 v23, v11, 24, 7
	v_bfe_u32 v29, v3, 3, 4
	v_sub_u32_e32 v15, 29, v30
	v_and_b32_e32 v14, 7, v14
	v_cmp_gt_u32_e64 s[20:21], 8, v23
	v_cndmask_b32_e64 v15, v29, v15, s[20:21]
	v_cndmask_b32_e64 v14, v22, v14, s[20:21]
	v_lshlrev_b32_e32 v14, 20, v14
	v_and_b32_e32 v22, 0x80000000, v11
	v_lshl_add_u32 v15, v15, 23, v62
	v_or3_b32 v14, v22, v15, v14
	v_cmp_ne_u32_e64 s[20:21], s53, v23
	v_cndmask_b32_e64 v14, v41, v14, s[20:21]
	v_cmp_ne_u32_e64 s[20:21], s52, v3
	v_cndmask_b32_e64 v3, v42, v14, s[20:21]
	v_cmp_lt_u64_e64 s[20:21], s[62:63], v[10:11]
                                        ; implicit-def: $vgpr29
	v_cndmask_b32_e64 v3, 0, v3, s[20:21]
	v_add_f32_e32 v3, v3, v2
	v_and_b32_e32 v60, 0x7f800000, v3
	v_cmp_ne_u64_e64 s[20:21], s[56:57], v[60:61]
	s_and_saveexec_b64 s[22:23], s[20:21]
	s_xor_b64 s[90:91], exec, s[22:23]
	s_cbranch_execz .LBB6_2135
; %bb.2122:                             ;   in Loop: Header=BB6_1923 Depth=2
	v_and_b32_e32 v60, 0x7fffffff, v3
	v_cmp_gt_u64_e64 s[20:21], s[58:59], v[60:61]
	v_and_b32_sdwa v2, v3, s52 dst_sel:DWORD dst_unused:UNUSED_PAD src0_sel:BYTE_3 src1_sel:DWORD
                                        ; implicit-def: $vgpr29
	s_and_saveexec_b64 s[22:23], s[20:21]
	s_xor_b64 s[92:93], exec, s[22:23]
	s_cbranch_execz .LBB6_2132
; %bb.2123:                             ;   in Loop: Header=BB6_1923 Depth=2
	v_mov_b32_e32 v29, 0
	v_cmp_ne_u32_e64 s[20:21], 0, v3
	s_and_saveexec_b64 s[94:95], s[20:21]
	s_cbranch_execz .LBB6_2131
; %bb.2124:                             ;   in Loop: Header=BB6_1923 Depth=2
	v_and_b32_e32 v10, 0x7fffff, v3
	v_bfe_u32 v3, v3, 23, 8
	v_cmp_gt_u32_e64 s[22:23], s54, v3
	v_sub_u32_e32 v11, 0x79, v3
	v_cmp_eq_u32_e64 s[20:21], 0, v3
	v_cndmask_b32_e64 v11, 0, v11, s[22:23]
	v_mov_b32_e32 v15, 0x78
	v_or_b32_e32 v14, 0x800000, v10
	v_cndmask_b32_e64 v22, v11, v15, s[20:21]
	v_cndmask_b32_e64 v60, v14, v10, s[20:21]
	v_add_u32_e32 v10, 20, v22
	v_lshlrev_b64 v[10:11], v10, -1
	v_add_u32_e32 v14, 19, v22
	v_lshlrev_b64 v[14:15], v14, 1
	v_bfi_b32 v11, v11, 0, 0
	v_bfi_b32 v10, v10, 0, v60
	v_cmp_eq_u64_e64 s[22:23], v[10:11], v[14:15]
	v_lshrrev_b64 v[10:11], v22, v[60:61]
	v_mov_b32_e32 v15, v11
	v_mov_b32_e32 v14, v10
	s_and_saveexec_b64 s[30:31], s[22:23]
; %bb.2125:                             ;   in Loop: Header=BB6_1923 Depth=2
	v_bfe_u32 v11, v10, 20, 1
	v_add_co_u32_e64 v11, s[22:23], v10, v11
	v_add_co_u32_e64 v14, s[22:23], -1, v11
; %bb.2126:                             ;   in Loop: Header=BB6_1923 Depth=2
	s_or_b64 exec, exec, s[30:31]
	v_add_u32_e32 v3, 0xffffff81, v3
	v_mov_b32_e32 v11, 0xffffff82
	v_cndmask_b32_e64 v3, v3, v11, s[20:21]
	v_lshrrev_b32_e32 v11, 23, v10
	v_add3_u32 v22, v22, v3, v11
	v_add_u32_e32 v15, 6, v22
	v_and_b32_e32 v3, 0xfffff, v14
	v_add_u32_e32 v60, v3, v10
	v_cmp_ne_u32_e64 s[20:21], 0, v15
                                        ; implicit-def: $vgpr10_vgpr11
                                        ; implicit-def: $vgpr3
	s_and_saveexec_b64 s[22:23], s[20:21]
	s_xor_b64 s[22:23], exec, s[22:23]
; %bb.2127:                             ;   in Loop: Header=BB6_1923 Depth=2
	v_cmp_lt_u64_e64 s[20:21], s[60:61], v[60:61]
	v_add_u32_e32 v3, 7, v22
	v_cndmask_b32_e64 v10, 0, 1, s[20:21]
	v_cndmask_b32_e64 v3, v15, v3, s[20:21]
	v_lshrrev_b64 v[10:11], v10, v[60:61]
; %bb.2128:                             ;   in Loop: Header=BB6_1923 Depth=2
	s_andn2_saveexec_b64 s[20:21], s[22:23]
; %bb.2129:                             ;   in Loop: Header=BB6_1923 Depth=2
	v_mov_b32_e32 v10, v60
	v_bfe_u32 v3, v60, 23, 1
	v_mov_b32_e32 v11, v61
; %bb.2130:                             ;   in Loop: Header=BB6_1923 Depth=2
	s_or_b64 exec, exec, s[20:21]
	v_lshrrev_b64 v[10:11], 20, v[10:11]
	v_cmp_gt_i32_e64 s[20:21], 16, v3
	v_cndmask_b32_e64 v11, 0, v11, s[20:21]
	v_cndmask_b32_e64 v10, 7, v10, s[20:21]
	v_cmp_eq_u32_e64 s[20:21], 0, v3
	v_min_i32_e32 v3, 15, v3
	v_cmp_eq_u64_e64 s[22:23], 0, v[10:11]
	v_lshlrev_b32_e32 v3, 3, v3
	v_and_b32_e32 v3, 0xf8, v3
	v_and_or_b32 v3, v10, 7, v3
	s_and_b64 s[20:21], s[20:21], s[22:23]
	v_cndmask_b32_e64 v3, v3, 0, s[20:21]
	v_or_b32_e32 v29, v3, v2
.LBB6_2131:                             ;   in Loop: Header=BB6_1923 Depth=2
	s_or_b64 exec, exec, s[94:95]
                                        ; implicit-def: $vgpr2
.LBB6_2132:                             ;   in Loop: Header=BB6_1923 Depth=2
	s_andn2_saveexec_b64 s[20:21], s[92:93]
; %bb.2133:                             ;   in Loop: Header=BB6_1923 Depth=2
	v_or_b32_e32 v29, 0x7e, v2
; %bb.2134:                             ;   in Loop: Header=BB6_1923 Depth=2
	s_or_b64 exec, exec, s[20:21]
                                        ; implicit-def: $vgpr3
.LBB6_2135:                             ;   in Loop: Header=BB6_1923 Depth=2
	s_andn2_saveexec_b64 s[20:21], s[90:91]
; %bb.2136:                             ;   in Loop: Header=BB6_1923 Depth=2
	v_or_b32_sdwa v29, v3, s53 dst_sel:DWORD dst_unused:UNUSED_PAD src0_sel:BYTE_3 src1_sel:DWORD
; %bb.2137:                             ;   in Loop: Header=BB6_1923 Depth=2
	s_or_b64 exec, exec, s[20:21]
	v_cmp_ne_u16_sdwa s[20:21], v16, v61 src0_sel:BYTE_0 src1_sel:DWORD
	v_mov_b32_e32 v2, 0
	s_and_saveexec_b64 s[22:23], s[20:21]
	s_cbranch_execz .LBB6_2143
; %bb.2138:                             ;   in Loop: Header=BB6_1923 Depth=2
	v_cmp_ne_u16_sdwa s[20:21], v16, s52 src0_sel:BYTE_0 src1_sel:DWORD
	v_bfrev_b32_e32 v2, 1
	s_and_saveexec_b64 s[90:91], s[20:21]
	s_cbranch_execz .LBB6_2142
; %bb.2139:                             ;   in Loop: Header=BB6_1923 Depth=2
	v_and_b32_e32 v3, 0x7f, v16
	v_cmp_ne_u32_e64 s[20:21], s53, v3
	v_mov_b32_e32 v2, 0x7f800001
	s_and_saveexec_b64 s[92:93], s[20:21]
	s_cbranch_execz .LBB6_2141
; %bb.2140:                             ;   in Loop: Header=BB6_1923 Depth=2
	v_and_b32_e32 v2, 7, v16
	v_ffbh_u32_e32 v2, v2
	v_min_u32_e32 v2, 32, v2
	v_lshrrev_b32_e32 v10, 3, v3
	v_cmp_gt_u32_e64 s[20:21], 8, v3
	v_subrev_u32_e32 v3, 28, v2
	v_sub_u32_e32 v2, 29, v2
	v_cndmask_b32_e64 v10, v10, v2, s[20:21]
	v_cndmask_b32_e64 v2, 0, v3, s[20:21]
	v_lshlrev_b64 v[2:3], v2, v[16:17]
	v_lshlrev_b32_e32 v3, 24, v16
	v_lshlrev_b32_e32 v2, 20, v2
	v_and_b32_e32 v2, 0x700000, v2
	v_and_b32_e32 v3, 0x80000000, v3
	v_lshl_add_u32 v10, v10, 23, v62
	v_or3_b32 v2, v3, v10, v2
.LBB6_2141:                             ;   in Loop: Header=BB6_1923 Depth=2
	s_or_b64 exec, exec, s[92:93]
.LBB6_2142:                             ;   in Loop: Header=BB6_1923 Depth=2
	s_or_b64 exec, exec, s[90:91]
.LBB6_2143:                             ;   in Loop: Header=BB6_1923 Depth=2
	s_or_b64 exec, exec, s[22:23]
	v_cmp_gt_i16_sdwa s[22:23], v12, s53 src0_sel:BYTE_0 src1_sel:DWORD
	s_mov_b64 s[20:21], 0
	s_and_saveexec_b64 s[90:91], s[22:23]
	s_xor_b64 s[22:23], exec, s[90:91]
	s_cbranch_execz .LBB6_2361
; %bb.2144:                             ;   in Loop: Header=BB6_1923 Depth=2
	v_cmp_eq_u16_sdwa s[92:93], v12, s52 src0_sel:BYTE_0 src1_sel:DWORD
	s_mov_b64 s[20:21], -1
	s_and_saveexec_b64 s[90:91], s[92:93]
; %bb.2145:                             ;   in Loop: Header=BB6_1923 Depth=2
	s_xor_b64 s[20:21], exec, -1
; %bb.2146:                             ;   in Loop: Header=BB6_1923 Depth=2
	s_or_b64 exec, exec, s[90:91]
	s_and_b64 s[20:21], s[20:21], exec
	s_or_saveexec_b64 s[22:23], s[22:23]
	v_bfrev_b32_e32 v3, 1
	s_xor_b64 exec, exec, s[22:23]
	s_cbranch_execnz .LBB6_2362
.LBB6_2147:                             ;   in Loop: Header=BB6_1923 Depth=2
	s_or_b64 exec, exec, s[22:23]
	s_and_saveexec_b64 s[22:23], s[20:21]
	s_cbranch_execz .LBB6_2149
.LBB6_2148:                             ;   in Loop: Header=BB6_1923 Depth=2
	v_and_b32_e32 v3, 7, v12
	v_ffbh_u32_e32 v3, v3
	v_and_b32_e32 v14, 0x7f, v12
	v_min_u32_e32 v3, 32, v3
	v_bfe_u32 v10, v12, 3, 4
	v_subrev_u32_e32 v11, 28, v3
	v_sub_u32_e32 v3, 29, v3
	v_cmp_gt_u32_e64 s[20:21], 8, v14
	v_cndmask_b32_e64 v3, v10, v3, s[20:21]
	v_cndmask_b32_e64 v10, 0, v11, s[20:21]
	v_lshlrev_b64 v[10:11], v10, v[12:13]
	v_lshlrev_b32_e32 v11, 24, v12
	v_lshlrev_b32_e32 v10, 20, v10
	v_and_b32_e32 v10, 0x700000, v10
	v_and_b32_e32 v11, 0x80000000, v11
	v_lshl_add_u32 v3, v3, 23, v62
	v_or3_b32 v3, v11, v3, v10
	v_cmp_ne_u32_e64 s[20:21], s53, v14
	v_cndmask_b32_e64 v3, v41, v3, s[20:21]
.LBB6_2149:                             ;   in Loop: Header=BB6_1923 Depth=2
	s_or_b64 exec, exec, s[22:23]
	v_add_f32_e32 v3, v2, v3
	v_and_b32_e32 v60, 0x7f800000, v3
	v_cmp_ne_u64_e64 s[20:21], s[56:57], v[60:61]
                                        ; implicit-def: $vgpr30
	s_and_saveexec_b64 s[22:23], s[20:21]
	s_xor_b64 s[90:91], exec, s[22:23]
	s_cbranch_execz .LBB6_2163
; %bb.2150:                             ;   in Loop: Header=BB6_1923 Depth=2
	v_and_b32_e32 v60, 0x7fffffff, v3
	v_cmp_gt_u64_e64 s[20:21], s[58:59], v[60:61]
	v_and_b32_sdwa v2, v3, s52 dst_sel:DWORD dst_unused:UNUSED_PAD src0_sel:BYTE_3 src1_sel:DWORD
                                        ; implicit-def: $vgpr30
	s_and_saveexec_b64 s[22:23], s[20:21]
	s_xor_b64 s[92:93], exec, s[22:23]
	s_cbranch_execz .LBB6_2160
; %bb.2151:                             ;   in Loop: Header=BB6_1923 Depth=2
	v_mov_b32_e32 v30, 0
	v_cmp_ne_u32_e64 s[20:21], 0, v3
	s_and_saveexec_b64 s[94:95], s[20:21]
	s_cbranch_execz .LBB6_2159
; %bb.2152:                             ;   in Loop: Header=BB6_1923 Depth=2
	v_and_b32_e32 v10, 0x7fffff, v3
	v_bfe_u32 v3, v3, 23, 8
	v_cmp_gt_u32_e64 s[22:23], s54, v3
	v_sub_u32_e32 v11, 0x79, v3
	v_cmp_eq_u32_e64 s[20:21], 0, v3
	v_cndmask_b32_e64 v11, 0, v11, s[22:23]
	v_mov_b32_e32 v15, 0x78
	v_or_b32_e32 v14, 0x800000, v10
	v_cndmask_b32_e64 v22, v11, v15, s[20:21]
	v_cndmask_b32_e64 v60, v14, v10, s[20:21]
	v_add_u32_e32 v10, 20, v22
	v_lshlrev_b64 v[10:11], v10, -1
	v_add_u32_e32 v14, 19, v22
	v_lshlrev_b64 v[14:15], v14, 1
	v_bfi_b32 v11, v11, 0, 0
	v_bfi_b32 v10, v10, 0, v60
	v_cmp_eq_u64_e64 s[22:23], v[10:11], v[14:15]
	v_lshrrev_b64 v[10:11], v22, v[60:61]
	v_mov_b32_e32 v15, v11
	v_mov_b32_e32 v14, v10
	s_and_saveexec_b64 s[30:31], s[22:23]
; %bb.2153:                             ;   in Loop: Header=BB6_1923 Depth=2
	v_bfe_u32 v11, v10, 20, 1
	v_add_co_u32_e64 v11, s[22:23], v10, v11
	v_add_co_u32_e64 v14, s[22:23], -1, v11
; %bb.2154:                             ;   in Loop: Header=BB6_1923 Depth=2
	s_or_b64 exec, exec, s[30:31]
	v_add_u32_e32 v3, 0xffffff81, v3
	v_mov_b32_e32 v11, 0xffffff82
	v_cndmask_b32_e64 v3, v3, v11, s[20:21]
	v_lshrrev_b32_e32 v11, 23, v10
	v_add3_u32 v22, v22, v3, v11
	v_add_u32_e32 v15, 6, v22
	v_and_b32_e32 v3, 0xfffff, v14
	v_add_u32_e32 v60, v3, v10
	v_cmp_ne_u32_e64 s[20:21], 0, v15
                                        ; implicit-def: $vgpr10_vgpr11
                                        ; implicit-def: $vgpr3
	s_and_saveexec_b64 s[22:23], s[20:21]
	s_xor_b64 s[22:23], exec, s[22:23]
; %bb.2155:                             ;   in Loop: Header=BB6_1923 Depth=2
	v_cmp_lt_u64_e64 s[20:21], s[60:61], v[60:61]
	v_add_u32_e32 v3, 7, v22
	v_cndmask_b32_e64 v10, 0, 1, s[20:21]
	v_cndmask_b32_e64 v3, v15, v3, s[20:21]
	v_lshrrev_b64 v[10:11], v10, v[60:61]
; %bb.2156:                             ;   in Loop: Header=BB6_1923 Depth=2
	s_andn2_saveexec_b64 s[20:21], s[22:23]
; %bb.2157:                             ;   in Loop: Header=BB6_1923 Depth=2
	v_mov_b32_e32 v10, v60
	v_bfe_u32 v3, v60, 23, 1
	v_mov_b32_e32 v11, v61
; %bb.2158:                             ;   in Loop: Header=BB6_1923 Depth=2
	s_or_b64 exec, exec, s[20:21]
	v_lshrrev_b64 v[10:11], 20, v[10:11]
	v_cmp_gt_i32_e64 s[20:21], 16, v3
	v_cndmask_b32_e64 v11, 0, v11, s[20:21]
	v_cndmask_b32_e64 v10, 7, v10, s[20:21]
	v_cmp_eq_u32_e64 s[20:21], 0, v3
	v_min_i32_e32 v3, 15, v3
	v_cmp_eq_u64_e64 s[22:23], 0, v[10:11]
	v_lshlrev_b32_e32 v3, 3, v3
	v_and_b32_e32 v3, 0xf8, v3
	v_and_or_b32 v3, v10, 7, v3
	s_and_b64 s[20:21], s[20:21], s[22:23]
	v_cndmask_b32_e64 v3, v3, 0, s[20:21]
	v_or_b32_e32 v30, v3, v2
.LBB6_2159:                             ;   in Loop: Header=BB6_1923 Depth=2
	s_or_b64 exec, exec, s[94:95]
                                        ; implicit-def: $vgpr2
.LBB6_2160:                             ;   in Loop: Header=BB6_1923 Depth=2
	s_andn2_saveexec_b64 s[20:21], s[92:93]
; %bb.2161:                             ;   in Loop: Header=BB6_1923 Depth=2
	v_or_b32_e32 v30, 0x7e, v2
; %bb.2162:                             ;   in Loop: Header=BB6_1923 Depth=2
	s_or_b64 exec, exec, s[20:21]
                                        ; implicit-def: $vgpr3
.LBB6_2163:                             ;   in Loop: Header=BB6_1923 Depth=2
	s_andn2_saveexec_b64 s[20:21], s[90:91]
; %bb.2164:                             ;   in Loop: Header=BB6_1923 Depth=2
	v_or_b32_sdwa v30, v3, s53 dst_sel:DWORD dst_unused:UNUSED_PAD src0_sel:BYTE_3 src1_sel:DWORD
; %bb.2165:                             ;   in Loop: Header=BB6_1923 Depth=2
	s_or_b64 exec, exec, s[20:21]
	v_lshrrev_b16_e32 v10, 8, v16
	v_cmp_ne_u16_e64 s[20:21], 0, v10
	v_mov_b32_e32 v2, 0
	s_and_saveexec_b64 s[22:23], s[20:21]
	s_cbranch_execz .LBB6_2171
; %bb.2166:                             ;   in Loop: Header=BB6_1923 Depth=2
	v_cmp_ne_u16_e64 s[20:21], s52, v10
	v_bfrev_b32_e32 v2, 1
	s_and_saveexec_b64 s[90:91], s[20:21]
	s_cbranch_execz .LBB6_2170
; %bb.2167:                             ;   in Loop: Header=BB6_1923 Depth=2
	v_and_b32_e32 v3, 0x7f, v10
	v_cmp_ne_u32_e64 s[20:21], s53, v3
	v_mov_b32_e32 v2, 0x7f800001
	s_and_saveexec_b64 s[92:93], s[20:21]
	s_cbranch_execz .LBB6_2169
; %bb.2168:                             ;   in Loop: Header=BB6_1923 Depth=2
	v_and_b32_e32 v11, 7, v10
	v_ffbh_u32_e32 v2, v11
	v_min_u32_e32 v15, 32, v2
	v_subrev_u32_e32 v2, 28, v15
	v_lshrrev_b32_e32 v14, 3, v3
	v_cmp_gt_u32_e64 s[20:21], 8, v3
	v_lshlrev_b64 v[2:3], v2, v[10:11]
	v_sub_u32_e32 v3, 29, v15
	v_and_b32_e32 v2, 7, v2
	v_cndmask_b32_e64 v3, v14, v3, s[20:21]
	v_cndmask_b32_e64 v2, v11, v2, s[20:21]
	v_lshlrev_b32_e32 v10, 16, v16
	v_lshlrev_b32_e32 v2, 20, v2
	v_and_b32_e32 v10, 0x80000000, v10
	v_lshl_add_u32 v3, v3, 23, v62
	v_or3_b32 v2, v10, v3, v2
.LBB6_2169:                             ;   in Loop: Header=BB6_1923 Depth=2
	s_or_b64 exec, exec, s[92:93]
.LBB6_2170:                             ;   in Loop: Header=BB6_1923 Depth=2
	s_or_b64 exec, exec, s[90:91]
.LBB6_2171:                             ;   in Loop: Header=BB6_1923 Depth=2
	s_or_b64 exec, exec, s[22:23]
	v_lshrrev_b16_e32 v60, 8, v12
	v_cmp_lt_i16_e64 s[20:21], s53, v60
	s_mov_b64 s[22:23], 0
	s_and_saveexec_b64 s[90:91], s[20:21]
	s_xor_b64 s[90:91], exec, s[90:91]
	s_cbranch_execz .LBB6_2363
; %bb.2172:                             ;   in Loop: Header=BB6_1923 Depth=2
	v_cmp_eq_u16_e64 s[20:21], s52, v60
	s_mov_b64 s[22:23], -1
	s_and_saveexec_b64 s[92:93], s[20:21]
; %bb.2173:                             ;   in Loop: Header=BB6_1923 Depth=2
	s_xor_b64 s[22:23], exec, -1
; %bb.2174:                             ;   in Loop: Header=BB6_1923 Depth=2
	s_or_b64 exec, exec, s[92:93]
	s_and_b64 s[22:23], s[22:23], exec
	s_or_saveexec_b64 s[90:91], s[90:91]
	v_bfrev_b32_e32 v3, 1
	s_xor_b64 exec, exec, s[90:91]
	s_cbranch_execnz .LBB6_2364
.LBB6_2175:                             ;   in Loop: Header=BB6_1923 Depth=2
	s_or_b64 exec, exec, s[90:91]
	s_and_saveexec_b64 s[90:91], s[22:23]
	s_cbranch_execz .LBB6_2177
.LBB6_2176:                             ;   in Loop: Header=BB6_1923 Depth=2
	v_and_b32_e32 v3, 7, v60
	v_ffbh_u32_e32 v10, v3
	v_min_u32_e32 v22, 32, v10
	v_subrev_u32_e32 v10, 28, v22
	v_lshlrev_b64 v[10:11], v10, v[60:61]
	v_and_b32_e32 v14, 0x7f, v60
	v_bfe_u32 v15, v60, 3, 4
	v_sub_u32_e32 v11, 29, v22
	v_and_b32_e32 v10, 7, v10
	v_cmp_gt_u32_e64 s[20:21], 8, v14
	v_cndmask_b32_e64 v11, v15, v11, s[20:21]
	v_cndmask_b32_e64 v3, v3, v10, s[20:21]
	v_lshlrev_b32_e32 v10, 24, v60
	v_lshlrev_b32_e32 v3, 20, v3
	v_and_b32_e32 v10, 0x80000000, v10
	v_lshl_add_u32 v11, v11, 23, v62
	v_or3_b32 v3, v10, v11, v3
	v_cmp_ne_u32_e64 s[20:21], s53, v14
	v_cndmask_b32_e64 v3, v41, v3, s[20:21]
.LBB6_2177:                             ;   in Loop: Header=BB6_1923 Depth=2
	s_or_b64 exec, exec, s[90:91]
	v_add_f32_e32 v3, v2, v3
	v_and_b32_e32 v60, 0x7f800000, v3
	v_cmp_ne_u64_e64 s[20:21], s[56:57], v[60:61]
                                        ; implicit-def: $vgpr31
	s_and_saveexec_b64 s[22:23], s[20:21]
	s_xor_b64 s[90:91], exec, s[22:23]
	s_cbranch_execz .LBB6_2191
; %bb.2178:                             ;   in Loop: Header=BB6_1923 Depth=2
	v_and_b32_e32 v60, 0x7fffffff, v3
	v_cmp_gt_u64_e64 s[20:21], s[58:59], v[60:61]
	v_and_b32_sdwa v2, v3, s52 dst_sel:DWORD dst_unused:UNUSED_PAD src0_sel:BYTE_3 src1_sel:DWORD
                                        ; implicit-def: $vgpr31
	s_and_saveexec_b64 s[22:23], s[20:21]
	s_xor_b64 s[92:93], exec, s[22:23]
	s_cbranch_execz .LBB6_2188
; %bb.2179:                             ;   in Loop: Header=BB6_1923 Depth=2
	v_mov_b32_e32 v31, 0
	v_cmp_ne_u32_e64 s[20:21], 0, v3
	s_and_saveexec_b64 s[94:95], s[20:21]
	s_cbranch_execz .LBB6_2187
; %bb.2180:                             ;   in Loop: Header=BB6_1923 Depth=2
	v_and_b32_e32 v10, 0x7fffff, v3
	v_bfe_u32 v3, v3, 23, 8
	v_cmp_gt_u32_e64 s[22:23], s54, v3
	v_sub_u32_e32 v11, 0x79, v3
	v_cmp_eq_u32_e64 s[20:21], 0, v3
	v_cndmask_b32_e64 v11, 0, v11, s[22:23]
	v_mov_b32_e32 v15, 0x78
	v_or_b32_e32 v14, 0x800000, v10
	v_cndmask_b32_e64 v22, v11, v15, s[20:21]
	v_cndmask_b32_e64 v60, v14, v10, s[20:21]
	v_add_u32_e32 v10, 20, v22
	v_lshlrev_b64 v[10:11], v10, -1
	v_add_u32_e32 v14, 19, v22
	v_lshlrev_b64 v[14:15], v14, 1
	v_bfi_b32 v11, v11, 0, 0
	v_bfi_b32 v10, v10, 0, v60
	v_cmp_eq_u64_e64 s[22:23], v[10:11], v[14:15]
	v_lshrrev_b64 v[10:11], v22, v[60:61]
	v_mov_b32_e32 v15, v11
	v_mov_b32_e32 v14, v10
	s_and_saveexec_b64 s[30:31], s[22:23]
; %bb.2181:                             ;   in Loop: Header=BB6_1923 Depth=2
	v_bfe_u32 v11, v10, 20, 1
	v_add_co_u32_e64 v11, s[22:23], v10, v11
	v_add_co_u32_e64 v14, s[22:23], -1, v11
; %bb.2182:                             ;   in Loop: Header=BB6_1923 Depth=2
	s_or_b64 exec, exec, s[30:31]
	v_add_u32_e32 v3, 0xffffff81, v3
	v_mov_b32_e32 v11, 0xffffff82
	v_cndmask_b32_e64 v3, v3, v11, s[20:21]
	v_lshrrev_b32_e32 v11, 23, v10
	v_add3_u32 v22, v22, v3, v11
	v_add_u32_e32 v15, 6, v22
	v_and_b32_e32 v3, 0xfffff, v14
	v_add_u32_e32 v60, v3, v10
	v_cmp_ne_u32_e64 s[20:21], 0, v15
                                        ; implicit-def: $vgpr10_vgpr11
                                        ; implicit-def: $vgpr3
	s_and_saveexec_b64 s[22:23], s[20:21]
	s_xor_b64 s[22:23], exec, s[22:23]
; %bb.2183:                             ;   in Loop: Header=BB6_1923 Depth=2
	v_cmp_lt_u64_e64 s[20:21], s[60:61], v[60:61]
	v_add_u32_e32 v3, 7, v22
	v_cndmask_b32_e64 v10, 0, 1, s[20:21]
	v_cndmask_b32_e64 v3, v15, v3, s[20:21]
	v_lshrrev_b64 v[10:11], v10, v[60:61]
; %bb.2184:                             ;   in Loop: Header=BB6_1923 Depth=2
	s_andn2_saveexec_b64 s[20:21], s[22:23]
; %bb.2185:                             ;   in Loop: Header=BB6_1923 Depth=2
	v_mov_b32_e32 v10, v60
	v_bfe_u32 v3, v60, 23, 1
	v_mov_b32_e32 v11, v61
; %bb.2186:                             ;   in Loop: Header=BB6_1923 Depth=2
	s_or_b64 exec, exec, s[20:21]
	v_lshrrev_b64 v[10:11], 20, v[10:11]
	v_cmp_gt_i32_e64 s[20:21], 16, v3
	v_cndmask_b32_e64 v11, 0, v11, s[20:21]
	v_cndmask_b32_e64 v10, 7, v10, s[20:21]
	v_cmp_eq_u32_e64 s[20:21], 0, v3
	v_min_i32_e32 v3, 15, v3
	v_cmp_eq_u64_e64 s[22:23], 0, v[10:11]
	v_lshlrev_b32_e32 v3, 3, v3
	v_and_b32_e32 v3, 0xf8, v3
	v_and_or_b32 v3, v10, 7, v3
	s_and_b64 s[20:21], s[20:21], s[22:23]
	v_cndmask_b32_e64 v3, v3, 0, s[20:21]
	v_or_b32_e32 v31, v3, v2
.LBB6_2187:                             ;   in Loop: Header=BB6_1923 Depth=2
	s_or_b64 exec, exec, s[94:95]
                                        ; implicit-def: $vgpr2
.LBB6_2188:                             ;   in Loop: Header=BB6_1923 Depth=2
	s_andn2_saveexec_b64 s[20:21], s[92:93]
; %bb.2189:                             ;   in Loop: Header=BB6_1923 Depth=2
	v_or_b32_e32 v31, 0x7e, v2
; %bb.2190:                             ;   in Loop: Header=BB6_1923 Depth=2
	s_or_b64 exec, exec, s[20:21]
                                        ; implicit-def: $vgpr3
.LBB6_2191:                             ;   in Loop: Header=BB6_1923 Depth=2
	s_andn2_saveexec_b64 s[20:21], s[90:91]
; %bb.2192:                             ;   in Loop: Header=BB6_1923 Depth=2
	v_or_b32_sdwa v31, v3, s53 dst_sel:DWORD dst_unused:UNUSED_PAD src0_sel:BYTE_3 src1_sel:DWORD
; %bb.2193:                             ;   in Loop: Header=BB6_1923 Depth=2
	s_or_b64 exec, exec, s[20:21]
	v_lshrrev_b32_e32 v10, 16, v16
	v_cmp_ne_u16_sdwa s[20:21], v10, v61 src0_sel:BYTE_0 src1_sel:DWORD
	v_mov_b32_e32 v2, 0
	s_and_saveexec_b64 s[22:23], s[20:21]
	s_cbranch_execz .LBB6_2199
; %bb.2194:                             ;   in Loop: Header=BB6_1923 Depth=2
	v_cmp_ne_u16_sdwa s[20:21], v10, s52 src0_sel:BYTE_0 src1_sel:DWORD
	v_bfrev_b32_e32 v2, 1
	s_and_saveexec_b64 s[90:91], s[20:21]
	s_cbranch_execz .LBB6_2198
; %bb.2195:                             ;   in Loop: Header=BB6_1923 Depth=2
	v_bfe_u32 v3, v16, 16, 7
	v_cmp_ne_u32_e64 s[20:21], s53, v3
	v_mov_b32_e32 v2, 0x7f800001
	s_and_saveexec_b64 s[92:93], s[20:21]
	s_cbranch_execz .LBB6_2197
; %bb.2196:                             ;   in Loop: Header=BB6_1923 Depth=2
	v_and_b32_e32 v11, 7, v10
	v_ffbh_u32_e32 v2, v11
	v_min_u32_e32 v15, 32, v2
	v_subrev_u32_e32 v2, 28, v15
	v_lshrrev_b32_e32 v14, 3, v3
	v_cmp_gt_u32_e64 s[20:21], 8, v3
	v_lshlrev_b64 v[2:3], v2, v[10:11]
	v_sub_u32_e32 v3, 29, v15
	v_and_b32_e32 v2, 7, v2
	v_cndmask_b32_e64 v3, v14, v3, s[20:21]
	v_cndmask_b32_e64 v2, v11, v2, s[20:21]
	v_lshlrev_b32_e32 v10, 24, v10
	v_lshlrev_b32_e32 v2, 20, v2
	v_and_b32_e32 v10, 0x80000000, v10
	v_lshl_add_u32 v3, v3, 23, v62
	v_or3_b32 v2, v10, v3, v2
.LBB6_2197:                             ;   in Loop: Header=BB6_1923 Depth=2
	s_or_b64 exec, exec, s[92:93]
.LBB6_2198:                             ;   in Loop: Header=BB6_1923 Depth=2
	s_or_b64 exec, exec, s[90:91]
.LBB6_2199:                             ;   in Loop: Header=BB6_1923 Depth=2
	s_or_b64 exec, exec, s[22:23]
	v_lshrrev_b32_e32 v10, 16, v12
	v_cmp_gt_i16_sdwa s[22:23], v10, s53 src0_sel:BYTE_0 src1_sel:DWORD
	s_mov_b64 s[20:21], 0
	s_and_saveexec_b64 s[90:91], s[22:23]
	s_xor_b64 s[22:23], exec, s[90:91]
	s_cbranch_execz .LBB6_2365
; %bb.2200:                             ;   in Loop: Header=BB6_1923 Depth=2
	v_cmp_eq_u16_sdwa s[92:93], v10, s52 src0_sel:BYTE_0 src1_sel:DWORD
	s_mov_b64 s[20:21], -1
	s_and_saveexec_b64 s[90:91], s[92:93]
; %bb.2201:                             ;   in Loop: Header=BB6_1923 Depth=2
	s_xor_b64 s[20:21], exec, -1
; %bb.2202:                             ;   in Loop: Header=BB6_1923 Depth=2
	s_or_b64 exec, exec, s[90:91]
	s_and_b64 s[20:21], s[20:21], exec
	s_or_saveexec_b64 s[22:23], s[22:23]
	v_bfrev_b32_e32 v3, 1
	s_xor_b64 exec, exec, s[22:23]
	s_cbranch_execnz .LBB6_2366
.LBB6_2203:                             ;   in Loop: Header=BB6_1923 Depth=2
	s_or_b64 exec, exec, s[22:23]
	s_and_saveexec_b64 s[22:23], s[20:21]
	s_cbranch_execz .LBB6_2205
.LBB6_2204:                             ;   in Loop: Header=BB6_1923 Depth=2
	v_and_b32_e32 v3, 7, v10
	v_ffbh_u32_e32 v14, v3
	v_min_u32_e32 v23, 32, v14
	v_and_b32_e32 v11, 0x7f, v10
	v_subrev_u32_e32 v14, 28, v23
	v_lshlrev_b64 v[14:15], v14, v[10:11]
	v_bfe_u32 v22, v10, 3, 4
	v_sub_u32_e32 v15, 29, v23
	v_and_b32_e32 v14, 7, v14
	v_cmp_gt_u32_e64 s[20:21], 8, v11
	v_cndmask_b32_e64 v15, v22, v15, s[20:21]
	v_cndmask_b32_e64 v3, v3, v14, s[20:21]
	v_lshlrev_b32_e32 v10, 24, v10
	v_lshlrev_b32_e32 v3, 20, v3
	v_and_b32_e32 v10, 0x80000000, v10
	v_lshl_add_u32 v14, v15, 23, v62
	v_or3_b32 v3, v10, v14, v3
	v_cmp_ne_u32_e64 s[20:21], s53, v11
	v_cndmask_b32_e64 v3, v41, v3, s[20:21]
.LBB6_2205:                             ;   in Loop: Header=BB6_1923 Depth=2
	s_or_b64 exec, exec, s[22:23]
	v_add_f32_e32 v10, v2, v3
	v_and_b32_e32 v60, 0x7f800000, v10
	v_cmp_ne_u64_e64 s[20:21], s[56:57], v[60:61]
                                        ; implicit-def: $vgpr2
	s_and_saveexec_b64 s[22:23], s[20:21]
	s_xor_b64 s[90:91], exec, s[22:23]
	s_cbranch_execz .LBB6_2219
; %bb.2206:                             ;   in Loop: Header=BB6_1923 Depth=2
	v_and_b32_e32 v60, 0x7fffffff, v10
	v_cmp_gt_u64_e64 s[20:21], s[58:59], v[60:61]
	v_and_b32_sdwa v3, v10, s52 dst_sel:DWORD dst_unused:UNUSED_PAD src0_sel:BYTE_3 src1_sel:DWORD
                                        ; implicit-def: $vgpr2
	s_and_saveexec_b64 s[22:23], s[20:21]
	s_xor_b64 s[92:93], exec, s[22:23]
	s_cbranch_execz .LBB6_2216
; %bb.2207:                             ;   in Loop: Header=BB6_1923 Depth=2
	v_mov_b32_e32 v2, 0
	v_cmp_ne_u32_e64 s[20:21], 0, v10
	s_and_saveexec_b64 s[94:95], s[20:21]
	s_cbranch_execz .LBB6_2215
; %bb.2208:                             ;   in Loop: Header=BB6_1923 Depth=2
	v_bfe_u32 v2, v10, 23, 8
	v_and_b32_e32 v11, 0x7fffff, v10
	v_cmp_gt_u32_e64 s[22:23], s54, v2
	v_sub_u32_e32 v10, 0x79, v2
	v_cmp_eq_u32_e64 s[20:21], 0, v2
	v_cndmask_b32_e64 v10, 0, v10, s[22:23]
	v_mov_b32_e32 v15, 0x78
	v_cndmask_b32_e64 v22, v10, v15, s[20:21]
	v_or_b32_e32 v14, 0x800000, v11
	v_add_u32_e32 v10, 20, v22
	v_cndmask_b32_e64 v60, v14, v11, s[20:21]
	v_lshlrev_b64 v[10:11], v10, -1
	v_add_u32_e32 v14, 19, v22
	v_lshlrev_b64 v[14:15], v14, 1
	v_bfi_b32 v11, v11, 0, 0
	v_bfi_b32 v10, v10, 0, v60
	v_cmp_eq_u64_e64 s[22:23], v[10:11], v[14:15]
	v_lshrrev_b64 v[10:11], v22, v[60:61]
	v_mov_b32_e32 v15, v11
	v_mov_b32_e32 v14, v10
	s_and_saveexec_b64 s[30:31], s[22:23]
; %bb.2209:                             ;   in Loop: Header=BB6_1923 Depth=2
	v_bfe_u32 v11, v10, 20, 1
	v_add_co_u32_e64 v11, s[22:23], v10, v11
	v_add_co_u32_e64 v14, s[22:23], -1, v11
; %bb.2210:                             ;   in Loop: Header=BB6_1923 Depth=2
	s_or_b64 exec, exec, s[30:31]
	v_add_u32_e32 v2, 0xffffff81, v2
	v_mov_b32_e32 v11, 0xffffff82
	v_cndmask_b32_e64 v2, v2, v11, s[20:21]
	v_lshrrev_b32_e32 v11, 23, v10
	v_add3_u32 v22, v22, v2, v11
	v_add_u32_e32 v15, 6, v22
	v_and_b32_e32 v2, 0xfffff, v14
	v_add_u32_e32 v60, v2, v10
	v_cmp_ne_u32_e64 s[20:21], 0, v15
                                        ; implicit-def: $vgpr10_vgpr11
                                        ; implicit-def: $vgpr2
	s_and_saveexec_b64 s[22:23], s[20:21]
	s_xor_b64 s[22:23], exec, s[22:23]
; %bb.2211:                             ;   in Loop: Header=BB6_1923 Depth=2
	v_cmp_lt_u64_e64 s[20:21], s[60:61], v[60:61]
	v_add_u32_e32 v2, 7, v22
	v_cndmask_b32_e64 v10, 0, 1, s[20:21]
	v_cndmask_b32_e64 v2, v15, v2, s[20:21]
	v_lshrrev_b64 v[10:11], v10, v[60:61]
; %bb.2212:                             ;   in Loop: Header=BB6_1923 Depth=2
	s_andn2_saveexec_b64 s[20:21], s[22:23]
; %bb.2213:                             ;   in Loop: Header=BB6_1923 Depth=2
	v_mov_b32_e32 v10, v60
	v_bfe_u32 v2, v60, 23, 1
	v_mov_b32_e32 v11, v61
; %bb.2214:                             ;   in Loop: Header=BB6_1923 Depth=2
	s_or_b64 exec, exec, s[20:21]
	v_lshrrev_b64 v[10:11], 20, v[10:11]
	v_cmp_gt_i32_e64 s[20:21], 16, v2
	v_cndmask_b32_e64 v11, 0, v11, s[20:21]
	v_cndmask_b32_e64 v10, 7, v10, s[20:21]
	v_cmp_eq_u32_e64 s[20:21], 0, v2
	v_min_i32_e32 v2, 15, v2
	v_cmp_eq_u64_e64 s[22:23], 0, v[10:11]
	v_lshlrev_b32_e32 v2, 3, v2
	v_and_b32_e32 v2, 0xf8, v2
	v_and_or_b32 v2, v10, 7, v2
	s_and_b64 s[20:21], s[20:21], s[22:23]
	v_cndmask_b32_e64 v2, v2, 0, s[20:21]
	v_or_b32_e32 v2, v2, v3
.LBB6_2215:                             ;   in Loop: Header=BB6_1923 Depth=2
	s_or_b64 exec, exec, s[94:95]
                                        ; implicit-def: $vgpr3
.LBB6_2216:                             ;   in Loop: Header=BB6_1923 Depth=2
	s_andn2_saveexec_b64 s[20:21], s[92:93]
; %bb.2217:                             ;   in Loop: Header=BB6_1923 Depth=2
	v_or_b32_e32 v2, 0x7e, v3
; %bb.2218:                             ;   in Loop: Header=BB6_1923 Depth=2
	s_or_b64 exec, exec, s[20:21]
                                        ; implicit-def: $vgpr10
.LBB6_2219:                             ;   in Loop: Header=BB6_1923 Depth=2
	s_andn2_saveexec_b64 s[20:21], s[90:91]
; %bb.2220:                             ;   in Loop: Header=BB6_1923 Depth=2
	v_or_b32_sdwa v2, v10, s53 dst_sel:DWORD dst_unused:UNUSED_PAD src0_sel:BYTE_3 src1_sel:DWORD
; %bb.2221:                             ;   in Loop: Header=BB6_1923 Depth=2
	s_or_b64 exec, exec, s[20:21]
	v_cmp_lt_u32_e64 s[20:21], s63, v16
	v_mov_b32_e32 v3, 0
	s_and_saveexec_b64 s[22:23], s[20:21]
	s_cbranch_execz .LBB6_2227
; %bb.2222:                             ;   in Loop: Header=BB6_1923 Depth=2
	v_lshrrev_b32_e32 v10, 24, v16
	v_cmp_ne_u32_e64 s[20:21], s52, v10
	v_bfrev_b32_e32 v3, 1
	s_and_saveexec_b64 s[90:91], s[20:21]
	s_cbranch_execz .LBB6_2226
; %bb.2223:                             ;   in Loop: Header=BB6_1923 Depth=2
	v_bfe_u32 v11, v16, 24, 7
	v_cmp_ne_u32_e64 s[20:21], s53, v11
	v_mov_b32_e32 v3, 0x7f800001
	s_and_saveexec_b64 s[92:93], s[20:21]
	s_cbranch_execz .LBB6_2225
; %bb.2224:                             ;   in Loop: Header=BB6_1923 Depth=2
	v_and_b32_e32 v3, 7, v10
	v_lshrrev_b32_e32 v22, 3, v11
	v_cmp_gt_u32_e64 s[20:21], 8, v11
	v_ffbh_u32_e32 v11, v3
	v_min_u32_e32 v11, 32, v11
	v_subrev_u32_e32 v14, 28, v11
	v_lshlrev_b64 v[14:15], v14, v[10:11]
	v_sub_u32_e32 v11, 29, v11
	v_and_b32_e32 v14, 7, v14
	v_cndmask_b32_e64 v11, v22, v11, s[20:21]
	v_cndmask_b32_e64 v3, v3, v14, s[20:21]
	v_lshlrev_b32_e32 v10, 24, v10
	v_lshlrev_b32_e32 v3, 20, v3
	v_and_b32_e32 v10, 0x80000000, v10
	v_lshl_add_u32 v11, v11, 23, v62
	v_or3_b32 v3, v10, v11, v3
.LBB6_2225:                             ;   in Loop: Header=BB6_1923 Depth=2
	s_or_b64 exec, exec, s[92:93]
.LBB6_2226:                             ;   in Loop: Header=BB6_1923 Depth=2
	s_or_b64 exec, exec, s[90:91]
.LBB6_2227:                             ;   in Loop: Header=BB6_1923 Depth=2
	s_or_b64 exec, exec, s[22:23]
	v_bfe_u32 v11, v12, 24, 3
	v_ffbh_u32_e32 v14, v11
	v_min_u32_e32 v32, 32, v14
	v_lshrrev_b32_e32 v10, 24, v12
	v_subrev_u32_e32 v14, 28, v32
	v_lshlrev_b64 v[14:15], v14, v[10:11]
	v_bfe_u32 v22, v12, 24, 7
	v_bfe_u32 v23, v10, 3, 4
	v_sub_u32_e32 v15, 29, v32
	v_and_b32_e32 v14, 7, v14
	v_cmp_gt_u32_e64 s[20:21], 8, v22
	v_cndmask_b32_e64 v15, v23, v15, s[20:21]
	v_cndmask_b32_e64 v11, v11, v14, s[20:21]
	v_lshlrev_b32_e32 v11, 20, v11
	v_and_b32_e32 v14, 0x80000000, v12
	v_lshl_add_u32 v15, v15, 23, v62
	v_or3_b32 v11, v14, v15, v11
	v_cmp_ne_u32_e64 s[20:21], s53, v22
	v_cndmask_b32_e64 v11, v41, v11, s[20:21]
	v_cmp_ne_u32_e64 s[20:21], s52, v10
	v_cndmask_b32_e64 v10, v42, v11, s[20:21]
	v_cmp_lt_u32_e64 s[20:21], s63, v12
	v_cndmask_b32_e64 v10, 0, v10, s[20:21]
	v_add_f32_e32 v10, v10, v3
	v_and_b32_e32 v60, 0x7f800000, v10
	v_cmp_ne_u64_e64 s[20:21], s[56:57], v[60:61]
                                        ; implicit-def: $vgpr3
	s_and_saveexec_b64 s[22:23], s[20:21]
	s_xor_b64 s[90:91], exec, s[22:23]
	s_cbranch_execz .LBB6_2241
; %bb.2228:                             ;   in Loop: Header=BB6_1923 Depth=2
	v_and_b32_e32 v60, 0x7fffffff, v10
	v_cmp_gt_u64_e64 s[20:21], s[58:59], v[60:61]
	v_and_b32_sdwa v22, v10, s52 dst_sel:DWORD dst_unused:UNUSED_PAD src0_sel:BYTE_3 src1_sel:DWORD
                                        ; implicit-def: $vgpr3
	s_and_saveexec_b64 s[22:23], s[20:21]
	s_xor_b64 s[92:93], exec, s[22:23]
	s_cbranch_execz .LBB6_2238
; %bb.2229:                             ;   in Loop: Header=BB6_1923 Depth=2
	v_mov_b32_e32 v3, 0
	v_cmp_ne_u32_e64 s[20:21], 0, v10
	s_and_saveexec_b64 s[94:95], s[20:21]
	s_cbranch_execz .LBB6_2237
; %bb.2230:                             ;   in Loop: Header=BB6_1923 Depth=2
	v_bfe_u32 v3, v10, 23, 8
	v_and_b32_e32 v11, 0x7fffff, v10
	v_cmp_gt_u32_e64 s[22:23], s54, v3
	v_sub_u32_e32 v10, 0x79, v3
	v_cmp_eq_u32_e64 s[20:21], 0, v3
	v_cndmask_b32_e64 v10, 0, v10, s[22:23]
	v_mov_b32_e32 v15, 0x78
	v_cndmask_b32_e64 v23, v10, v15, s[20:21]
	v_or_b32_e32 v14, 0x800000, v11
	v_add_u32_e32 v10, 20, v23
	v_cndmask_b32_e64 v60, v14, v11, s[20:21]
	v_lshlrev_b64 v[10:11], v10, -1
	v_add_u32_e32 v14, 19, v23
	v_lshlrev_b64 v[14:15], v14, 1
	v_bfi_b32 v11, v11, 0, 0
	v_bfi_b32 v10, v10, 0, v60
	v_cmp_eq_u64_e64 s[22:23], v[10:11], v[14:15]
	v_lshrrev_b64 v[10:11], v23, v[60:61]
	v_mov_b32_e32 v15, v11
	v_mov_b32_e32 v14, v10
	s_and_saveexec_b64 s[30:31], s[22:23]
; %bb.2231:                             ;   in Loop: Header=BB6_1923 Depth=2
	v_bfe_u32 v11, v10, 20, 1
	v_add_co_u32_e64 v11, s[22:23], v10, v11
	v_add_co_u32_e64 v14, s[22:23], -1, v11
; %bb.2232:                             ;   in Loop: Header=BB6_1923 Depth=2
	s_or_b64 exec, exec, s[30:31]
	v_add_u32_e32 v3, 0xffffff81, v3
	v_mov_b32_e32 v11, 0xffffff82
	v_cndmask_b32_e64 v3, v3, v11, s[20:21]
	v_lshrrev_b32_e32 v11, 23, v10
	v_add3_u32 v23, v23, v3, v11
	v_add_u32_e32 v15, 6, v23
	v_and_b32_e32 v3, 0xfffff, v14
	v_add_u32_e32 v60, v3, v10
	v_cmp_ne_u32_e64 s[20:21], 0, v15
                                        ; implicit-def: $vgpr10_vgpr11
                                        ; implicit-def: $vgpr3
	s_and_saveexec_b64 s[22:23], s[20:21]
	s_xor_b64 s[22:23], exec, s[22:23]
; %bb.2233:                             ;   in Loop: Header=BB6_1923 Depth=2
	v_cmp_lt_u64_e64 s[20:21], s[60:61], v[60:61]
	v_add_u32_e32 v3, 7, v23
	v_cndmask_b32_e64 v10, 0, 1, s[20:21]
	v_cndmask_b32_e64 v3, v15, v3, s[20:21]
	v_lshrrev_b64 v[10:11], v10, v[60:61]
; %bb.2234:                             ;   in Loop: Header=BB6_1923 Depth=2
	s_andn2_saveexec_b64 s[20:21], s[22:23]
; %bb.2235:                             ;   in Loop: Header=BB6_1923 Depth=2
	v_mov_b32_e32 v10, v60
	v_bfe_u32 v3, v60, 23, 1
	v_mov_b32_e32 v11, v61
; %bb.2236:                             ;   in Loop: Header=BB6_1923 Depth=2
	s_or_b64 exec, exec, s[20:21]
	v_lshrrev_b64 v[10:11], 20, v[10:11]
	v_cmp_gt_i32_e64 s[20:21], 16, v3
	v_cndmask_b32_e64 v11, 0, v11, s[20:21]
	v_cndmask_b32_e64 v10, 7, v10, s[20:21]
	v_cmp_eq_u32_e64 s[20:21], 0, v3
	v_min_i32_e32 v3, 15, v3
	v_cmp_eq_u64_e64 s[22:23], 0, v[10:11]
	v_lshlrev_b32_e32 v3, 3, v3
	v_and_b32_e32 v3, 0xf8, v3
	v_and_or_b32 v3, v10, 7, v3
	s_and_b64 s[20:21], s[20:21], s[22:23]
	v_cndmask_b32_e64 v3, v3, 0, s[20:21]
	v_or_b32_e32 v3, v3, v22
.LBB6_2237:                             ;   in Loop: Header=BB6_1923 Depth=2
	s_or_b64 exec, exec, s[94:95]
                                        ; implicit-def: $vgpr22
.LBB6_2238:                             ;   in Loop: Header=BB6_1923 Depth=2
	s_andn2_saveexec_b64 s[20:21], s[92:93]
; %bb.2239:                             ;   in Loop: Header=BB6_1923 Depth=2
	v_or_b32_e32 v3, 0x7e, v22
; %bb.2240:                             ;   in Loop: Header=BB6_1923 Depth=2
	s_or_b64 exec, exec, s[20:21]
                                        ; implicit-def: $vgpr10
.LBB6_2241:                             ;   in Loop: Header=BB6_1923 Depth=2
	s_andn2_saveexec_b64 s[20:21], s[90:91]
; %bb.2242:                             ;   in Loop: Header=BB6_1923 Depth=2
	v_or_b32_sdwa v3, v10, s53 dst_sel:DWORD dst_unused:UNUSED_PAD src0_sel:BYTE_3 src1_sel:DWORD
; %bb.2243:                             ;   in Loop: Header=BB6_1923 Depth=2
	s_or_b64 exec, exec, s[20:21]
	v_mov_b32_e32 v60, v17
	v_cmp_ne_u16_sdwa s[20:21], v17, v61 src0_sel:BYTE_0 src1_sel:DWORD
	v_mov_b32_e32 v14, 0
	s_and_saveexec_b64 s[22:23], s[20:21]
	s_cbranch_execz .LBB6_2249
; %bb.2244:                             ;   in Loop: Header=BB6_1923 Depth=2
	v_cmp_ne_u16_sdwa s[20:21], v17, s52 src0_sel:BYTE_0 src1_sel:DWORD
	v_bfrev_b32_e32 v14, 1
	s_and_saveexec_b64 s[90:91], s[20:21]
	s_cbranch_execz .LBB6_2248
; %bb.2245:                             ;   in Loop: Header=BB6_1923 Depth=2
	v_and_b32_e32 v10, 0x7f, v17
	v_cmp_ne_u32_e64 s[20:21], s53, v10
	v_mov_b32_e32 v14, 0x7f800001
	s_and_saveexec_b64 s[92:93], s[20:21]
	s_cbranch_execz .LBB6_2247
; %bb.2246:                             ;   in Loop: Header=BB6_1923 Depth=2
	v_and_b32_e32 v11, 7, v17
	v_lshrrev_b32_e32 v14, 3, v10
	v_cmp_gt_u32_e64 s[20:21], 8, v10
	v_ffbh_u32_e32 v10, v11
	v_min_u32_e32 v10, 32, v10
	v_subrev_u32_e32 v11, 28, v10
	v_sub_u32_e32 v10, 29, v10
	v_cndmask_b32_e64 v14, v14, v10, s[20:21]
	v_cndmask_b32_e64 v10, 0, v11, s[20:21]
	v_lshlrev_b64 v[10:11], v10, v[60:61]
	v_lshlrev_b32_e32 v11, 24, v60
	v_lshlrev_b32_e32 v10, 20, v10
	v_and_b32_e32 v10, 0x700000, v10
	v_and_b32_e32 v11, 0x80000000, v11
	v_lshl_add_u32 v14, v14, 23, v62
	v_or3_b32 v14, v11, v14, v10
.LBB6_2247:                             ;   in Loop: Header=BB6_1923 Depth=2
	s_or_b64 exec, exec, s[92:93]
.LBB6_2248:                             ;   in Loop: Header=BB6_1923 Depth=2
	s_or_b64 exec, exec, s[90:91]
.LBB6_2249:                             ;   in Loop: Header=BB6_1923 Depth=2
	s_or_b64 exec, exec, s[22:23]
	v_cmp_gt_i16_sdwa s[22:23], v13, s53 src0_sel:BYTE_0 src1_sel:DWORD
	s_mov_b64 s[20:21], 0
	s_and_saveexec_b64 s[90:91], s[22:23]
	s_xor_b64 s[22:23], exec, s[90:91]
	s_cbranch_execz .LBB6_2253
; %bb.2250:                             ;   in Loop: Header=BB6_1923 Depth=2
	v_cmp_eq_u16_sdwa s[92:93], v13, s52 src0_sel:BYTE_0 src1_sel:DWORD
	s_mov_b64 s[20:21], -1
	s_and_saveexec_b64 s[90:91], s[92:93]
; %bb.2251:                             ;   in Loop: Header=BB6_1923 Depth=2
	s_xor_b64 s[20:21], exec, -1
; %bb.2252:                             ;   in Loop: Header=BB6_1923 Depth=2
	s_or_b64 exec, exec, s[90:91]
	s_and_b64 s[20:21], s[20:21], exec
.LBB6_2253:                             ;   in Loop: Header=BB6_1923 Depth=2
	s_or_saveexec_b64 s[22:23], s[22:23]
	v_bfrev_b32_e32 v15, 1
	s_xor_b64 exec, exec, s[22:23]
; %bb.2254:                             ;   in Loop: Header=BB6_1923 Depth=2
	v_cmp_ne_u16_sdwa s[90:91], v13, v61 src0_sel:BYTE_0 src1_sel:DWORD
	s_andn2_b64 s[20:21], s[20:21], exec
	s_and_b64 s[90:91], s[90:91], exec
	v_mov_b32_e32 v15, 0
	s_or_b64 s[20:21], s[20:21], s[90:91]
; %bb.2255:                             ;   in Loop: Header=BB6_1923 Depth=2
	s_or_b64 exec, exec, s[22:23]
	v_mov_b32_e32 v10, v13
	v_mov_b32_e32 v11, v61
	s_and_saveexec_b64 s[22:23], s[20:21]
	s_cbranch_execz .LBB6_2257
; %bb.2256:                             ;   in Loop: Header=BB6_1923 Depth=2
	v_and_b32_e32 v15, 7, v13
	v_ffbh_u32_e32 v15, v15
	v_and_b32_e32 v32, 0x7f, v13
	v_min_u32_e32 v15, 32, v15
	v_bfe_u32 v22, v13, 3, 4
	v_subrev_u32_e32 v23, 28, v15
	v_sub_u32_e32 v15, 29, v15
	v_cmp_gt_u32_e64 s[20:21], 8, v32
	v_cndmask_b32_e64 v15, v22, v15, s[20:21]
	v_cndmask_b32_e64 v22, 0, v23, s[20:21]
	v_lshlrev_b64 v[22:23], v22, v[10:11]
	v_lshl_add_u32 v15, v15, 23, v62
	v_lshlrev_b32_e32 v11, 20, v22
	v_lshlrev_b32_e32 v22, 24, v10
	v_and_b32_e32 v11, 0x700000, v11
	v_and_b32_e32 v22, 0x80000000, v22
	v_or3_b32 v11, v22, v15, v11
	v_cmp_ne_u32_e64 s[20:21], s53, v32
	v_cndmask_b32_e64 v15, v41, v11, s[20:21]
.LBB6_2257:                             ;   in Loop: Header=BB6_1923 Depth=2
	s_or_b64 exec, exec, s[22:23]
	v_add_f32_e32 v14, v14, v15
	v_and_b32_e32 v22, 0x7f800000, v14
	v_mov_b32_e32 v23, v61
	v_cmp_ne_u64_e64 s[20:21], s[56:57], v[22:23]
                                        ; implicit-def: $vgpr22
	s_and_saveexec_b64 s[22:23], s[20:21]
	s_xor_b64 s[90:91], exec, s[22:23]
	s_cbranch_execz .LBB6_2271
; %bb.2258:                             ;   in Loop: Header=BB6_1923 Depth=2
	v_and_b32_e32 v22, 0x7fffffff, v14
	v_mov_b32_e32 v23, v61
	v_cmp_gt_u64_e64 s[20:21], s[58:59], v[22:23]
	v_and_b32_sdwa v11, v14, s52 dst_sel:DWORD dst_unused:UNUSED_PAD src0_sel:BYTE_3 src1_sel:DWORD
                                        ; implicit-def: $vgpr22
	s_and_saveexec_b64 s[22:23], s[20:21]
	s_xor_b64 s[92:93], exec, s[22:23]
	s_cbranch_execz .LBB6_2268
; %bb.2259:                             ;   in Loop: Header=BB6_1923 Depth=2
	v_mov_b32_e32 v22, 0
	v_cmp_ne_u32_e64 s[20:21], 0, v14
	s_and_saveexec_b64 s[94:95], s[20:21]
	s_cbranch_execz .LBB6_2267
; %bb.2260:                             ;   in Loop: Header=BB6_1923 Depth=2
	v_bfe_u32 v32, v14, 23, 8
	v_and_b32_e32 v15, 0x7fffff, v14
	v_cmp_gt_u32_e64 s[22:23], s54, v32
	v_sub_u32_e32 v14, 0x79, v32
	v_cmp_eq_u32_e64 s[20:21], 0, v32
	v_cndmask_b32_e64 v14, 0, v14, s[22:23]
	v_mov_b32_e32 v23, 0x78
	v_or_b32_e32 v22, 0x800000, v15
	v_cndmask_b32_e64 v33, v14, v23, s[20:21]
	v_cndmask_b32_e64 v14, v22, v15, s[20:21]
	v_add_u32_e32 v22, 20, v33
	v_lshlrev_b64 v[22:23], v22, -1
	v_mov_b32_e32 v15, v61
	v_add_u32_e32 v34, 19, v33
	v_bfi_b32 v22, v22, 0, v14
	v_lshlrev_b64 v[34:35], v34, 1
	v_lshrrev_b64 v[14:15], v33, v[14:15]
	v_bfi_b32 v23, v23, 0, 0
	v_cmp_eq_u64_e64 s[22:23], v[22:23], v[34:35]
	v_mov_b32_e32 v23, v15
	v_mov_b32_e32 v22, v14
	s_and_saveexec_b64 s[30:31], s[22:23]
; %bb.2261:                             ;   in Loop: Header=BB6_1923 Depth=2
	v_bfe_u32 v15, v14, 20, 1
	v_add_co_u32_e64 v15, s[22:23], v14, v15
	v_add_co_u32_e64 v22, s[22:23], -1, v15
; %bb.2262:                             ;   in Loop: Header=BB6_1923 Depth=2
	s_or_b64 exec, exec, s[30:31]
	v_add_u32_e32 v15, 0xffffff81, v32
	v_mov_b32_e32 v23, 0xffffff82
	v_cndmask_b32_e64 v15, v15, v23, s[20:21]
	v_lshrrev_b32_e32 v23, 23, v14
	v_add3_u32 v32, v33, v15, v23
	v_add_u32_e32 v23, 6, v32
	v_and_b32_e32 v15, 0xfffff, v22
	v_add_u32_e32 v14, v15, v14
	v_mov_b32_e32 v15, v61
	v_cmp_ne_u32_e64 s[20:21], 0, v23
                                        ; implicit-def: $vgpr22
	s_and_saveexec_b64 s[22:23], s[20:21]
	s_xor_b64 s[22:23], exec, s[22:23]
; %bb.2263:                             ;   in Loop: Header=BB6_1923 Depth=2
	v_cmp_lt_u64_e64 s[20:21], s[60:61], v[14:15]
	v_add_u32_e32 v22, 7, v32
	v_cndmask_b32_e64 v22, v23, v22, s[20:21]
	v_cndmask_b32_e64 v23, 0, 1, s[20:21]
	v_lshrrev_b64 v[14:15], v23, v[14:15]
; %bb.2264:                             ;   in Loop: Header=BB6_1923 Depth=2
	s_andn2_saveexec_b64 s[20:21], s[22:23]
; %bb.2265:                             ;   in Loop: Header=BB6_1923 Depth=2
	v_bfe_u32 v22, v14, 23, 1
; %bb.2266:                             ;   in Loop: Header=BB6_1923 Depth=2
	s_or_b64 exec, exec, s[20:21]
	v_lshrrev_b64 v[14:15], 20, v[14:15]
	v_cmp_gt_i32_e64 s[20:21], 16, v22
	v_cndmask_b32_e64 v15, 0, v15, s[20:21]
	v_cndmask_b32_e64 v14, 7, v14, s[20:21]
	v_cmp_eq_u64_e64 s[22:23], 0, v[14:15]
	v_min_i32_e32 v15, 15, v22
	v_lshlrev_b32_e32 v15, 3, v15
	v_cmp_eq_u32_e64 s[20:21], 0, v22
	v_and_b32_e32 v15, 0xf8, v15
	v_and_or_b32 v14, v14, 7, v15
	s_and_b64 s[20:21], s[20:21], s[22:23]
	v_cndmask_b32_e64 v14, v14, 0, s[20:21]
	v_or_b32_e32 v22, v14, v11
.LBB6_2267:                             ;   in Loop: Header=BB6_1923 Depth=2
	s_or_b64 exec, exec, s[94:95]
                                        ; implicit-def: $vgpr11
.LBB6_2268:                             ;   in Loop: Header=BB6_1923 Depth=2
	s_andn2_saveexec_b64 s[20:21], s[92:93]
; %bb.2269:                             ;   in Loop: Header=BB6_1923 Depth=2
	v_or_b32_e32 v22, 0x7e, v11
; %bb.2270:                             ;   in Loop: Header=BB6_1923 Depth=2
	s_or_b64 exec, exec, s[20:21]
                                        ; implicit-def: $vgpr14
.LBB6_2271:                             ;   in Loop: Header=BB6_1923 Depth=2
	s_andn2_saveexec_b64 s[20:21], s[90:91]
; %bb.2272:                             ;   in Loop: Header=BB6_1923 Depth=2
	v_or_b32_sdwa v22, v14, s53 dst_sel:DWORD dst_unused:UNUSED_PAD src0_sel:BYTE_3 src1_sel:DWORD
; %bb.2273:                             ;   in Loop: Header=BB6_1923 Depth=2
	s_or_b64 exec, exec, s[20:21]
	v_lshrrev_b16_e32 v11, 8, v60
	v_cmp_ne_u16_e64 s[20:21], 0, v11
	v_mov_b32_e32 v14, 0
	s_and_saveexec_b64 s[22:23], s[20:21]
	s_cbranch_execz .LBB6_2279
; %bb.2274:                             ;   in Loop: Header=BB6_1923 Depth=2
	v_cmp_ne_u16_e64 s[20:21], s52, v11
	v_bfrev_b32_e32 v14, 1
	s_and_saveexec_b64 s[90:91], s[20:21]
	s_cbranch_execz .LBB6_2278
; %bb.2275:                             ;   in Loop: Header=BB6_1923 Depth=2
	v_and_b32_e32 v15, 0x7f, v11
	v_cmp_ne_u32_e64 s[20:21], s53, v15
	v_mov_b32_e32 v14, 0x7f800001
	s_and_saveexec_b64 s[92:93], s[20:21]
	s_cbranch_execz .LBB6_2277
; %bb.2276:                             ;   in Loop: Header=BB6_1923 Depth=2
	v_and_b32_e32 v23, 7, v11
	v_ffbh_u32_e32 v14, v23
	v_min_u32_e32 v33, 32, v14
	v_subrev_u32_e32 v14, 28, v33
	v_lshrrev_b32_e32 v32, 3, v15
	v_cmp_gt_u32_e64 s[20:21], 8, v15
	v_lshlrev_b64 v[14:15], v14, v[11:12]
	v_sub_u32_e32 v11, 29, v33
	v_and_b32_e32 v14, 7, v14
	v_cndmask_b32_e64 v11, v32, v11, s[20:21]
	v_cndmask_b32_e64 v14, v23, v14, s[20:21]
	v_lshlrev_b32_e32 v15, 16, v60
	v_lshlrev_b32_e32 v14, 20, v14
	v_and_b32_e32 v15, 0x80000000, v15
	v_lshl_add_u32 v11, v11, 23, v62
	v_or3_b32 v14, v15, v11, v14
.LBB6_2277:                             ;   in Loop: Header=BB6_1923 Depth=2
	s_or_b64 exec, exec, s[92:93]
.LBB6_2278:                             ;   in Loop: Header=BB6_1923 Depth=2
	s_or_b64 exec, exec, s[90:91]
.LBB6_2279:                             ;   in Loop: Header=BB6_1923 Depth=2
	s_or_b64 exec, exec, s[22:23]
	v_lshrrev_b16_e32 v60, 8, v10
	v_cmp_lt_i16_e64 s[20:21], s53, v60
	s_mov_b64 s[22:23], 0
	s_and_saveexec_b64 s[90:91], s[20:21]
	s_xor_b64 s[90:91], exec, s[90:91]
	s_cbranch_execz .LBB6_2367
; %bb.2280:                             ;   in Loop: Header=BB6_1923 Depth=2
	v_cmp_eq_u16_e64 s[20:21], s52, v60
	s_mov_b64 s[22:23], -1
	s_and_saveexec_b64 s[92:93], s[20:21]
; %bb.2281:                             ;   in Loop: Header=BB6_1923 Depth=2
	s_xor_b64 s[22:23], exec, -1
; %bb.2282:                             ;   in Loop: Header=BB6_1923 Depth=2
	s_or_b64 exec, exec, s[92:93]
	s_and_b64 s[22:23], s[22:23], exec
	s_or_saveexec_b64 s[90:91], s[90:91]
	v_bfrev_b32_e32 v10, 1
	s_xor_b64 exec, exec, s[90:91]
	s_cbranch_execnz .LBB6_2368
.LBB6_2283:                             ;   in Loop: Header=BB6_1923 Depth=2
	s_or_b64 exec, exec, s[90:91]
	s_and_saveexec_b64 s[90:91], s[22:23]
	s_cbranch_execz .LBB6_2285
.LBB6_2284:                             ;   in Loop: Header=BB6_1923 Depth=2
	v_and_b32_e32 v15, 7, v60
	v_ffbh_u32_e32 v10, v15
	v_min_u32_e32 v33, 32, v10
	v_subrev_u32_e32 v10, 28, v33
	v_lshlrev_b64 v[10:11], v10, v[60:61]
	v_and_b32_e32 v23, 0x7f, v60
	v_bfe_u32 v32, v60, 3, 4
	v_sub_u32_e32 v11, 29, v33
	v_and_b32_e32 v10, 7, v10
	v_cmp_gt_u32_e64 s[20:21], 8, v23
	v_cndmask_b32_e64 v11, v32, v11, s[20:21]
	v_cndmask_b32_e64 v10, v15, v10, s[20:21]
	v_lshlrev_b32_e32 v15, 24, v60
	v_lshlrev_b32_e32 v10, 20, v10
	v_and_b32_e32 v15, 0x80000000, v15
	v_lshl_add_u32 v11, v11, 23, v62
	v_or3_b32 v10, v15, v11, v10
	v_cmp_ne_u32_e64 s[20:21], s53, v23
	v_cndmask_b32_e64 v10, v41, v10, s[20:21]
.LBB6_2285:                             ;   in Loop: Header=BB6_1923 Depth=2
	s_or_b64 exec, exec, s[90:91]
	v_add_f32_e32 v10, v14, v10
	v_and_b32_e32 v60, 0x7f800000, v10
	v_cmp_ne_u64_e64 s[20:21], s[56:57], v[60:61]
                                        ; implicit-def: $vgpr23
	s_and_saveexec_b64 s[22:23], s[20:21]
	s_xor_b64 s[90:91], exec, s[22:23]
	s_cbranch_execz .LBB6_2299
; %bb.2286:                             ;   in Loop: Header=BB6_1923 Depth=2
	v_and_b32_e32 v60, 0x7fffffff, v10
	v_cmp_gt_u64_e64 s[20:21], s[58:59], v[60:61]
	v_and_b32_sdwa v32, v10, s52 dst_sel:DWORD dst_unused:UNUSED_PAD src0_sel:BYTE_3 src1_sel:DWORD
                                        ; implicit-def: $vgpr23
	s_and_saveexec_b64 s[22:23], s[20:21]
	s_xor_b64 s[92:93], exec, s[22:23]
	s_cbranch_execz .LBB6_2296
; %bb.2287:                             ;   in Loop: Header=BB6_1923 Depth=2
	v_mov_b32_e32 v23, 0
	v_cmp_ne_u32_e64 s[20:21], 0, v10
	s_and_saveexec_b64 s[94:95], s[20:21]
	s_cbranch_execz .LBB6_2295
; %bb.2288:                             ;   in Loop: Header=BB6_1923 Depth=2
	v_bfe_u32 v23, v10, 23, 8
	v_and_b32_e32 v11, 0x7fffff, v10
	v_cmp_gt_u32_e64 s[22:23], s54, v23
	v_sub_u32_e32 v10, 0x79, v23
	v_cmp_eq_u32_e64 s[20:21], 0, v23
	v_cndmask_b32_e64 v10, 0, v10, s[22:23]
	v_mov_b32_e32 v15, 0x78
	v_cndmask_b32_e64 v33, v10, v15, s[20:21]
	v_or_b32_e32 v14, 0x800000, v11
	v_add_u32_e32 v10, 20, v33
	v_cndmask_b32_e64 v60, v14, v11, s[20:21]
	v_lshlrev_b64 v[10:11], v10, -1
	v_add_u32_e32 v14, 19, v33
	v_lshlrev_b64 v[14:15], v14, 1
	v_bfi_b32 v11, v11, 0, 0
	v_bfi_b32 v10, v10, 0, v60
	v_cmp_eq_u64_e64 s[22:23], v[10:11], v[14:15]
	v_lshrrev_b64 v[10:11], v33, v[60:61]
	v_mov_b32_e32 v15, v11
	v_mov_b32_e32 v14, v10
	s_and_saveexec_b64 s[30:31], s[22:23]
; %bb.2289:                             ;   in Loop: Header=BB6_1923 Depth=2
	v_bfe_u32 v11, v10, 20, 1
	v_add_co_u32_e64 v11, s[22:23], v10, v11
	v_add_co_u32_e64 v14, s[22:23], -1, v11
; %bb.2290:                             ;   in Loop: Header=BB6_1923 Depth=2
	s_or_b64 exec, exec, s[30:31]
	v_add_u32_e32 v11, 0xffffff81, v23
	v_mov_b32_e32 v15, 0xffffff82
	v_cndmask_b32_e64 v11, v11, v15, s[20:21]
	v_lshrrev_b32_e32 v15, 23, v10
	v_add3_u32 v23, v33, v11, v15
	v_add_u32_e32 v15, 6, v23
	v_and_b32_e32 v11, 0xfffff, v14
	v_add_u32_e32 v60, v11, v10
	v_cmp_ne_u32_e64 s[20:21], 0, v15
                                        ; implicit-def: $vgpr10_vgpr11
                                        ; implicit-def: $vgpr14
	s_and_saveexec_b64 s[22:23], s[20:21]
	s_xor_b64 s[22:23], exec, s[22:23]
; %bb.2291:                             ;   in Loop: Header=BB6_1923 Depth=2
	v_cmp_lt_u64_e64 s[20:21], s[60:61], v[60:61]
	v_add_u32_e32 v10, 7, v23
	v_cndmask_b32_e64 v14, v15, v10, s[20:21]
	v_cndmask_b32_e64 v10, 0, 1, s[20:21]
	v_lshrrev_b64 v[10:11], v10, v[60:61]
; %bb.2292:                             ;   in Loop: Header=BB6_1923 Depth=2
	s_andn2_saveexec_b64 s[20:21], s[22:23]
; %bb.2293:                             ;   in Loop: Header=BB6_1923 Depth=2
	v_mov_b32_e32 v10, v60
	v_bfe_u32 v14, v60, 23, 1
	v_mov_b32_e32 v11, v61
; %bb.2294:                             ;   in Loop: Header=BB6_1923 Depth=2
	s_or_b64 exec, exec, s[20:21]
	v_lshrrev_b64 v[10:11], 20, v[10:11]
	v_cmp_gt_i32_e64 s[20:21], 16, v14
	v_cndmask_b32_e64 v11, 0, v11, s[20:21]
	v_cndmask_b32_e64 v10, 7, v10, s[20:21]
	v_cmp_eq_u64_e64 s[22:23], 0, v[10:11]
	v_min_i32_e32 v11, 15, v14
	v_lshlrev_b32_e32 v11, 3, v11
	v_cmp_eq_u32_e64 s[20:21], 0, v14
	v_and_b32_e32 v11, 0xf8, v11
	v_and_or_b32 v10, v10, 7, v11
	s_and_b64 s[20:21], s[20:21], s[22:23]
	v_cndmask_b32_e64 v10, v10, 0, s[20:21]
	v_or_b32_e32 v23, v10, v32
.LBB6_2295:                             ;   in Loop: Header=BB6_1923 Depth=2
	s_or_b64 exec, exec, s[94:95]
                                        ; implicit-def: $vgpr32
.LBB6_2296:                             ;   in Loop: Header=BB6_1923 Depth=2
	s_andn2_saveexec_b64 s[20:21], s[92:93]
; %bb.2297:                             ;   in Loop: Header=BB6_1923 Depth=2
	v_or_b32_e32 v23, 0x7e, v32
; %bb.2298:                             ;   in Loop: Header=BB6_1923 Depth=2
	s_or_b64 exec, exec, s[20:21]
                                        ; implicit-def: $vgpr10
.LBB6_2299:                             ;   in Loop: Header=BB6_1923 Depth=2
	s_andn2_saveexec_b64 s[20:21], s[90:91]
; %bb.2300:                             ;   in Loop: Header=BB6_1923 Depth=2
	v_or_b32_sdwa v23, v10, s53 dst_sel:DWORD dst_unused:UNUSED_PAD src0_sel:BYTE_3 src1_sel:DWORD
; %bb.2301:                             ;   in Loop: Header=BB6_1923 Depth=2
	s_or_b64 exec, exec, s[20:21]
	v_lshrrev_b32_e32 v10, 16, v17
	v_cmp_ne_u16_sdwa s[20:21], v10, v61 src0_sel:BYTE_0 src1_sel:DWORD
	v_mov_b32_e32 v11, 0
	s_and_saveexec_b64 s[22:23], s[20:21]
	s_cbranch_execz .LBB6_2307
; %bb.2302:                             ;   in Loop: Header=BB6_1923 Depth=2
	v_cmp_ne_u16_sdwa s[20:21], v10, s52 src0_sel:BYTE_0 src1_sel:DWORD
	v_bfrev_b32_e32 v11, 1
	s_and_saveexec_b64 s[90:91], s[20:21]
	s_cbranch_execz .LBB6_2306
; %bb.2303:                             ;   in Loop: Header=BB6_1923 Depth=2
	v_bfe_u32 v14, v17, 16, 7
	v_cmp_ne_u32_e64 s[20:21], s53, v14
	v_mov_b32_e32 v11, 0x7f800001
	s_and_saveexec_b64 s[92:93], s[20:21]
	s_cbranch_execz .LBB6_2305
; %bb.2304:                             ;   in Loop: Header=BB6_1923 Depth=2
	v_and_b32_e32 v11, 7, v10
	v_lshrrev_b32_e32 v32, 3, v14
	v_cmp_gt_u32_e64 s[20:21], 8, v14
	v_ffbh_u32_e32 v14, v11
	v_min_u32_e32 v33, 32, v14
	v_subrev_u32_e32 v14, 28, v33
	v_lshlrev_b64 v[14:15], v14, v[10:11]
	v_sub_u32_e32 v15, 29, v33
	v_and_b32_e32 v14, 7, v14
	v_cndmask_b32_e64 v15, v32, v15, s[20:21]
	v_cndmask_b32_e64 v11, v11, v14, s[20:21]
	v_lshlrev_b32_e32 v10, 24, v10
	v_lshlrev_b32_e32 v11, 20, v11
	v_and_b32_e32 v10, 0x80000000, v10
	v_lshl_add_u32 v14, v15, 23, v62
	v_or3_b32 v11, v10, v14, v11
.LBB6_2305:                             ;   in Loop: Header=BB6_1923 Depth=2
	s_or_b64 exec, exec, s[92:93]
.LBB6_2306:                             ;   in Loop: Header=BB6_1923 Depth=2
	s_or_b64 exec, exec, s[90:91]
.LBB6_2307:                             ;   in Loop: Header=BB6_1923 Depth=2
	s_or_b64 exec, exec, s[22:23]
	v_lshrrev_b32_e32 v10, 16, v13
	v_cmp_gt_i16_sdwa s[22:23], v10, s53 src0_sel:BYTE_0 src1_sel:DWORD
	s_mov_b64 s[20:21], 0
	s_and_saveexec_b64 s[90:91], s[22:23]
	s_xor_b64 s[22:23], exec, s[90:91]
	s_cbranch_execz .LBB6_2369
; %bb.2308:                             ;   in Loop: Header=BB6_1923 Depth=2
	v_cmp_eq_u16_sdwa s[92:93], v10, s52 src0_sel:BYTE_0 src1_sel:DWORD
	s_mov_b64 s[20:21], -1
	s_and_saveexec_b64 s[90:91], s[92:93]
; %bb.2309:                             ;   in Loop: Header=BB6_1923 Depth=2
	s_xor_b64 s[20:21], exec, -1
; %bb.2310:                             ;   in Loop: Header=BB6_1923 Depth=2
	s_or_b64 exec, exec, s[90:91]
	s_and_b64 s[20:21], s[20:21], exec
	s_or_saveexec_b64 s[22:23], s[22:23]
	v_bfrev_b32_e32 v14, 1
	s_xor_b64 exec, exec, s[22:23]
	s_cbranch_execnz .LBB6_2370
.LBB6_2311:                             ;   in Loop: Header=BB6_1923 Depth=2
	s_or_b64 exec, exec, s[22:23]
	s_and_saveexec_b64 s[22:23], s[20:21]
	s_cbranch_execz .LBB6_2313
.LBB6_2312:                             ;   in Loop: Header=BB6_1923 Depth=2
	v_and_b32_e32 v32, 7, v10
	v_ffbh_u32_e32 v14, v32
	v_min_u32_e32 v35, 32, v14
	v_subrev_u32_e32 v14, 28, v35
	v_lshlrev_b64 v[14:15], v14, v[10:11]
	v_and_b32_e32 v33, 0x7f, v10
	v_bfe_u32 v34, v10, 3, 4
	v_sub_u32_e32 v15, 29, v35
	v_and_b32_e32 v14, 7, v14
	v_cmp_gt_u32_e64 s[20:21], 8, v33
	v_cndmask_b32_e64 v15, v34, v15, s[20:21]
	v_cndmask_b32_e64 v14, v32, v14, s[20:21]
	v_lshlrev_b32_e32 v10, 24, v10
	v_lshlrev_b32_e32 v14, 20, v14
	v_and_b32_e32 v10, 0x80000000, v10
	v_lshl_add_u32 v15, v15, 23, v62
	v_or3_b32 v10, v10, v15, v14
	v_cmp_ne_u32_e64 s[20:21], s53, v33
	v_cndmask_b32_e64 v14, v41, v10, s[20:21]
.LBB6_2313:                             ;   in Loop: Header=BB6_1923 Depth=2
	s_or_b64 exec, exec, s[22:23]
	v_add_f32_e32 v10, v11, v14
	v_and_b32_e32 v60, 0x7f800000, v10
	v_cmp_ne_u64_e64 s[20:21], s[56:57], v[60:61]
                                        ; implicit-def: $vgpr14
	s_and_saveexec_b64 s[22:23], s[20:21]
	s_xor_b64 s[90:91], exec, s[22:23]
	s_cbranch_execz .LBB6_2327
; %bb.2314:                             ;   in Loop: Header=BB6_1923 Depth=2
	v_and_b32_e32 v60, 0x7fffffff, v10
	v_cmp_gt_u64_e64 s[20:21], s[58:59], v[60:61]
	v_and_b32_sdwa v32, v10, s52 dst_sel:DWORD dst_unused:UNUSED_PAD src0_sel:BYTE_3 src1_sel:DWORD
                                        ; implicit-def: $vgpr14
	s_and_saveexec_b64 s[22:23], s[20:21]
	s_xor_b64 s[92:93], exec, s[22:23]
	s_cbranch_execz .LBB6_2324
; %bb.2315:                             ;   in Loop: Header=BB6_1923 Depth=2
	v_mov_b32_e32 v14, 0
	v_cmp_ne_u32_e64 s[20:21], 0, v10
	s_and_saveexec_b64 s[94:95], s[20:21]
	s_cbranch_execz .LBB6_2323
; %bb.2316:                             ;   in Loop: Header=BB6_1923 Depth=2
	v_bfe_u32 v33, v10, 23, 8
	v_and_b32_e32 v11, 0x7fffff, v10
	v_cmp_gt_u32_e64 s[22:23], s54, v33
	v_sub_u32_e32 v10, 0x79, v33
	v_cmp_eq_u32_e64 s[20:21], 0, v33
	v_cndmask_b32_e64 v10, 0, v10, s[22:23]
	v_mov_b32_e32 v15, 0x78
	v_cndmask_b32_e64 v34, v10, v15, s[20:21]
	v_or_b32_e32 v14, 0x800000, v11
	v_add_u32_e32 v10, 20, v34
	v_cndmask_b32_e64 v60, v14, v11, s[20:21]
	v_lshlrev_b64 v[10:11], v10, -1
	v_add_u32_e32 v14, 19, v34
	v_lshlrev_b64 v[14:15], v14, 1
	v_bfi_b32 v11, v11, 0, 0
	v_bfi_b32 v10, v10, 0, v60
	v_cmp_eq_u64_e64 s[22:23], v[10:11], v[14:15]
	v_lshrrev_b64 v[10:11], v34, v[60:61]
	v_mov_b32_e32 v15, v11
	v_mov_b32_e32 v14, v10
	s_and_saveexec_b64 s[30:31], s[22:23]
; %bb.2317:                             ;   in Loop: Header=BB6_1923 Depth=2
	v_bfe_u32 v11, v10, 20, 1
	v_add_co_u32_e64 v11, s[22:23], v10, v11
	v_add_co_u32_e64 v14, s[22:23], -1, v11
; %bb.2318:                             ;   in Loop: Header=BB6_1923 Depth=2
	s_or_b64 exec, exec, s[30:31]
	v_add_u32_e32 v11, 0xffffff81, v33
	v_mov_b32_e32 v15, 0xffffff82
	v_cndmask_b32_e64 v11, v11, v15, s[20:21]
	v_lshrrev_b32_e32 v15, 23, v10
	v_add3_u32 v33, v34, v11, v15
	v_add_u32_e32 v15, 6, v33
	v_and_b32_e32 v11, 0xfffff, v14
	v_add_u32_e32 v60, v11, v10
	v_cmp_ne_u32_e64 s[20:21], 0, v15
                                        ; implicit-def: $vgpr10_vgpr11
                                        ; implicit-def: $vgpr14
	s_and_saveexec_b64 s[22:23], s[20:21]
	s_xor_b64 s[22:23], exec, s[22:23]
; %bb.2319:                             ;   in Loop: Header=BB6_1923 Depth=2
	v_cmp_lt_u64_e64 s[20:21], s[60:61], v[60:61]
	v_add_u32_e32 v10, 7, v33
	v_cndmask_b32_e64 v14, v15, v10, s[20:21]
	v_cndmask_b32_e64 v10, 0, 1, s[20:21]
	v_lshrrev_b64 v[10:11], v10, v[60:61]
; %bb.2320:                             ;   in Loop: Header=BB6_1923 Depth=2
	s_andn2_saveexec_b64 s[20:21], s[22:23]
; %bb.2321:                             ;   in Loop: Header=BB6_1923 Depth=2
	v_mov_b32_e32 v10, v60
	v_bfe_u32 v14, v60, 23, 1
	v_mov_b32_e32 v11, v61
; %bb.2322:                             ;   in Loop: Header=BB6_1923 Depth=2
	s_or_b64 exec, exec, s[20:21]
	v_lshrrev_b64 v[10:11], 20, v[10:11]
	v_cmp_gt_i32_e64 s[20:21], 16, v14
	v_cndmask_b32_e64 v11, 0, v11, s[20:21]
	v_cndmask_b32_e64 v10, 7, v10, s[20:21]
	v_cmp_eq_u64_e64 s[22:23], 0, v[10:11]
	v_min_i32_e32 v11, 15, v14
	v_lshlrev_b32_e32 v11, 3, v11
	v_cmp_eq_u32_e64 s[20:21], 0, v14
	v_and_b32_e32 v11, 0xf8, v11
	v_and_or_b32 v10, v10, 7, v11
	s_and_b64 s[20:21], s[20:21], s[22:23]
	v_cndmask_b32_e64 v10, v10, 0, s[20:21]
	v_or_b32_e32 v14, v10, v32
.LBB6_2323:                             ;   in Loop: Header=BB6_1923 Depth=2
	s_or_b64 exec, exec, s[94:95]
                                        ; implicit-def: $vgpr32
.LBB6_2324:                             ;   in Loop: Header=BB6_1923 Depth=2
	s_andn2_saveexec_b64 s[20:21], s[92:93]
; %bb.2325:                             ;   in Loop: Header=BB6_1923 Depth=2
	v_or_b32_e32 v14, 0x7e, v32
; %bb.2326:                             ;   in Loop: Header=BB6_1923 Depth=2
	s_or_b64 exec, exec, s[20:21]
                                        ; implicit-def: $vgpr10
.LBB6_2327:                             ;   in Loop: Header=BB6_1923 Depth=2
	s_andn2_saveexec_b64 s[20:21], s[90:91]
; %bb.2328:                             ;   in Loop: Header=BB6_1923 Depth=2
	v_or_b32_sdwa v14, v10, s53 dst_sel:DWORD dst_unused:UNUSED_PAD src0_sel:BYTE_3 src1_sel:DWORD
; %bb.2329:                             ;   in Loop: Header=BB6_1923 Depth=2
	s_or_b64 exec, exec, s[20:21]
	v_cmp_lt_u64_e64 s[20:21], s[62:63], v[16:17]
	v_mov_b32_e32 v11, 0
	s_and_saveexec_b64 s[22:23], s[20:21]
	s_cbranch_execz .LBB6_2335
; %bb.2330:                             ;   in Loop: Header=BB6_1923 Depth=2
	v_lshrrev_b32_e32 v10, 24, v17
	v_cmp_ne_u32_e64 s[20:21], s52, v10
	v_bfrev_b32_e32 v11, 1
	s_and_saveexec_b64 s[90:91], s[20:21]
	s_cbranch_execz .LBB6_2334
; %bb.2331:                             ;   in Loop: Header=BB6_1923 Depth=2
	v_bfe_u32 v15, v17, 24, 7
	v_cmp_ne_u32_e64 s[20:21], s53, v15
	v_mov_b32_e32 v11, 0x7f800001
	s_and_saveexec_b64 s[92:93], s[20:21]
	s_cbranch_execz .LBB6_2333
; %bb.2332:                             ;   in Loop: Header=BB6_1923 Depth=2
	v_and_b32_e32 v11, 7, v10
	v_lshrrev_b32_e32 v17, 3, v15
	v_cmp_gt_u32_e64 s[20:21], 8, v15
	v_ffbh_u32_e32 v15, v11
	v_min_u32_e32 v32, 32, v15
	v_subrev_u32_e32 v15, 28, v32
	v_lshlrev_b64 v[15:16], v15, v[10:11]
	v_sub_u32_e32 v16, 29, v32
	v_and_b32_e32 v15, 7, v15
	v_cndmask_b32_e64 v16, v17, v16, s[20:21]
	v_cndmask_b32_e64 v11, v11, v15, s[20:21]
	v_lshlrev_b32_e32 v10, 24, v10
	v_lshlrev_b32_e32 v11, 20, v11
	v_and_b32_e32 v10, 0x80000000, v10
	v_lshl_add_u32 v15, v16, 23, v62
	v_or3_b32 v11, v10, v15, v11
.LBB6_2333:                             ;   in Loop: Header=BB6_1923 Depth=2
	s_or_b64 exec, exec, s[92:93]
.LBB6_2334:                             ;   in Loop: Header=BB6_1923 Depth=2
	s_or_b64 exec, exec, s[90:91]
.LBB6_2335:                             ;   in Loop: Header=BB6_1923 Depth=2
	s_or_b64 exec, exec, s[22:23]
	v_bfe_u32 v17, v13, 24, 3
	v_ffbh_u32_e32 v15, v17
	v_min_u32_e32 v34, 32, v15
	v_lshrrev_b32_e32 v10, 24, v13
	v_subrev_u32_e32 v15, 28, v34
	v_lshlrev_b64 v[15:16], v15, v[10:11]
	v_bfe_u32 v32, v13, 24, 7
	v_bfe_u32 v33, v10, 3, 4
	v_sub_u32_e32 v16, 29, v34
	v_and_b32_e32 v15, 7, v15
	v_cmp_gt_u32_e64 s[20:21], 8, v32
	v_cndmask_b32_e64 v16, v33, v16, s[20:21]
	v_cndmask_b32_e64 v15, v17, v15, s[20:21]
	v_lshlrev_b32_e32 v15, 20, v15
	v_and_b32_e32 v17, 0x80000000, v13
	v_lshl_add_u32 v16, v16, 23, v62
	v_or3_b32 v15, v17, v16, v15
	v_cmp_ne_u32_e64 s[20:21], s53, v32
	v_cndmask_b32_e64 v15, v41, v15, s[20:21]
	v_cmp_ne_u32_e64 s[20:21], s52, v10
	v_cndmask_b32_e64 v10, v42, v15, s[20:21]
	v_cmp_lt_u64_e64 s[20:21], s[62:63], v[12:13]
	v_cndmask_b32_e64 v10, 0, v10, s[20:21]
	v_add_f32_e32 v11, v10, v11
	v_and_b32_e32 v60, 0x7f800000, v11
	v_cmp_ne_u64_e64 s[20:21], s[56:57], v[60:61]
                                        ; implicit-def: $vgpr10
	s_and_saveexec_b64 s[22:23], s[20:21]
	s_xor_b64 s[90:91], exec, s[22:23]
	s_cbranch_execz .LBB6_2349
; %bb.2336:                             ;   in Loop: Header=BB6_1923 Depth=2
	v_and_b32_e32 v60, 0x7fffffff, v11
	v_cmp_gt_u64_e64 s[20:21], s[58:59], v[60:61]
	v_and_b32_sdwa v13, v11, s52 dst_sel:DWORD dst_unused:UNUSED_PAD src0_sel:BYTE_3 src1_sel:DWORD
                                        ; implicit-def: $vgpr10
	s_and_saveexec_b64 s[22:23], s[20:21]
	s_xor_b64 s[92:93], exec, s[22:23]
	s_cbranch_execz .LBB6_2346
; %bb.2337:                             ;   in Loop: Header=BB6_1923 Depth=2
	v_mov_b32_e32 v10, 0
	v_cmp_ne_u32_e64 s[20:21], 0, v11
	s_and_saveexec_b64 s[94:95], s[20:21]
	s_cbranch_execz .LBB6_2345
; %bb.2338:                             ;   in Loop: Header=BB6_1923 Depth=2
	v_bfe_u32 v15, v11, 23, 8
	v_and_b32_e32 v10, 0x7fffff, v11
	v_cmp_gt_u32_e64 s[22:23], s54, v15
	v_sub_u32_e32 v11, 0x79, v15
	v_cmp_eq_u32_e64 s[20:21], 0, v15
	v_cndmask_b32_e64 v11, 0, v11, s[22:23]
	v_mov_b32_e32 v16, 0x78
	v_or_b32_e32 v12, 0x800000, v10
	v_cndmask_b32_e64 v16, v11, v16, s[20:21]
	v_cndmask_b32_e64 v60, v12, v10, s[20:21]
	v_add_u32_e32 v10, 20, v16
	v_lshlrev_b64 v[10:11], v10, -1
	v_add_u32_e32 v12, 19, v16
	v_lshlrev_b64 v[32:33], v12, 1
	v_bfi_b32 v11, v11, 0, 0
	v_bfi_b32 v10, v10, 0, v60
	v_cmp_eq_u64_e64 s[22:23], v[10:11], v[32:33]
	v_lshrrev_b64 v[10:11], v16, v[60:61]
	v_mov_b32_e32 v12, v11
	v_mov_b32_e32 v11, v10
	s_and_saveexec_b64 s[30:31], s[22:23]
; %bb.2339:                             ;   in Loop: Header=BB6_1923 Depth=2
	v_bfe_u32 v11, v10, 20, 1
	v_add_co_u32_e64 v11, s[22:23], v10, v11
	v_add_co_u32_e64 v11, s[22:23], -1, v11
; %bb.2340:                             ;   in Loop: Header=BB6_1923 Depth=2
	s_or_b64 exec, exec, s[30:31]
	v_add_u32_e32 v12, 0xffffff81, v15
	v_mov_b32_e32 v15, 0xffffff82
	v_cndmask_b32_e64 v12, v12, v15, s[20:21]
	v_lshrrev_b32_e32 v15, 23, v10
	v_add3_u32 v16, v16, v12, v15
	v_add_u32_e32 v15, 6, v16
	v_and_b32_e32 v11, 0xfffff, v11
	v_add_u32_e32 v60, v11, v10
	v_cmp_ne_u32_e64 s[20:21], 0, v15
                                        ; implicit-def: $vgpr10_vgpr11
                                        ; implicit-def: $vgpr12
	s_and_saveexec_b64 s[22:23], s[20:21]
	s_xor_b64 s[22:23], exec, s[22:23]
; %bb.2341:                             ;   in Loop: Header=BB6_1923 Depth=2
	v_cmp_lt_u64_e64 s[20:21], s[60:61], v[60:61]
	v_add_u32_e32 v10, 7, v16
	v_cndmask_b32_e64 v12, v15, v10, s[20:21]
	v_cndmask_b32_e64 v10, 0, 1, s[20:21]
	v_lshrrev_b64 v[10:11], v10, v[60:61]
; %bb.2342:                             ;   in Loop: Header=BB6_1923 Depth=2
	s_andn2_saveexec_b64 s[20:21], s[22:23]
; %bb.2343:                             ;   in Loop: Header=BB6_1923 Depth=2
	v_mov_b32_e32 v10, v60
	v_bfe_u32 v12, v60, 23, 1
	v_mov_b32_e32 v11, v61
; %bb.2344:                             ;   in Loop: Header=BB6_1923 Depth=2
	s_or_b64 exec, exec, s[20:21]
	v_lshrrev_b64 v[10:11], 20, v[10:11]
	v_cmp_gt_i32_e64 s[20:21], 16, v12
	v_cndmask_b32_e64 v11, 0, v11, s[20:21]
	v_cndmask_b32_e64 v10, 7, v10, s[20:21]
	v_cmp_eq_u64_e64 s[22:23], 0, v[10:11]
	v_min_i32_e32 v11, 15, v12
	v_lshlrev_b32_e32 v11, 3, v11
	v_cmp_eq_u32_e64 s[20:21], 0, v12
	v_and_b32_e32 v11, 0xf8, v11
	v_and_or_b32 v10, v10, 7, v11
	s_and_b64 s[20:21], s[20:21], s[22:23]
	v_cndmask_b32_e64 v10, v10, 0, s[20:21]
	v_or_b32_e32 v10, v10, v13
.LBB6_2345:                             ;   in Loop: Header=BB6_1923 Depth=2
	s_or_b64 exec, exec, s[94:95]
                                        ; implicit-def: $vgpr13
.LBB6_2346:                             ;   in Loop: Header=BB6_1923 Depth=2
	s_andn2_saveexec_b64 s[20:21], s[92:93]
; %bb.2347:                             ;   in Loop: Header=BB6_1923 Depth=2
	v_or_b32_e32 v10, 0x7e, v13
; %bb.2348:                             ;   in Loop: Header=BB6_1923 Depth=2
	s_or_b64 exec, exec, s[20:21]
                                        ; implicit-def: $vgpr11
.LBB6_2349:                             ;   in Loop: Header=BB6_1923 Depth=2
	s_andn2_saveexec_b64 s[20:21], s[90:91]
	s_cbranch_execz .LBB6_1922
; %bb.2350:                             ;   in Loop: Header=BB6_1923 Depth=2
	v_or_b32_sdwa v10, v11, s53 dst_sel:DWORD dst_unused:UNUSED_PAD src0_sel:BYTE_3 src1_sel:DWORD
	s_branch .LBB6_1922
.LBB6_2351:                             ;   in Loop: Header=BB6_1923 Depth=2
	s_or_saveexec_b64 s[22:23], s[22:23]
	v_bfrev_b32_e32 v3, 1
	s_xor_b64 exec, exec, s[22:23]
	s_cbranch_execz .LBB6_1933
.LBB6_2352:                             ;   in Loop: Header=BB6_1923 Depth=2
	v_cmp_ne_u16_sdwa s[90:91], v10, v61 src0_sel:BYTE_0 src1_sel:DWORD
	s_andn2_b64 s[20:21], s[20:21], exec
	s_and_b64 s[90:91], s[90:91], exec
	v_mov_b32_e32 v3, 0
	s_or_b64 s[20:21], s[20:21], s[90:91]
	s_or_b64 exec, exec, s[22:23]
	s_and_saveexec_b64 s[22:23], s[20:21]
	s_cbranch_execnz .LBB6_1934
	s_branch .LBB6_1935
.LBB6_2353:                             ;   in Loop: Header=BB6_1923 Depth=2
	s_or_saveexec_b64 s[90:91], s[90:91]
	v_bfrev_b32_e32 v3, 1
	s_xor_b64 exec, exec, s[90:91]
	s_cbranch_execz .LBB6_1961
.LBB6_2354:                             ;   in Loop: Header=BB6_1923 Depth=2
	v_cmp_ne_u16_e64 s[20:21], 0, v60
	s_andn2_b64 s[22:23], s[22:23], exec
	s_and_b64 s[20:21], s[20:21], exec
	v_mov_b32_e32 v3, 0
	s_or_b64 s[22:23], s[22:23], s[20:21]
	s_or_b64 exec, exec, s[90:91]
	s_and_saveexec_b64 s[90:91], s[22:23]
	s_cbranch_execnz .LBB6_1962
	s_branch .LBB6_1963
.LBB6_2355:                             ;   in Loop: Header=BB6_1923 Depth=2
	s_or_saveexec_b64 s[22:23], s[22:23]
	v_bfrev_b32_e32 v3, 1
	s_xor_b64 exec, exec, s[22:23]
	s_cbranch_execz .LBB6_1989
.LBB6_2356:                             ;   in Loop: Header=BB6_1923 Depth=2
	v_cmp_ne_u16_sdwa s[90:91], v22, v61 src0_sel:BYTE_0 src1_sel:DWORD
	s_andn2_b64 s[20:21], s[20:21], exec
	s_and_b64 s[90:91], s[90:91], exec
	v_mov_b32_e32 v3, 0
	s_or_b64 s[20:21], s[20:21], s[90:91]
	s_or_b64 exec, exec, s[22:23]
	s_and_saveexec_b64 s[22:23], s[20:21]
	s_cbranch_execnz .LBB6_1990
	s_branch .LBB6_1991
.LBB6_2357:                             ;   in Loop: Header=BB6_1923 Depth=2
	s_or_saveexec_b64 s[90:91], s[90:91]
	v_bfrev_b32_e32 v3, 1
	s_xor_b64 exec, exec, s[90:91]
	s_cbranch_execz .LBB6_2069
.LBB6_2358:                             ;   in Loop: Header=BB6_1923 Depth=2
	v_cmp_ne_u16_e64 s[20:21], 0, v60
	s_andn2_b64 s[22:23], s[22:23], exec
	s_and_b64 s[20:21], s[20:21], exec
	v_mov_b32_e32 v3, 0
	s_or_b64 s[22:23], s[22:23], s[20:21]
	s_or_b64 exec, exec, s[90:91]
	s_and_saveexec_b64 s[90:91], s[22:23]
	s_cbranch_execnz .LBB6_2070
	s_branch .LBB6_2071
.LBB6_2359:                             ;   in Loop: Header=BB6_1923 Depth=2
	s_or_saveexec_b64 s[22:23], s[22:23]
	v_bfrev_b32_e32 v3, 1
	s_xor_b64 exec, exec, s[22:23]
	s_cbranch_execz .LBB6_2097
.LBB6_2360:                             ;   in Loop: Header=BB6_1923 Depth=2
	v_cmp_ne_u16_sdwa s[90:91], v22, v61 src0_sel:BYTE_0 src1_sel:DWORD
	s_andn2_b64 s[20:21], s[20:21], exec
	s_and_b64 s[90:91], s[90:91], exec
	v_mov_b32_e32 v3, 0
	s_or_b64 s[20:21], s[20:21], s[90:91]
	s_or_b64 exec, exec, s[22:23]
	s_and_saveexec_b64 s[22:23], s[20:21]
	s_cbranch_execnz .LBB6_2098
	s_branch .LBB6_2099
.LBB6_2361:                             ;   in Loop: Header=BB6_1923 Depth=2
	s_or_saveexec_b64 s[22:23], s[22:23]
	v_bfrev_b32_e32 v3, 1
	s_xor_b64 exec, exec, s[22:23]
	s_cbranch_execz .LBB6_2147
.LBB6_2362:                             ;   in Loop: Header=BB6_1923 Depth=2
	v_cmp_ne_u16_sdwa s[90:91], v12, v61 src0_sel:BYTE_0 src1_sel:DWORD
	s_andn2_b64 s[20:21], s[20:21], exec
	s_and_b64 s[90:91], s[90:91], exec
	v_mov_b32_e32 v3, 0
	s_or_b64 s[20:21], s[20:21], s[90:91]
	s_or_b64 exec, exec, s[22:23]
	s_and_saveexec_b64 s[22:23], s[20:21]
	s_cbranch_execnz .LBB6_2148
	s_branch .LBB6_2149
.LBB6_2363:                             ;   in Loop: Header=BB6_1923 Depth=2
	s_or_saveexec_b64 s[90:91], s[90:91]
	v_bfrev_b32_e32 v3, 1
	s_xor_b64 exec, exec, s[90:91]
	s_cbranch_execz .LBB6_2175
.LBB6_2364:                             ;   in Loop: Header=BB6_1923 Depth=2
	v_cmp_ne_u16_e64 s[20:21], 0, v60
	s_andn2_b64 s[22:23], s[22:23], exec
	s_and_b64 s[20:21], s[20:21], exec
	v_mov_b32_e32 v3, 0
	s_or_b64 s[22:23], s[22:23], s[20:21]
	s_or_b64 exec, exec, s[90:91]
	s_and_saveexec_b64 s[90:91], s[22:23]
	s_cbranch_execnz .LBB6_2176
	s_branch .LBB6_2177
.LBB6_2365:                             ;   in Loop: Header=BB6_1923 Depth=2
	s_or_saveexec_b64 s[22:23], s[22:23]
	v_bfrev_b32_e32 v3, 1
	s_xor_b64 exec, exec, s[22:23]
	s_cbranch_execz .LBB6_2203
.LBB6_2366:                             ;   in Loop: Header=BB6_1923 Depth=2
	v_cmp_ne_u16_sdwa s[90:91], v10, v61 src0_sel:BYTE_0 src1_sel:DWORD
	s_andn2_b64 s[20:21], s[20:21], exec
	s_and_b64 s[90:91], s[90:91], exec
	v_mov_b32_e32 v3, 0
	s_or_b64 s[20:21], s[20:21], s[90:91]
	s_or_b64 exec, exec, s[22:23]
	s_and_saveexec_b64 s[22:23], s[20:21]
	s_cbranch_execnz .LBB6_2204
	s_branch .LBB6_2205
.LBB6_2367:                             ;   in Loop: Header=BB6_1923 Depth=2
	s_or_saveexec_b64 s[90:91], s[90:91]
	v_bfrev_b32_e32 v10, 1
	s_xor_b64 exec, exec, s[90:91]
	s_cbranch_execz .LBB6_2283
.LBB6_2368:                             ;   in Loop: Header=BB6_1923 Depth=2
	v_cmp_ne_u16_e64 s[20:21], 0, v60
	s_andn2_b64 s[22:23], s[22:23], exec
	s_and_b64 s[20:21], s[20:21], exec
	v_mov_b32_e32 v10, 0
	s_or_b64 s[22:23], s[22:23], s[20:21]
	s_or_b64 exec, exec, s[90:91]
	s_and_saveexec_b64 s[90:91], s[22:23]
	s_cbranch_execnz .LBB6_2284
	s_branch .LBB6_2285
.LBB6_2369:                             ;   in Loop: Header=BB6_1923 Depth=2
	s_or_saveexec_b64 s[22:23], s[22:23]
	v_bfrev_b32_e32 v14, 1
	s_xor_b64 exec, exec, s[22:23]
	s_cbranch_execz .LBB6_2311
.LBB6_2370:                             ;   in Loop: Header=BB6_1923 Depth=2
	v_cmp_ne_u16_sdwa s[90:91], v10, v61 src0_sel:BYTE_0 src1_sel:DWORD
	s_andn2_b64 s[20:21], s[20:21], exec
	s_and_b64 s[90:91], s[90:91], exec
	v_mov_b32_e32 v14, 0
	s_or_b64 s[20:21], s[20:21], s[90:91]
	s_or_b64 exec, exec, s[22:23]
	s_and_saveexec_b64 s[22:23], s[20:21]
	s_cbranch_execnz .LBB6_2312
	s_branch .LBB6_2313
.LBB6_2371:                             ;   in Loop: Header=BB6_49 Depth=1
	s_or_b64 exec, exec, s[88:89]
.LBB6_2372:                             ;   in Loop: Header=BB6_49 Depth=1
	s_or_b64 exec, exec, s[78:79]
	v_and_b32_e32 v0, 15, v50
	v_cndmask_b32_e32 v3, v6, v0, vcc
	v_mov_b32_e32 v7, 0
	v_cmp_ne_u32_e64 s[20:21], 0, v3
	s_mov_b64 s[22:23], 0
                                        ; implicit-def: $vgpr2
                                        ; implicit-def: $vgpr0
	s_and_saveexec_b64 s[78:79], s[20:21]
	s_cbranch_execz .LBB6_2374
; %bb.2373:                             ;   in Loop: Header=BB6_49 Depth=1
	v_and_b32_e32 v0, 0x3f0, v50
	v_cndmask_b32_e32 v0, 0, v0, vcc
	v_and_or_b32 v7, v50, s55, v0
	buffer_load_dword v0, off, s[0:3], s33 offset:84 ; 4-byte Folded Reload
	v_cmp_lt_i32_e32 vcc, 0, v5
	s_mov_b64 s[22:23], exec
	s_waitcnt vmcnt(0)
	v_cndmask_b32_e32 v0, 0, v0, vcc
	v_sub_u32_e32 v0, v0, v5
	v_lshl_add_u32 v2, v0, 6, v4
	v_ashrrev_i32_e32 v0, 31, v2
	v_lshrrev_b32_e32 v0, 26, v0
	v_add_u32_e32 v0, v2, v0
	v_ashrrev_i32_e32 v0, 6, v0
.LBB6_2374:                             ;   in Loop: Header=BB6_49 Depth=1
	s_or_b64 exec, exec, s[78:79]
	s_and_b64 s[20:21], s[22:23], exec
.LBB6_2375:                             ;   in Loop: Header=BB6_49 Depth=1
	s_or_b64 exec, exec, s[76:77]
	s_and_saveexec_b64 s[22:23], s[20:21]
	s_cbranch_execz .LBB6_3440
.LBB6_2376:                             ;   in Loop: Header=BB6_49 Depth=1
	v_lshrrev_b32_e32 v1, 11, v3
	v_sub_u32_e32 v18, v1, v0
	s_waitcnt vmcnt(0)
	v_ashrrev_i32_e32 v1, 31, v2
	v_cmp_lt_i32_e32 vcc, 0, v18
	v_lshrrev_b32_e32 v1, 26, v1
	s_and_saveexec_b64 s[76:77], vcc
	s_cbranch_execz .LBB6_3404
; %bb.2377:                             ;   in Loop: Header=BB6_49 Depth=1
	buffer_store_dword v3, off, s[0:3], s33 offset:176 ; 4-byte Folded Spill
	buffer_store_dword v50, off, s[0:3], s33 offset:312 ; 4-byte Folded Spill
	;; [unrolled: 1-line block ×3, first 2 shown]
	s_nop 0
	buffer_store_dword v50, off, s[0:3], s33 offset:308 ; 4-byte Folded Spill
	buffer_store_dword v43, off, s[0:3], s33 offset:296 ; 4-byte Folded Spill
	s_nop 0
	buffer_store_dword v44, off, s[0:3], s33 offset:300 ; 4-byte Folded Spill
	buffer_store_dword v52, off, s[0:3], s33 offset:288 ; 4-byte Folded Spill
	;; [unrolled: 3-line block ×3, first 2 shown]
	v_add_u32_e32 v1, v2, v1
	v_and_b32_e32 v1, 0xffffffc0, v1
	v_lshlrev_b32_e32 v0, 11, v0
	buffer_store_dword v2, off, s[0:3], s33 offset:180 ; 4-byte Folded Spill
	v_sub_u32_e32 v1, v2, v1
	buffer_store_dword v7, off, s[0:3], s33 offset:172 ; 4-byte Folded Spill
	s_trap 2
	ds_read_b64 v[2:3], v0
	v_add3_u32 v4, v7, v1, v0
	v_ashrrev_i32_e32 v5, 31, v4
	v_add_co_u32_e32 v0, vcc, v4, v58
	v_addc_co_u32_e32 v1, vcc, v5, v59, vcc
	s_waitcnt lgkmcnt(0)
	v_add_co_u32_e32 v10, vcc, v2, v4
	v_addc_co_u32_e32 v11, vcc, v3, v5, vcc
	s_mov_b64 s[78:79], 0
	v_add_co_u32_e32 v2, vcc, 0x7c0, v44
	v_addc_co_u32_e32 v3, vcc, 0, v45, vcc
	v_add_co_u32_e32 v12, vcc, v2, v4
	v_addc_co_u32_e32 v13, vcc, v3, v5, vcc
	s_branch .LBB6_2379
.LBB6_2378:                             ;   in Loop: Header=BB6_2379 Depth=2
	s_or_b64 exec, exec, s[20:21]
	v_add_co_u32_e32 v29, vcc, 0xfffff840, v12
	v_addc_co_u32_e32 v30, vcc, -1, v13, vcc
	flat_store_byte v[29:30], v47 glc slc
	v_add_co_u32_e32 v29, vcc, 0xfffff880, v12
	v_addc_co_u32_e32 v30, vcc, -1, v13, vcc
	flat_store_byte v[29:30], v53 glc slc
	;; [unrolled: 3-line block ×16, first 2 shown]
	v_add_co_u32_e32 v29, vcc, 0xfffffc40, v12
	v_addc_co_u32_e32 v30, vcc, -1, v13, vcc
	v_add_co_u32_e32 v25, vcc, 0xfffffc80, v12
	flat_store_byte v[29:30], v26 glc slc
	v_addc_co_u32_e32 v26, vcc, -1, v13, vcc
	v_add_co_u32_e32 v8, vcc, 0xfffffcc0, v12
	flat_store_byte v[25:26], v9 glc slc
	v_addc_co_u32_e32 v9, vcc, -1, v13, vcc
	v_add_co_u32_e32 v5, vcc, 0xfffffd00, v12
	flat_store_byte v[8:9], v6 glc slc
	v_addc_co_u32_e32 v6, vcc, -1, v13, vcc
	flat_store_byte v[5:6], v7 glc slc
	v_add_co_u32_e32 v5, vcc, 0xfffffd40, v12
	v_addc_co_u32_e32 v6, vcc, -1, v13, vcc
	flat_store_byte v[5:6], v4 glc slc
	v_add_co_u32_e32 v4, vcc, 0xfffffd80, v12
	;; [unrolled: 3-line block ×9, first 2 shown]
	v_addc_co_u32_e32 v5, vcc, -1, v13, vcc
	v_add_co_u32_e32 v2, vcc, 0xffffff80, v12
	flat_store_byte v[4:5], v3 glc slc
	v_addc_co_u32_e32 v3, vcc, -1, v13, vcc
	flat_store_byte v[2:3], v27 glc slc
	v_add_co_u32_e32 v2, vcc, s50, v12
	v_addc_co_u32_e32 v3, vcc, -1, v13, vcc
	flat_store_byte v[2:3], v28 glc slc
	flat_store_byte v[12:13], v15 glc slc
	buffer_load_dword v2, off, s[0:3], s33 offset:216 ; 4-byte Folded Reload
	s_nop 0
	buffer_load_dword v3, off, s[0:3], s33 offset:84 ; 4-byte Folded Reload
	s_waitcnt vmcnt(0)
	v_add_co_u32_e32 v0, vcc, v0, v2
	v_addc_co_u32_e32 v1, vcc, 0, v1, vcc
	v_add_co_u32_e32 v10, vcc, v10, v2
	v_addc_co_u32_e32 v11, vcc, 0, v11, vcc
	v_sub_u32_e32 v18, v18, v3
	v_cmp_gt_i32_e32 vcc, 1, v18
	s_or_b64 s[78:79], vcc, s[78:79]
	v_add_co_u32_e32 v12, vcc, v12, v2
	v_addc_co_u32_e32 v13, vcc, 0, v13, vcc
	s_andn2_b64 exec, exec, s[78:79]
	s_cbranch_execz .LBB6_3403
.LBB6_2379:                             ;   Parent Loop BB6_49 Depth=1
                                        ; =>  This Inner Loop Header: Depth=2
	flat_load_ubyte v16, v[0:1] glc slc
	flat_load_ubyte v48, v[0:1] offset:64 glc slc
	flat_load_ubyte v41, v[0:1] offset:128 glc slc
	flat_load_ubyte v37, v[0:1] offset:192 glc slc
	flat_load_ubyte v34, v[0:1] offset:256 glc slc
	flat_load_ubyte v3, v[0:1] offset:320 glc slc
	flat_load_ubyte v31, v[0:1] offset:384 glc slc
	flat_load_ubyte v30, v[0:1] offset:448 glc slc
	flat_load_ubyte v35, v[0:1] offset:512 glc slc
	flat_load_ubyte v28, v[0:1] offset:576 glc slc
	flat_load_ubyte v27, v[0:1] offset:640 glc slc
	flat_load_ubyte v32, v[0:1] offset:704 glc slc
	flat_load_ubyte v24, v[0:1] offset:768 glc slc
	flat_load_ubyte v23, v[0:1] offset:832 glc slc
	flat_load_ubyte v21, v[0:1] offset:896 glc slc
	flat_load_ubyte v20, v[0:1] offset:960 glc slc
	flat_load_ubyte v29, v[0:1] offset:1024 glc slc
	flat_load_ubyte v22, v[0:1] offset:1088 glc slc
	flat_load_ubyte v7, v[0:1] offset:1152 glc slc
	flat_load_ubyte v56, v[0:1] offset:1216 glc slc
	flat_load_ubyte v17, v[0:1] offset:1280 glc slc
	flat_load_ubyte v59, v[0:1] offset:1344 glc slc
	flat_load_ubyte v2, v[0:1] offset:1408 glc slc
	v_mov_b32_e32 v50, 0
	v_mov_b32_e32 v60, 0
	s_waitcnt vmcnt(0) lgkmcnt(0)
	v_cmp_ne_u16_e32 vcc, 0, v16
	buffer_store_dword v2, off, s[0:3], s33 offset:152 ; 4-byte Folded Spill
	flat_load_ubyte v2, v[0:1] offset:1472 glc slc
	s_waitcnt vmcnt(0) lgkmcnt(0)
	buffer_store_dword v2, off, s[0:3], s33 offset:148 ; 4-byte Folded Spill
	flat_load_ubyte v2, v[0:1] offset:1536 glc slc
	s_waitcnt vmcnt(0) lgkmcnt(0)
	;; [unrolled: 3-line block ×8, first 2 shown]
	buffer_store_dword v2, off, s[0:3], s33 offset:92 ; 4-byte Folded Spill
	flat_load_ubyte v46, v[0:1] offset:1984 glc slc
	flat_load_ubyte v15, v[10:11] glc slc
	flat_load_ubyte v39, v[10:11] offset:64 glc slc
	flat_load_ubyte v40, v[10:11] offset:128 glc slc
	;; [unrolled: 1-line block ×24, first 2 shown]
	s_waitcnt vmcnt(0) lgkmcnt(0)
	buffer_store_dword v14, off, s[0:3], s33 offset:144 ; 4-byte Folded Spill
	flat_load_ubyte v14, v[10:11] offset:1536 glc slc
	s_waitcnt vmcnt(0) lgkmcnt(0)
	buffer_store_dword v14, off, s[0:3], s33 offset:136 ; 4-byte Folded Spill
	flat_load_ubyte v14, v[10:11] offset:1600 glc slc
	;; [unrolled: 3-line block ×7, first 2 shown]
	s_waitcnt vmcnt(0) lgkmcnt(0)
	buffer_store_dword v14, off, s[0:3], s33 offset:88 ; 4-byte Folded Spill
	s_and_saveexec_b64 s[20:21], vcc
	s_cbranch_execz .LBB6_2385
; %bb.2380:                             ;   in Loop: Header=BB6_2379 Depth=2
	v_cmp_ne_u16_e32 vcc, s52, v16
	v_bfrev_b32_e32 v60, 1
	s_and_saveexec_b64 s[88:89], vcc
	s_cbranch_execz .LBB6_2384
; %bb.2381:                             ;   in Loop: Header=BB6_2379 Depth=2
	v_and_b32_e32 v14, 0xffff, v16
	v_and_b32_e32 v51, 0x7f, v14
	v_cmp_ne_u32_e32 vcc, s53, v51
	v_mov_b32_e32 v60, 0x7f800001
	s_and_saveexec_b64 s[90:91], vcc
	s_cbranch_execz .LBB6_2383
; %bb.2382:                             ;   in Loop: Header=BB6_2379 Depth=2
	v_and_b32_e32 v53, 7, v14
	v_lshrrev_b32_e32 v60, 3, v51
	v_cmp_gt_u32_e32 vcc, 8, v51
	v_ffbh_u32_e32 v51, v53
	v_min_u32_e32 v51, 32, v51
	v_subrev_u32_e32 v44, 28, v51
	v_mov_b32_e32 v47, v45
	v_lshlrev_b64 v[44:45], v44, v[14:15]
	v_sub_u32_e32 v14, 29, v51
	v_and_b32_e32 v51, 7, v44
	v_cndmask_b32_e32 v14, v60, v14, vcc
	v_cndmask_b32_e32 v51, v53, v51, vcc
	v_lshlrev_b32_e32 v16, 24, v16
	v_lshlrev_b32_e32 v51, 20, v51
	v_and_b32_e32 v16, 0x80000000, v16
	v_lshl_add_u32 v14, v14, 23, v62
	v_mov_b32_e32 v45, v47
	v_or3_b32 v60, v16, v14, v51
.LBB6_2383:                             ;   in Loop: Header=BB6_2379 Depth=2
	s_or_b64 exec, exec, s[90:91]
.LBB6_2384:                             ;   in Loop: Header=BB6_2379 Depth=2
	s_or_b64 exec, exec, s[88:89]
.LBB6_2385:                             ;   in Loop: Header=BB6_2379 Depth=2
	s_or_b64 exec, exec, s[20:21]
	v_and_b32_e32 v14, 0xff, v15
	v_cmp_ne_u16_e32 vcc, 0, v14
	s_and_saveexec_b64 s[20:21], vcc
	s_cbranch_execz .LBB6_2391
; %bb.2386:                             ;   in Loop: Header=BB6_2379 Depth=2
	v_cmp_ne_u16_e32 vcc, s52, v14
	v_bfrev_b32_e32 v50, 1
	s_and_saveexec_b64 s[88:89], vcc
	s_cbranch_execz .LBB6_2390
; %bb.2387:                             ;   in Loop: Header=BB6_2379 Depth=2
	v_and_b32_e32 v16, 0x7f, v15
	v_cmp_ne_u32_e32 vcc, s53, v16
	v_mov_b32_e32 v50, 0x7f800001
	s_and_saveexec_b64 s[90:91], vcc
	s_cbranch_execz .LBB6_2389
; %bb.2388:                             ;   in Loop: Header=BB6_2379 Depth=2
	v_and_b32_e32 v53, 7, v14
	v_lshrrev_b32_e32 v44, 3, v16
	v_cmp_gt_u32_e32 vcc, 8, v16
	v_ffbh_u32_e32 v16, v53
	v_min_u32_e32 v16, 32, v16
	v_subrev_u32_e32 v50, 28, v16
	v_lshlrev_b64 v[50:51], v50, v[14:15]
	v_sub_u32_e32 v14, 29, v16
	v_and_b32_e32 v16, 7, v50
	v_cndmask_b32_e32 v14, v44, v14, vcc
	v_cndmask_b32_e32 v16, v53, v16, vcc
	v_lshlrev_b32_e32 v15, 24, v15
	v_lshlrev_b32_e32 v16, 20, v16
	v_and_b32_e32 v15, 0x80000000, v15
	v_lshl_add_u32 v14, v14, 23, v62
	v_or3_b32 v50, v15, v14, v16
.LBB6_2389:                             ;   in Loop: Header=BB6_2379 Depth=2
	s_or_b64 exec, exec, s[90:91]
.LBB6_2390:                             ;   in Loop: Header=BB6_2379 Depth=2
	s_or_b64 exec, exec, s[88:89]
.LBB6_2391:                             ;   in Loop: Header=BB6_2379 Depth=2
	s_or_b64 exec, exec, s[20:21]
	v_add_f32_e32 v14, v60, v50
	v_and_b32_e32 v60, 0x7f800000, v14
	v_cmp_ne_u64_e32 vcc, s[56:57], v[60:61]
                                        ; implicit-def: $vgpr47
	s_and_saveexec_b64 s[20:21], vcc
	s_xor_b64 s[88:89], exec, s[20:21]
	s_cbranch_execz .LBB6_2409
; %bb.2392:                             ;   in Loop: Header=BB6_2379 Depth=2
	v_and_b32_e32 v60, 0x7fffffff, v14
	v_cmp_gt_u64_e32 vcc, s[58:59], v[60:61]
	v_and_b32_sdwa v50, v14, s52 dst_sel:DWORD dst_unused:UNUSED_PAD src0_sel:BYTE_3 src1_sel:DWORD
                                        ; implicit-def: $vgpr47
	s_and_saveexec_b64 s[20:21], vcc
	s_xor_b64 s[90:91], exec, s[20:21]
	s_cbranch_execz .LBB6_2406
; %bb.2393:                             ;   in Loop: Header=BB6_2379 Depth=2
	v_cmp_ne_u32_e32 vcc, 0, v14
	v_mov_b32_e32 v47, 0
	s_and_saveexec_b64 s[92:93], vcc
	s_cbranch_execz .LBB6_2405
; %bb.2394:                             ;   in Loop: Header=BB6_2379 Depth=2
	v_bfe_u32 v51, v14, 23, 8
	v_and_b32_e32 v15, 0x7fffff, v14
	v_cmp_gt_u32_e64 s[20:21], s54, v51
	v_sub_u32_e32 v14, 0x79, v51
	v_cmp_eq_u32_e32 vcc, 0, v51
	v_cndmask_b32_e64 v14, 0, v14, s[20:21]
	v_mov_b32_e32 v53, 0x78
	v_cndmask_b32_e32 v53, v14, v53, vcc
	v_or_b32_e32 v16, 0x800000, v15
	v_add_u32_e32 v14, 20, v53
	v_cndmask_b32_e32 v60, v16, v15, vcc
	v_lshlrev_b64 v[14:15], v14, -1
	v_add_u32_e32 v16, 19, v53
	v_mov_b32_e32 v47, v45
	v_lshlrev_b64 v[44:45], v16, 1
	v_bfi_b32 v15, v15, 0, 0
	v_bfi_b32 v14, v14, 0, v60
	v_cmp_eq_u64_e64 s[20:21], v[14:15], v[44:45]
	v_lshrrev_b64 v[14:15], v53, v[60:61]
	v_mov_b32_e32 v16, v15
	v_mov_b32_e32 v15, v14
	s_and_saveexec_b64 s[94:95], s[20:21]
; %bb.2395:                             ;   in Loop: Header=BB6_2379 Depth=2
	v_bfe_u32 v15, v14, 20, 1
	v_add_co_u32_e64 v15, s[20:21], v14, v15
	v_add_co_u32_e64 v15, s[20:21], -1, v15
; %bb.2396:                             ;   in Loop: Header=BB6_2379 Depth=2
	s_or_b64 exec, exec, s[94:95]
	v_add_u32_e32 v16, 0xffffff81, v51
	v_mov_b32_e32 v51, 0xffffff82
	v_cndmask_b32_e32 v16, v16, v51, vcc
	v_lshrrev_b32_e32 v51, 23, v14
	v_add3_u32 v53, v53, v16, v51
	v_add_u32_e32 v51, 6, v53
	v_and_b32_e32 v15, 0xfffff, v15
	v_add_u32_e32 v60, v15, v14
	v_cmp_ne_u32_e32 vcc, 0, v51
                                        ; implicit-def: $vgpr14_vgpr15
                                        ; implicit-def: $vgpr16
	s_and_saveexec_b64 s[20:21], vcc
	s_xor_b64 s[20:21], exec, s[20:21]
; %bb.2397:                             ;   in Loop: Header=BB6_2379 Depth=2
	v_cmp_lt_u64_e32 vcc, s[60:61], v[60:61]
	v_add_u32_e32 v14, 7, v53
	v_cndmask_b32_e32 v16, v51, v14, vcc
	v_cndmask_b32_e64 v14, 0, 1, vcc
	v_lshrrev_b64 v[14:15], v14, v[60:61]
; %bb.2398:                             ;   in Loop: Header=BB6_2379 Depth=2
	s_or_saveexec_b64 s[20:21], s[20:21]
	v_mov_b32_e32 v45, v47
	s_xor_b64 exec, exec, s[20:21]
; %bb.2399:                             ;   in Loop: Header=BB6_2379 Depth=2
	v_mov_b32_e32 v14, v60
	v_bfe_u32 v16, v60, 23, 1
	v_mov_b32_e32 v15, v61
; %bb.2400:                             ;   in Loop: Header=BB6_2379 Depth=2
	s_or_b64 exec, exec, s[20:21]
	v_lshrrev_b64 v[14:15], 20, v[14:15]
	v_cmp_gt_i32_e32 vcc, 16, v16
	v_cndmask_b32_e32 v15, 0, v15, vcc
	v_cndmask_b32_e32 v14, 7, v14, vcc
	v_cmp_ne_u64_e32 vcc, 0, v[14:15]
	v_cmp_ne_u32_e64 s[20:21], 0, v16
	s_or_b64 s[20:21], s[20:21], vcc
                                        ; implicit-def: $vgpr47
	s_and_saveexec_b64 s[94:95], s[20:21]
	s_xor_b64 s[20:21], exec, s[94:95]
; %bb.2401:                             ;   in Loop: Header=BB6_2379 Depth=2
	v_min_i32_e32 v15, 15, v16
	v_lshl_or_b32 v15, v15, 3, v50
	v_and_or_b32 v47, v14, 7, v15
                                        ; implicit-def: $vgpr50
; %bb.2402:                             ;   in Loop: Header=BB6_2379 Depth=2
	s_andn2_saveexec_b64 s[20:21], s[20:21]
; %bb.2403:                             ;   in Loop: Header=BB6_2379 Depth=2
	v_mov_b32_e32 v47, v50
; %bb.2404:                             ;   in Loop: Header=BB6_2379 Depth=2
	s_or_b64 exec, exec, s[20:21]
.LBB6_2405:                             ;   in Loop: Header=BB6_2379 Depth=2
	s_or_b64 exec, exec, s[92:93]
                                        ; implicit-def: $vgpr50
.LBB6_2406:                             ;   in Loop: Header=BB6_2379 Depth=2
	s_andn2_saveexec_b64 s[20:21], s[90:91]
; %bb.2407:                             ;   in Loop: Header=BB6_2379 Depth=2
	v_or_b32_e32 v47, 0x7e, v50
; %bb.2408:                             ;   in Loop: Header=BB6_2379 Depth=2
	s_or_b64 exec, exec, s[20:21]
                                        ; implicit-def: $vgpr14
.LBB6_2409:                             ;   in Loop: Header=BB6_2379 Depth=2
	s_andn2_saveexec_b64 s[20:21], s[88:89]
; %bb.2410:                             ;   in Loop: Header=BB6_2379 Depth=2
	v_or_b32_sdwa v47, v14, s53 dst_sel:DWORD dst_unused:UNUSED_PAD src0_sel:BYTE_3 src1_sel:DWORD
; %bb.2411:                             ;   in Loop: Header=BB6_2379 Depth=2
	s_or_b64 exec, exec, s[20:21]
	v_and_b32_e32 v14, 0xff, v48
	v_cmp_ne_u16_e32 vcc, 0, v14
	v_mov_b32_e32 v15, 0
	v_mov_b32_e32 v16, 0
	s_and_saveexec_b64 s[20:21], vcc
	s_cbranch_execz .LBB6_2417
; %bb.2412:                             ;   in Loop: Header=BB6_2379 Depth=2
	v_cmp_ne_u16_e32 vcc, s52, v14
	v_bfrev_b32_e32 v16, 1
	s_and_saveexec_b64 s[88:89], vcc
	s_cbranch_execz .LBB6_2416
; %bb.2413:                             ;   in Loop: Header=BB6_2379 Depth=2
	v_and_b32_e32 v50, 0x7f, v48
	v_cmp_ne_u32_e32 vcc, s53, v50
	v_mov_b32_e32 v16, 0x7f800001
	s_and_saveexec_b64 s[90:91], vcc
	s_cbranch_execz .LBB6_2415
; %bb.2414:                             ;   in Loop: Header=BB6_2379 Depth=2
	v_and_b32_e32 v16, 7, v14
	v_lshrrev_b32_e32 v53, 3, v50
	v_cmp_gt_u32_e32 vcc, 8, v50
	v_ffbh_u32_e32 v50, v16
	v_min_u32_e32 v44, 32, v50
	v_subrev_u32_e32 v50, 28, v44
	v_lshlrev_b64 v[50:51], v50, v[14:15]
	v_sub_u32_e32 v14, 29, v44
	v_and_b32_e32 v50, 7, v50
	v_cndmask_b32_e32 v14, v53, v14, vcc
	v_cndmask_b32_e32 v16, v16, v50, vcc
	v_lshlrev_b32_e32 v48, 24, v48
	v_lshlrev_b32_e32 v16, 20, v16
	v_and_b32_e32 v48, 0x80000000, v48
	v_lshl_add_u32 v14, v14, 23, v62
	v_or3_b32 v16, v48, v14, v16
.LBB6_2415:                             ;   in Loop: Header=BB6_2379 Depth=2
	s_or_b64 exec, exec, s[90:91]
.LBB6_2416:                             ;   in Loop: Header=BB6_2379 Depth=2
	s_or_b64 exec, exec, s[88:89]
.LBB6_2417:                             ;   in Loop: Header=BB6_2379 Depth=2
	s_or_b64 exec, exec, s[20:21]
	v_and_b32_e32 v14, 0xff, v39
	v_cmp_ne_u16_e32 vcc, 0, v14
	s_and_saveexec_b64 s[20:21], vcc
	s_cbranch_execz .LBB6_2423
; %bb.2418:                             ;   in Loop: Header=BB6_2379 Depth=2
	v_cmp_ne_u16_e32 vcc, s52, v14
	v_bfrev_b32_e32 v15, 1
	s_and_saveexec_b64 s[88:89], vcc
	s_cbranch_execz .LBB6_2422
; %bb.2419:                             ;   in Loop: Header=BB6_2379 Depth=2
	v_and_b32_e32 v48, 0x7f, v39
	v_cmp_ne_u32_e32 vcc, s53, v48
	v_mov_b32_e32 v15, 0x7f800001
	s_and_saveexec_b64 s[90:91], vcc
	s_cbranch_execz .LBB6_2421
; %bb.2420:                             ;   in Loop: Header=BB6_2379 Depth=2
	v_and_b32_e32 v50, 7, v14
	v_ffbh_u32_e32 v15, v50
	v_lshrrev_b32_e32 v51, 3, v48
	v_cmp_gt_u32_e32 vcc, 8, v48
	v_min_u32_e32 v48, 32, v15
	v_subrev_u32_e32 v15, 28, v48
	v_lshlrev_b64 v[14:15], v15, v[14:15]
	v_sub_u32_e32 v15, 29, v48
	v_and_b32_e32 v14, 7, v14
	v_cndmask_b32_e32 v15, v51, v15, vcc
	v_cndmask_b32_e32 v14, v50, v14, vcc
	v_lshlrev_b32_e32 v39, 24, v39
	v_lshlrev_b32_e32 v14, 20, v14
	v_and_b32_e32 v39, 0x80000000, v39
	v_lshl_add_u32 v15, v15, 23, v62
	v_or3_b32 v15, v39, v15, v14
.LBB6_2421:                             ;   in Loop: Header=BB6_2379 Depth=2
	s_or_b64 exec, exec, s[90:91]
.LBB6_2422:                             ;   in Loop: Header=BB6_2379 Depth=2
	s_or_b64 exec, exec, s[88:89]
.LBB6_2423:                             ;   in Loop: Header=BB6_2379 Depth=2
	s_or_b64 exec, exec, s[20:21]
	v_add_f32_e32 v14, v16, v15
	v_and_b32_e32 v60, 0x7f800000, v14
	v_cmp_ne_u64_e32 vcc, s[56:57], v[60:61]
                                        ; implicit-def: $vgpr53
	s_and_saveexec_b64 s[20:21], vcc
	s_xor_b64 s[88:89], exec, s[20:21]
	s_cbranch_execz .LBB6_2441
; %bb.2424:                             ;   in Loop: Header=BB6_2379 Depth=2
	v_and_b32_e32 v60, 0x7fffffff, v14
	v_cmp_gt_u64_e32 vcc, s[58:59], v[60:61]
	v_and_b32_sdwa v39, v14, s52 dst_sel:DWORD dst_unused:UNUSED_PAD src0_sel:BYTE_3 src1_sel:DWORD
                                        ; implicit-def: $vgpr53
	s_and_saveexec_b64 s[20:21], vcc
	s_xor_b64 s[90:91], exec, s[20:21]
	s_cbranch_execz .LBB6_2438
; %bb.2425:                             ;   in Loop: Header=BB6_2379 Depth=2
	v_cmp_ne_u32_e32 vcc, 0, v14
	v_mov_b32_e32 v53, 0
	s_and_saveexec_b64 s[92:93], vcc
	s_cbranch_execz .LBB6_2437
; %bb.2426:                             ;   in Loop: Header=BB6_2379 Depth=2
	v_bfe_u32 v48, v14, 23, 8
	v_and_b32_e32 v15, 0x7fffff, v14
	v_cmp_gt_u32_e64 s[20:21], s54, v48
	v_sub_u32_e32 v14, 0x79, v48
	v_cmp_eq_u32_e32 vcc, 0, v48
	v_cndmask_b32_e64 v14, 0, v14, s[20:21]
	v_mov_b32_e32 v50, 0x78
	v_cndmask_b32_e32 v50, v14, v50, vcc
	v_or_b32_e32 v16, 0x800000, v15
	v_add_u32_e32 v14, 20, v50
	v_cndmask_b32_e32 v60, v16, v15, vcc
	v_lshlrev_b64 v[14:15], v14, -1
	v_add_u32_e32 v16, 19, v50
	v_mov_b32_e32 v51, v45
	v_lshlrev_b64 v[44:45], v16, 1
	v_bfi_b32 v15, v15, 0, 0
	v_bfi_b32 v14, v14, 0, v60
	v_cmp_eq_u64_e64 s[20:21], v[14:15], v[44:45]
	v_lshrrev_b64 v[14:15], v50, v[60:61]
	v_mov_b32_e32 v16, v15
	v_mov_b32_e32 v15, v14
	s_and_saveexec_b64 s[94:95], s[20:21]
; %bb.2427:                             ;   in Loop: Header=BB6_2379 Depth=2
	v_bfe_u32 v15, v14, 20, 1
	v_add_co_u32_e64 v15, s[20:21], v14, v15
	v_add_co_u32_e64 v15, s[20:21], -1, v15
; %bb.2428:                             ;   in Loop: Header=BB6_2379 Depth=2
	s_or_b64 exec, exec, s[94:95]
	v_add_u32_e32 v16, 0xffffff81, v48
	v_mov_b32_e32 v48, 0xffffff82
	v_cndmask_b32_e32 v16, v16, v48, vcc
	v_lshrrev_b32_e32 v48, 23, v14
	v_add3_u32 v50, v50, v16, v48
	v_add_u32_e32 v48, 6, v50
	v_and_b32_e32 v15, 0xfffff, v15
	v_add_u32_e32 v60, v15, v14
	v_cmp_ne_u32_e32 vcc, 0, v48
                                        ; implicit-def: $vgpr14_vgpr15
                                        ; implicit-def: $vgpr16
	s_and_saveexec_b64 s[20:21], vcc
	s_xor_b64 s[20:21], exec, s[20:21]
; %bb.2429:                             ;   in Loop: Header=BB6_2379 Depth=2
	v_cmp_lt_u64_e32 vcc, s[60:61], v[60:61]
	v_add_u32_e32 v14, 7, v50
	v_cndmask_b32_e32 v16, v48, v14, vcc
	v_cndmask_b32_e64 v14, 0, 1, vcc
	v_lshrrev_b64 v[14:15], v14, v[60:61]
; %bb.2430:                             ;   in Loop: Header=BB6_2379 Depth=2
	s_or_saveexec_b64 s[20:21], s[20:21]
	v_mov_b32_e32 v45, v51
	s_xor_b64 exec, exec, s[20:21]
; %bb.2431:                             ;   in Loop: Header=BB6_2379 Depth=2
	v_mov_b32_e32 v14, v60
	v_bfe_u32 v16, v60, 23, 1
	v_mov_b32_e32 v15, v61
; %bb.2432:                             ;   in Loop: Header=BB6_2379 Depth=2
	s_or_b64 exec, exec, s[20:21]
	v_lshrrev_b64 v[14:15], 20, v[14:15]
	v_cmp_gt_i32_e32 vcc, 16, v16
	v_cndmask_b32_e32 v15, 0, v15, vcc
	v_cndmask_b32_e32 v14, 7, v14, vcc
	v_cmp_ne_u64_e32 vcc, 0, v[14:15]
	v_cmp_ne_u32_e64 s[20:21], 0, v16
	s_or_b64 s[20:21], s[20:21], vcc
                                        ; implicit-def: $vgpr53
	s_and_saveexec_b64 s[94:95], s[20:21]
	s_xor_b64 s[20:21], exec, s[94:95]
; %bb.2433:                             ;   in Loop: Header=BB6_2379 Depth=2
	v_min_i32_e32 v15, 15, v16
	v_lshl_or_b32 v15, v15, 3, v39
	v_and_or_b32 v53, v14, 7, v15
                                        ; implicit-def: $vgpr39
; %bb.2434:                             ;   in Loop: Header=BB6_2379 Depth=2
	s_andn2_saveexec_b64 s[20:21], s[20:21]
; %bb.2435:                             ;   in Loop: Header=BB6_2379 Depth=2
	v_mov_b32_e32 v53, v39
; %bb.2436:                             ;   in Loop: Header=BB6_2379 Depth=2
	s_or_b64 exec, exec, s[20:21]
.LBB6_2437:                             ;   in Loop: Header=BB6_2379 Depth=2
	s_or_b64 exec, exec, s[92:93]
                                        ; implicit-def: $vgpr39
.LBB6_2438:                             ;   in Loop: Header=BB6_2379 Depth=2
	s_andn2_saveexec_b64 s[20:21], s[90:91]
; %bb.2439:                             ;   in Loop: Header=BB6_2379 Depth=2
	v_or_b32_e32 v53, 0x7e, v39
; %bb.2440:                             ;   in Loop: Header=BB6_2379 Depth=2
	s_or_b64 exec, exec, s[20:21]
                                        ; implicit-def: $vgpr14
.LBB6_2441:                             ;   in Loop: Header=BB6_2379 Depth=2
	s_andn2_saveexec_b64 s[20:21], s[88:89]
; %bb.2442:                             ;   in Loop: Header=BB6_2379 Depth=2
	v_or_b32_sdwa v53, v14, s53 dst_sel:DWORD dst_unused:UNUSED_PAD src0_sel:BYTE_3 src1_sel:DWORD
; %bb.2443:                             ;   in Loop: Header=BB6_2379 Depth=2
	s_or_b64 exec, exec, s[20:21]
	v_and_b32_e32 v14, 0xff, v41
	v_cmp_ne_u16_e32 vcc, 0, v14
	v_mov_b32_e32 v15, 0
	v_mov_b32_e32 v16, 0
	s_and_saveexec_b64 s[20:21], vcc
	s_cbranch_execz .LBB6_2449
; %bb.2444:                             ;   in Loop: Header=BB6_2379 Depth=2
	v_cmp_ne_u16_e32 vcc, s52, v14
	v_bfrev_b32_e32 v16, 1
	s_and_saveexec_b64 s[88:89], vcc
	s_cbranch_execz .LBB6_2448
; %bb.2445:                             ;   in Loop: Header=BB6_2379 Depth=2
	v_and_b32_e32 v39, 0x7f, v41
	v_cmp_ne_u32_e32 vcc, s53, v39
	v_mov_b32_e32 v16, 0x7f800001
	s_and_saveexec_b64 s[90:91], vcc
	s_cbranch_execz .LBB6_2447
; %bb.2446:                             ;   in Loop: Header=BB6_2379 Depth=2
	v_and_b32_e32 v16, 7, v14
	v_lshrrev_b32_e32 v48, 3, v39
	v_cmp_gt_u32_e32 vcc, 8, v39
	v_ffbh_u32_e32 v39, v16
	v_min_u32_e32 v39, 32, v39
	v_subrev_u32_e32 v50, 28, v39
	v_lshlrev_b64 v[50:51], v50, v[14:15]
	v_sub_u32_e32 v14, 29, v39
	v_and_b32_e32 v39, 7, v50
	v_cndmask_b32_e32 v14, v48, v14, vcc
	v_cndmask_b32_e32 v16, v16, v39, vcc
	v_lshlrev_b32_e32 v39, 24, v41
	v_lshlrev_b32_e32 v16, 20, v16
	v_and_b32_e32 v39, 0x80000000, v39
	v_lshl_add_u32 v14, v14, 23, v62
	v_or3_b32 v16, v39, v14, v16
.LBB6_2447:                             ;   in Loop: Header=BB6_2379 Depth=2
	s_or_b64 exec, exec, s[90:91]
.LBB6_2448:                             ;   in Loop: Header=BB6_2379 Depth=2
	s_or_b64 exec, exec, s[88:89]
.LBB6_2449:                             ;   in Loop: Header=BB6_2379 Depth=2
	s_or_b64 exec, exec, s[20:21]
	v_and_b32_e32 v14, 0xff, v40
	v_cmp_ne_u16_e32 vcc, 0, v14
	s_and_saveexec_b64 s[20:21], vcc
	s_cbranch_execz .LBB6_2455
; %bb.2450:                             ;   in Loop: Header=BB6_2379 Depth=2
	v_cmp_ne_u16_e32 vcc, s52, v14
	v_bfrev_b32_e32 v15, 1
	s_and_saveexec_b64 s[88:89], vcc
	s_cbranch_execz .LBB6_2454
; %bb.2451:                             ;   in Loop: Header=BB6_2379 Depth=2
	v_and_b32_e32 v39, 0x7f, v40
	v_cmp_ne_u32_e32 vcc, s53, v39
	v_mov_b32_e32 v15, 0x7f800001
	s_and_saveexec_b64 s[90:91], vcc
	s_cbranch_execz .LBB6_2453
; %bb.2452:                             ;   in Loop: Header=BB6_2379 Depth=2
	v_and_b32_e32 v48, 7, v14
	v_ffbh_u32_e32 v15, v48
	v_lshrrev_b32_e32 v50, 3, v39
	v_cmp_gt_u32_e32 vcc, 8, v39
	v_min_u32_e32 v39, 32, v15
	v_subrev_u32_e32 v15, 28, v39
	v_lshlrev_b64 v[14:15], v15, v[14:15]
	v_sub_u32_e32 v15, 29, v39
	v_and_b32_e32 v14, 7, v14
	v_cndmask_b32_e32 v15, v50, v15, vcc
	v_cndmask_b32_e32 v14, v48, v14, vcc
	v_lshlrev_b32_e32 v39, 24, v40
	v_lshlrev_b32_e32 v14, 20, v14
	v_and_b32_e32 v39, 0x80000000, v39
	v_lshl_add_u32 v15, v15, 23, v62
	v_or3_b32 v15, v39, v15, v14
.LBB6_2453:                             ;   in Loop: Header=BB6_2379 Depth=2
	s_or_b64 exec, exec, s[90:91]
.LBB6_2454:                             ;   in Loop: Header=BB6_2379 Depth=2
	s_or_b64 exec, exec, s[88:89]
.LBB6_2455:                             ;   in Loop: Header=BB6_2379 Depth=2
	s_or_b64 exec, exec, s[20:21]
	v_add_f32_e32 v14, v16, v15
	v_and_b32_e32 v60, 0x7f800000, v14
	v_cmp_ne_u64_e32 vcc, s[56:57], v[60:61]
                                        ; implicit-def: $vgpr40
	s_and_saveexec_b64 s[20:21], vcc
	s_xor_b64 s[88:89], exec, s[20:21]
	s_cbranch_execz .LBB6_2473
; %bb.2456:                             ;   in Loop: Header=BB6_2379 Depth=2
	v_and_b32_e32 v60, 0x7fffffff, v14
	v_cmp_gt_u64_e32 vcc, s[58:59], v[60:61]
	v_and_b32_sdwa v39, v14, s52 dst_sel:DWORD dst_unused:UNUSED_PAD src0_sel:BYTE_3 src1_sel:DWORD
                                        ; implicit-def: $vgpr40
	s_and_saveexec_b64 s[20:21], vcc
	s_xor_b64 s[90:91], exec, s[20:21]
	s_cbranch_execz .LBB6_2470
; %bb.2457:                             ;   in Loop: Header=BB6_2379 Depth=2
	v_cmp_ne_u32_e32 vcc, 0, v14
	v_mov_b32_e32 v40, 0
	s_and_saveexec_b64 s[92:93], vcc
	s_cbranch_execz .LBB6_2469
; %bb.2458:                             ;   in Loop: Header=BB6_2379 Depth=2
	v_bfe_u32 v48, v14, 23, 8
	v_and_b32_e32 v15, 0x7fffff, v14
	v_cmp_gt_u32_e64 s[20:21], s54, v48
	v_sub_u32_e32 v14, 0x79, v48
	v_cmp_eq_u32_e32 vcc, 0, v48
	v_cndmask_b32_e64 v14, 0, v14, s[20:21]
	v_mov_b32_e32 v50, 0x78
	v_cndmask_b32_e32 v50, v14, v50, vcc
	v_or_b32_e32 v16, 0x800000, v15
	v_add_u32_e32 v14, 20, v50
	v_cndmask_b32_e32 v60, v16, v15, vcc
	v_lshlrev_b64 v[14:15], v14, -1
	v_add_u32_e32 v16, 19, v50
	v_lshlrev_b64 v[40:41], v16, 1
	v_bfi_b32 v15, v15, 0, 0
	v_bfi_b32 v14, v14, 0, v60
	v_cmp_eq_u64_e64 s[20:21], v[14:15], v[40:41]
	v_lshrrev_b64 v[14:15], v50, v[60:61]
	v_mov_b32_e32 v16, v15
	v_mov_b32_e32 v15, v14
	s_and_saveexec_b64 s[94:95], s[20:21]
; %bb.2459:                             ;   in Loop: Header=BB6_2379 Depth=2
	v_bfe_u32 v15, v14, 20, 1
	v_add_co_u32_e64 v15, s[20:21], v14, v15
	v_add_co_u32_e64 v15, s[20:21], -1, v15
; %bb.2460:                             ;   in Loop: Header=BB6_2379 Depth=2
	s_or_b64 exec, exec, s[94:95]
	v_add_u32_e32 v16, 0xffffff81, v48
	v_mov_b32_e32 v48, 0xffffff82
	v_cndmask_b32_e32 v16, v16, v48, vcc
	v_lshrrev_b32_e32 v48, 23, v14
	v_add3_u32 v50, v50, v16, v48
	v_add_u32_e32 v48, 6, v50
	v_and_b32_e32 v15, 0xfffff, v15
	v_add_u32_e32 v60, v15, v14
	v_cmp_ne_u32_e32 vcc, 0, v48
                                        ; implicit-def: $vgpr14_vgpr15
                                        ; implicit-def: $vgpr16
	s_and_saveexec_b64 s[20:21], vcc
	s_xor_b64 s[20:21], exec, s[20:21]
; %bb.2461:                             ;   in Loop: Header=BB6_2379 Depth=2
	v_cmp_lt_u64_e32 vcc, s[60:61], v[60:61]
	v_add_u32_e32 v14, 7, v50
	v_cndmask_b32_e32 v16, v48, v14, vcc
	v_cndmask_b32_e64 v14, 0, 1, vcc
	v_lshrrev_b64 v[14:15], v14, v[60:61]
; %bb.2462:                             ;   in Loop: Header=BB6_2379 Depth=2
	s_andn2_saveexec_b64 s[20:21], s[20:21]
; %bb.2463:                             ;   in Loop: Header=BB6_2379 Depth=2
	v_mov_b32_e32 v14, v60
	v_bfe_u32 v16, v60, 23, 1
	v_mov_b32_e32 v15, v61
; %bb.2464:                             ;   in Loop: Header=BB6_2379 Depth=2
	s_or_b64 exec, exec, s[20:21]
	v_lshrrev_b64 v[14:15], 20, v[14:15]
	v_cmp_gt_i32_e32 vcc, 16, v16
	v_cndmask_b32_e32 v15, 0, v15, vcc
	v_cndmask_b32_e32 v14, 7, v14, vcc
	v_cmp_ne_u64_e32 vcc, 0, v[14:15]
	v_cmp_ne_u32_e64 s[20:21], 0, v16
	s_or_b64 s[20:21], s[20:21], vcc
                                        ; implicit-def: $vgpr40
	s_and_saveexec_b64 s[94:95], s[20:21]
	s_xor_b64 s[20:21], exec, s[94:95]
; %bb.2465:                             ;   in Loop: Header=BB6_2379 Depth=2
	v_min_i32_e32 v15, 15, v16
	v_lshl_or_b32 v15, v15, 3, v39
	v_and_or_b32 v40, v14, 7, v15
                                        ; implicit-def: $vgpr39
; %bb.2466:                             ;   in Loop: Header=BB6_2379 Depth=2
	s_andn2_saveexec_b64 s[20:21], s[20:21]
; %bb.2467:                             ;   in Loop: Header=BB6_2379 Depth=2
	v_mov_b32_e32 v40, v39
; %bb.2468:                             ;   in Loop: Header=BB6_2379 Depth=2
	s_or_b64 exec, exec, s[20:21]
.LBB6_2469:                             ;   in Loop: Header=BB6_2379 Depth=2
	s_or_b64 exec, exec, s[92:93]
                                        ; implicit-def: $vgpr39
.LBB6_2470:                             ;   in Loop: Header=BB6_2379 Depth=2
	s_andn2_saveexec_b64 s[20:21], s[90:91]
; %bb.2471:                             ;   in Loop: Header=BB6_2379 Depth=2
	v_or_b32_e32 v40, 0x7e, v39
; %bb.2472:                             ;   in Loop: Header=BB6_2379 Depth=2
	s_or_b64 exec, exec, s[20:21]
                                        ; implicit-def: $vgpr14
.LBB6_2473:                             ;   in Loop: Header=BB6_2379 Depth=2
	s_andn2_saveexec_b64 s[20:21], s[88:89]
; %bb.2474:                             ;   in Loop: Header=BB6_2379 Depth=2
	v_or_b32_sdwa v40, v14, s53 dst_sel:DWORD dst_unused:UNUSED_PAD src0_sel:BYTE_3 src1_sel:DWORD
; %bb.2475:                             ;   in Loop: Header=BB6_2379 Depth=2
	s_or_b64 exec, exec, s[20:21]
	v_and_b32_e32 v14, 0xff, v37
	v_cmp_ne_u16_e32 vcc, 0, v14
	v_mov_b32_e32 v15, 0
	v_mov_b32_e32 v16, 0
	s_and_saveexec_b64 s[20:21], vcc
	s_cbranch_execz .LBB6_2481
; %bb.2476:                             ;   in Loop: Header=BB6_2379 Depth=2
	v_cmp_ne_u16_e32 vcc, s52, v14
	v_bfrev_b32_e32 v16, 1
	s_and_saveexec_b64 s[88:89], vcc
	s_cbranch_execz .LBB6_2480
; %bb.2477:                             ;   in Loop: Header=BB6_2379 Depth=2
	v_and_b32_e32 v39, 0x7f, v37
	v_cmp_ne_u32_e32 vcc, s53, v39
	v_mov_b32_e32 v16, 0x7f800001
	s_and_saveexec_b64 s[90:91], vcc
	s_cbranch_execz .LBB6_2479
; %bb.2478:                             ;   in Loop: Header=BB6_2379 Depth=2
	v_and_b32_e32 v16, 7, v14
	v_lshrrev_b32_e32 v48, 3, v39
	v_cmp_gt_u32_e32 vcc, 8, v39
	v_ffbh_u32_e32 v39, v16
	v_min_u32_e32 v39, 32, v39
	v_subrev_u32_e32 v50, 28, v39
	v_lshlrev_b64 v[50:51], v50, v[14:15]
	v_sub_u32_e32 v14, 29, v39
	v_and_b32_e32 v39, 7, v50
	v_cndmask_b32_e32 v14, v48, v14, vcc
	v_cndmask_b32_e32 v16, v16, v39, vcc
	v_lshlrev_b32_e32 v37, 24, v37
	v_lshlrev_b32_e32 v16, 20, v16
	v_and_b32_e32 v37, 0x80000000, v37
	v_lshl_add_u32 v14, v14, 23, v62
	v_or3_b32 v16, v37, v14, v16
.LBB6_2479:                             ;   in Loop: Header=BB6_2379 Depth=2
	s_or_b64 exec, exec, s[90:91]
.LBB6_2480:                             ;   in Loop: Header=BB6_2379 Depth=2
	s_or_b64 exec, exec, s[88:89]
.LBB6_2481:                             ;   in Loop: Header=BB6_2379 Depth=2
	s_or_b64 exec, exec, s[20:21]
	v_and_b32_e32 v14, 0xff, v36
	v_cmp_ne_u16_e32 vcc, 0, v14
	s_and_saveexec_b64 s[20:21], vcc
	s_cbranch_execz .LBB6_2487
; %bb.2482:                             ;   in Loop: Header=BB6_2379 Depth=2
	v_cmp_ne_u16_e32 vcc, s52, v14
	v_bfrev_b32_e32 v15, 1
	s_and_saveexec_b64 s[88:89], vcc
	s_cbranch_execz .LBB6_2486
; %bb.2483:                             ;   in Loop: Header=BB6_2379 Depth=2
	v_and_b32_e32 v37, 0x7f, v36
	v_cmp_ne_u32_e32 vcc, s53, v37
	v_mov_b32_e32 v15, 0x7f800001
	s_and_saveexec_b64 s[90:91], vcc
	s_cbranch_execz .LBB6_2485
; %bb.2484:                             ;   in Loop: Header=BB6_2379 Depth=2
	v_and_b32_e32 v39, 7, v14
	v_ffbh_u32_e32 v15, v39
	v_lshrrev_b32_e32 v48, 3, v37
	v_cmp_gt_u32_e32 vcc, 8, v37
	v_min_u32_e32 v37, 32, v15
	v_subrev_u32_e32 v15, 28, v37
	v_lshlrev_b64 v[14:15], v15, v[14:15]
	v_sub_u32_e32 v15, 29, v37
	v_and_b32_e32 v14, 7, v14
	v_cndmask_b32_e32 v15, v48, v15, vcc
	v_cndmask_b32_e32 v14, v39, v14, vcc
	v_lshlrev_b32_e32 v36, 24, v36
	v_lshlrev_b32_e32 v14, 20, v14
	v_and_b32_e32 v36, 0x80000000, v36
	v_lshl_add_u32 v15, v15, 23, v62
	v_or3_b32 v15, v36, v15, v14
.LBB6_2485:                             ;   in Loop: Header=BB6_2379 Depth=2
	s_or_b64 exec, exec, s[90:91]
.LBB6_2486:                             ;   in Loop: Header=BB6_2379 Depth=2
	s_or_b64 exec, exec, s[88:89]
.LBB6_2487:                             ;   in Loop: Header=BB6_2379 Depth=2
	s_or_b64 exec, exec, s[20:21]
	v_add_f32_e32 v14, v16, v15
	v_and_b32_e32 v60, 0x7f800000, v14
	v_cmp_ne_u64_e32 vcc, s[56:57], v[60:61]
                                        ; implicit-def: $vgpr41
	s_and_saveexec_b64 s[20:21], vcc
	s_xor_b64 s[88:89], exec, s[20:21]
	s_cbranch_execz .LBB6_2505
; %bb.2488:                             ;   in Loop: Header=BB6_2379 Depth=2
	v_and_b32_e32 v60, 0x7fffffff, v14
	v_cmp_gt_u64_e32 vcc, s[58:59], v[60:61]
	v_and_b32_sdwa v36, v14, s52 dst_sel:DWORD dst_unused:UNUSED_PAD src0_sel:BYTE_3 src1_sel:DWORD
                                        ; implicit-def: $vgpr41
	s_and_saveexec_b64 s[20:21], vcc
	s_xor_b64 s[90:91], exec, s[20:21]
	s_cbranch_execz .LBB6_2502
; %bb.2489:                             ;   in Loop: Header=BB6_2379 Depth=2
	v_cmp_ne_u32_e32 vcc, 0, v14
	v_mov_b32_e32 v41, 0
	s_and_saveexec_b64 s[92:93], vcc
	s_cbranch_execz .LBB6_2501
; %bb.2490:                             ;   in Loop: Header=BB6_2379 Depth=2
	v_bfe_u32 v37, v14, 23, 8
	v_and_b32_e32 v15, 0x7fffff, v14
	v_cmp_gt_u32_e64 s[20:21], s54, v37
	v_sub_u32_e32 v14, 0x79, v37
	v_cmp_eq_u32_e32 vcc, 0, v37
	v_cndmask_b32_e64 v14, 0, v14, s[20:21]
	v_mov_b32_e32 v39, 0x78
	v_cndmask_b32_e32 v39, v14, v39, vcc
	v_or_b32_e32 v16, 0x800000, v15
	v_add_u32_e32 v14, 20, v39
	v_cndmask_b32_e32 v60, v16, v15, vcc
	v_lshlrev_b64 v[14:15], v14, -1
	v_add_u32_e32 v16, 19, v39
	v_lshlrev_b64 v[50:51], v16, 1
	v_bfi_b32 v15, v15, 0, 0
	v_bfi_b32 v14, v14, 0, v60
	v_cmp_eq_u64_e64 s[20:21], v[14:15], v[50:51]
	v_lshrrev_b64 v[14:15], v39, v[60:61]
	v_mov_b32_e32 v16, v15
	v_mov_b32_e32 v15, v14
	s_and_saveexec_b64 s[94:95], s[20:21]
; %bb.2491:                             ;   in Loop: Header=BB6_2379 Depth=2
	v_bfe_u32 v15, v14, 20, 1
	v_add_co_u32_e64 v15, s[20:21], v14, v15
	v_add_co_u32_e64 v15, s[20:21], -1, v15
; %bb.2492:                             ;   in Loop: Header=BB6_2379 Depth=2
	s_or_b64 exec, exec, s[94:95]
	v_add_u32_e32 v16, 0xffffff81, v37
	v_mov_b32_e32 v37, 0xffffff82
	v_cndmask_b32_e32 v16, v16, v37, vcc
	v_lshrrev_b32_e32 v37, 23, v14
	v_add3_u32 v39, v39, v16, v37
	v_add_u32_e32 v37, 6, v39
	v_and_b32_e32 v15, 0xfffff, v15
	v_add_u32_e32 v60, v15, v14
	v_cmp_ne_u32_e32 vcc, 0, v37
                                        ; implicit-def: $vgpr14_vgpr15
                                        ; implicit-def: $vgpr16
	s_and_saveexec_b64 s[20:21], vcc
	s_xor_b64 s[20:21], exec, s[20:21]
; %bb.2493:                             ;   in Loop: Header=BB6_2379 Depth=2
	v_cmp_lt_u64_e32 vcc, s[60:61], v[60:61]
	v_add_u32_e32 v14, 7, v39
	v_cndmask_b32_e32 v16, v37, v14, vcc
	v_cndmask_b32_e64 v14, 0, 1, vcc
	v_lshrrev_b64 v[14:15], v14, v[60:61]
; %bb.2494:                             ;   in Loop: Header=BB6_2379 Depth=2
	s_andn2_saveexec_b64 s[20:21], s[20:21]
; %bb.2495:                             ;   in Loop: Header=BB6_2379 Depth=2
	v_mov_b32_e32 v14, v60
	v_bfe_u32 v16, v60, 23, 1
	v_mov_b32_e32 v15, v61
; %bb.2496:                             ;   in Loop: Header=BB6_2379 Depth=2
	s_or_b64 exec, exec, s[20:21]
	v_lshrrev_b64 v[14:15], 20, v[14:15]
	v_cmp_gt_i32_e32 vcc, 16, v16
	v_cndmask_b32_e32 v15, 0, v15, vcc
	v_cndmask_b32_e32 v14, 7, v14, vcc
	v_cmp_ne_u64_e32 vcc, 0, v[14:15]
	v_cmp_ne_u32_e64 s[20:21], 0, v16
	s_or_b64 s[20:21], s[20:21], vcc
                                        ; implicit-def: $vgpr41
	s_and_saveexec_b64 s[94:95], s[20:21]
	s_xor_b64 s[20:21], exec, s[94:95]
; %bb.2497:                             ;   in Loop: Header=BB6_2379 Depth=2
	v_min_i32_e32 v15, 15, v16
	v_lshl_or_b32 v15, v15, 3, v36
	v_and_or_b32 v41, v14, 7, v15
                                        ; implicit-def: $vgpr36
; %bb.2498:                             ;   in Loop: Header=BB6_2379 Depth=2
	s_andn2_saveexec_b64 s[20:21], s[20:21]
; %bb.2499:                             ;   in Loop: Header=BB6_2379 Depth=2
	v_mov_b32_e32 v41, v36
; %bb.2500:                             ;   in Loop: Header=BB6_2379 Depth=2
	s_or_b64 exec, exec, s[20:21]
.LBB6_2501:                             ;   in Loop: Header=BB6_2379 Depth=2
	s_or_b64 exec, exec, s[92:93]
                                        ; implicit-def: $vgpr36
.LBB6_2502:                             ;   in Loop: Header=BB6_2379 Depth=2
	s_andn2_saveexec_b64 s[20:21], s[90:91]
; %bb.2503:                             ;   in Loop: Header=BB6_2379 Depth=2
	v_or_b32_e32 v41, 0x7e, v36
; %bb.2504:                             ;   in Loop: Header=BB6_2379 Depth=2
	s_or_b64 exec, exec, s[20:21]
                                        ; implicit-def: $vgpr14
.LBB6_2505:                             ;   in Loop: Header=BB6_2379 Depth=2
	s_andn2_saveexec_b64 s[20:21], s[88:89]
; %bb.2506:                             ;   in Loop: Header=BB6_2379 Depth=2
	v_or_b32_sdwa v41, v14, s53 dst_sel:DWORD dst_unused:UNUSED_PAD src0_sel:BYTE_3 src1_sel:DWORD
; %bb.2507:                             ;   in Loop: Header=BB6_2379 Depth=2
	s_or_b64 exec, exec, s[20:21]
	v_and_b32_e32 v14, 0xff, v34
	v_cmp_ne_u16_e32 vcc, 0, v14
	v_mov_b32_e32 v15, 0
	v_mov_b32_e32 v16, 0
	s_and_saveexec_b64 s[20:21], vcc
	s_cbranch_execz .LBB6_2513
; %bb.2508:                             ;   in Loop: Header=BB6_2379 Depth=2
	v_cmp_ne_u16_e32 vcc, s52, v14
	v_bfrev_b32_e32 v16, 1
	s_and_saveexec_b64 s[88:89], vcc
	s_cbranch_execz .LBB6_2512
; %bb.2509:                             ;   in Loop: Header=BB6_2379 Depth=2
	v_and_b32_e32 v36, 0x7f, v34
	v_cmp_ne_u32_e32 vcc, s53, v36
	v_mov_b32_e32 v16, 0x7f800001
	s_and_saveexec_b64 s[90:91], vcc
	s_cbranch_execz .LBB6_2511
; %bb.2510:                             ;   in Loop: Header=BB6_2379 Depth=2
	v_and_b32_e32 v16, 7, v14
	v_lshrrev_b32_e32 v39, 3, v36
	v_cmp_gt_u32_e32 vcc, 8, v36
	v_ffbh_u32_e32 v36, v16
	v_min_u32_e32 v48, 32, v36
	v_subrev_u32_e32 v36, 28, v48
	v_lshlrev_b64 v[36:37], v36, v[14:15]
	v_sub_u32_e32 v14, 29, v48
	v_and_b32_e32 v36, 7, v36
	v_cndmask_b32_e32 v14, v39, v14, vcc
	v_cndmask_b32_e32 v16, v16, v36, vcc
	v_lshlrev_b32_e32 v34, 24, v34
	v_lshlrev_b32_e32 v16, 20, v16
	v_and_b32_e32 v34, 0x80000000, v34
	v_lshl_add_u32 v14, v14, 23, v62
	v_or3_b32 v16, v34, v14, v16
.LBB6_2511:                             ;   in Loop: Header=BB6_2379 Depth=2
	s_or_b64 exec, exec, s[90:91]
.LBB6_2512:                             ;   in Loop: Header=BB6_2379 Depth=2
	s_or_b64 exec, exec, s[88:89]
.LBB6_2513:                             ;   in Loop: Header=BB6_2379 Depth=2
	s_or_b64 exec, exec, s[20:21]
	v_and_b32_e32 v14, 0xff, v33
	v_cmp_ne_u16_e32 vcc, 0, v14
	s_and_saveexec_b64 s[20:21], vcc
	s_cbranch_execz .LBB6_2519
; %bb.2514:                             ;   in Loop: Header=BB6_2379 Depth=2
	v_cmp_ne_u16_e32 vcc, s52, v14
	v_bfrev_b32_e32 v15, 1
	s_and_saveexec_b64 s[88:89], vcc
	s_cbranch_execz .LBB6_2518
; %bb.2515:                             ;   in Loop: Header=BB6_2379 Depth=2
	v_and_b32_e32 v34, 0x7f, v33
	v_cmp_ne_u32_e32 vcc, s53, v34
	v_mov_b32_e32 v15, 0x7f800001
	s_and_saveexec_b64 s[90:91], vcc
	s_cbranch_execz .LBB6_2517
; %bb.2516:                             ;   in Loop: Header=BB6_2379 Depth=2
	v_and_b32_e32 v36, 7, v14
	v_ffbh_u32_e32 v15, v36
	v_lshrrev_b32_e32 v37, 3, v34
	v_cmp_gt_u32_e32 vcc, 8, v34
	v_min_u32_e32 v34, 32, v15
	v_subrev_u32_e32 v15, 28, v34
	v_lshlrev_b64 v[14:15], v15, v[14:15]
	v_sub_u32_e32 v15, 29, v34
	v_and_b32_e32 v14, 7, v14
	v_cndmask_b32_e32 v15, v37, v15, vcc
	v_cndmask_b32_e32 v14, v36, v14, vcc
	v_lshlrev_b32_e32 v33, 24, v33
	v_lshlrev_b32_e32 v14, 20, v14
	v_and_b32_e32 v33, 0x80000000, v33
	v_lshl_add_u32 v15, v15, 23, v62
	v_or3_b32 v15, v33, v15, v14
.LBB6_2517:                             ;   in Loop: Header=BB6_2379 Depth=2
	s_or_b64 exec, exec, s[90:91]
.LBB6_2518:                             ;   in Loop: Header=BB6_2379 Depth=2
	s_or_b64 exec, exec, s[88:89]
.LBB6_2519:                             ;   in Loop: Header=BB6_2379 Depth=2
	s_or_b64 exec, exec, s[20:21]
	v_add_f32_e32 v14, v16, v15
	v_and_b32_e32 v60, 0x7f800000, v14
	v_cmp_ne_u64_e32 vcc, s[56:57], v[60:61]
                                        ; implicit-def: $vgpr39
	s_and_saveexec_b64 s[20:21], vcc
	s_xor_b64 s[88:89], exec, s[20:21]
	s_cbranch_execz .LBB6_2537
; %bb.2520:                             ;   in Loop: Header=BB6_2379 Depth=2
	v_and_b32_e32 v60, 0x7fffffff, v14
	v_cmp_gt_u64_e32 vcc, s[58:59], v[60:61]
	v_and_b32_sdwa v33, v14, s52 dst_sel:DWORD dst_unused:UNUSED_PAD src0_sel:BYTE_3 src1_sel:DWORD
                                        ; implicit-def: $vgpr39
	s_and_saveexec_b64 s[20:21], vcc
	s_xor_b64 s[90:91], exec, s[20:21]
	s_cbranch_execz .LBB6_2534
; %bb.2521:                             ;   in Loop: Header=BB6_2379 Depth=2
	v_cmp_ne_u32_e32 vcc, 0, v14
	v_mov_b32_e32 v39, 0
	s_and_saveexec_b64 s[92:93], vcc
	s_cbranch_execz .LBB6_2533
; %bb.2522:                             ;   in Loop: Header=BB6_2379 Depth=2
	v_bfe_u32 v34, v14, 23, 8
	v_and_b32_e32 v15, 0x7fffff, v14
	v_cmp_gt_u32_e64 s[20:21], s54, v34
	v_sub_u32_e32 v14, 0x79, v34
	v_cmp_eq_u32_e32 vcc, 0, v34
	v_cndmask_b32_e64 v14, 0, v14, s[20:21]
	v_mov_b32_e32 v36, 0x78
	v_cndmask_b32_e32 v36, v14, v36, vcc
	v_or_b32_e32 v16, 0x800000, v15
	v_add_u32_e32 v14, 20, v36
	v_cndmask_b32_e32 v60, v16, v15, vcc
	v_lshlrev_b64 v[14:15], v14, -1
	v_add_u32_e32 v16, 19, v36
	v_lshlrev_b64 v[50:51], v16, 1
	v_bfi_b32 v15, v15, 0, 0
	v_bfi_b32 v14, v14, 0, v60
	v_cmp_eq_u64_e64 s[20:21], v[14:15], v[50:51]
	v_lshrrev_b64 v[14:15], v36, v[60:61]
	v_mov_b32_e32 v16, v15
	v_mov_b32_e32 v15, v14
	s_and_saveexec_b64 s[94:95], s[20:21]
; %bb.2523:                             ;   in Loop: Header=BB6_2379 Depth=2
	v_bfe_u32 v15, v14, 20, 1
	v_add_co_u32_e64 v15, s[20:21], v14, v15
	v_add_co_u32_e64 v15, s[20:21], -1, v15
; %bb.2524:                             ;   in Loop: Header=BB6_2379 Depth=2
	s_or_b64 exec, exec, s[94:95]
	v_add_u32_e32 v16, 0xffffff81, v34
	v_mov_b32_e32 v34, 0xffffff82
	v_cndmask_b32_e32 v16, v16, v34, vcc
	v_lshrrev_b32_e32 v34, 23, v14
	v_add3_u32 v36, v36, v16, v34
	v_add_u32_e32 v34, 6, v36
	v_and_b32_e32 v15, 0xfffff, v15
	v_add_u32_e32 v60, v15, v14
	v_cmp_ne_u32_e32 vcc, 0, v34
                                        ; implicit-def: $vgpr14_vgpr15
                                        ; implicit-def: $vgpr16
	s_and_saveexec_b64 s[20:21], vcc
	s_xor_b64 s[20:21], exec, s[20:21]
; %bb.2525:                             ;   in Loop: Header=BB6_2379 Depth=2
	v_cmp_lt_u64_e32 vcc, s[60:61], v[60:61]
	v_add_u32_e32 v14, 7, v36
	v_cndmask_b32_e32 v16, v34, v14, vcc
	v_cndmask_b32_e64 v14, 0, 1, vcc
	v_lshrrev_b64 v[14:15], v14, v[60:61]
; %bb.2526:                             ;   in Loop: Header=BB6_2379 Depth=2
	s_andn2_saveexec_b64 s[20:21], s[20:21]
; %bb.2527:                             ;   in Loop: Header=BB6_2379 Depth=2
	v_mov_b32_e32 v14, v60
	v_bfe_u32 v16, v60, 23, 1
	v_mov_b32_e32 v15, v61
; %bb.2528:                             ;   in Loop: Header=BB6_2379 Depth=2
	s_or_b64 exec, exec, s[20:21]
	v_lshrrev_b64 v[14:15], 20, v[14:15]
	v_cmp_gt_i32_e32 vcc, 16, v16
	v_cndmask_b32_e32 v15, 0, v15, vcc
	v_cndmask_b32_e32 v14, 7, v14, vcc
	v_cmp_ne_u64_e32 vcc, 0, v[14:15]
	v_cmp_ne_u32_e64 s[20:21], 0, v16
	s_or_b64 s[20:21], s[20:21], vcc
                                        ; implicit-def: $vgpr39
	s_and_saveexec_b64 s[94:95], s[20:21]
	s_xor_b64 s[20:21], exec, s[94:95]
; %bb.2529:                             ;   in Loop: Header=BB6_2379 Depth=2
	v_min_i32_e32 v15, 15, v16
	v_lshl_or_b32 v15, v15, 3, v33
	v_and_or_b32 v39, v14, 7, v15
                                        ; implicit-def: $vgpr33
; %bb.2530:                             ;   in Loop: Header=BB6_2379 Depth=2
	s_andn2_saveexec_b64 s[20:21], s[20:21]
; %bb.2531:                             ;   in Loop: Header=BB6_2379 Depth=2
	v_mov_b32_e32 v39, v33
; %bb.2532:                             ;   in Loop: Header=BB6_2379 Depth=2
	s_or_b64 exec, exec, s[20:21]
.LBB6_2533:                             ;   in Loop: Header=BB6_2379 Depth=2
	s_or_b64 exec, exec, s[92:93]
                                        ; implicit-def: $vgpr33
.LBB6_2534:                             ;   in Loop: Header=BB6_2379 Depth=2
	s_andn2_saveexec_b64 s[20:21], s[90:91]
; %bb.2535:                             ;   in Loop: Header=BB6_2379 Depth=2
	v_or_b32_e32 v39, 0x7e, v33
; %bb.2536:                             ;   in Loop: Header=BB6_2379 Depth=2
	s_or_b64 exec, exec, s[20:21]
                                        ; implicit-def: $vgpr14
.LBB6_2537:                             ;   in Loop: Header=BB6_2379 Depth=2
	s_andn2_saveexec_b64 s[20:21], s[88:89]
; %bb.2538:                             ;   in Loop: Header=BB6_2379 Depth=2
	v_or_b32_sdwa v39, v14, s53 dst_sel:DWORD dst_unused:UNUSED_PAD src0_sel:BYTE_3 src1_sel:DWORD
; %bb.2539:                             ;   in Loop: Header=BB6_2379 Depth=2
	s_or_b64 exec, exec, s[20:21]
	v_and_b32_e32 v14, 0xff, v3
	v_cmp_ne_u16_e32 vcc, 0, v14
	v_mov_b32_e32 v15, 0
	v_mov_b32_e32 v16, 0
	s_and_saveexec_b64 s[20:21], vcc
	s_cbranch_execz .LBB6_2545
; %bb.2540:                             ;   in Loop: Header=BB6_2379 Depth=2
	v_cmp_ne_u16_e32 vcc, s52, v14
	v_bfrev_b32_e32 v16, 1
	s_and_saveexec_b64 s[88:89], vcc
	s_cbranch_execz .LBB6_2544
; %bb.2541:                             ;   in Loop: Header=BB6_2379 Depth=2
	v_and_b32_e32 v33, 0x7f, v3
	v_cmp_ne_u32_e32 vcc, s53, v33
	v_mov_b32_e32 v16, 0x7f800001
	s_and_saveexec_b64 s[90:91], vcc
	s_cbranch_execz .LBB6_2543
; %bb.2542:                             ;   in Loop: Header=BB6_2379 Depth=2
	v_and_b32_e32 v16, 7, v14
	v_lshrrev_b32_e32 v36, 3, v33
	v_cmp_gt_u32_e32 vcc, 8, v33
	v_ffbh_u32_e32 v33, v16
	v_min_u32_e32 v37, 32, v33
	v_subrev_u32_e32 v33, 28, v37
	v_lshlrev_b64 v[33:34], v33, v[14:15]
	v_sub_u32_e32 v14, 29, v37
	v_and_b32_e32 v33, 7, v33
	v_cndmask_b32_e32 v14, v36, v14, vcc
	v_cndmask_b32_e32 v16, v16, v33, vcc
	v_lshlrev_b32_e32 v3, 24, v3
	v_lshlrev_b32_e32 v16, 20, v16
	v_and_b32_e32 v3, 0x80000000, v3
	v_lshl_add_u32 v14, v14, 23, v62
	v_or3_b32 v16, v3, v14, v16
.LBB6_2543:                             ;   in Loop: Header=BB6_2379 Depth=2
	s_or_b64 exec, exec, s[90:91]
.LBB6_2544:                             ;   in Loop: Header=BB6_2379 Depth=2
	s_or_b64 exec, exec, s[88:89]
.LBB6_2545:                             ;   in Loop: Header=BB6_2379 Depth=2
	s_or_b64 exec, exec, s[20:21]
	v_and_b32_e32 v14, 0xff, v2
	v_cmp_ne_u16_e32 vcc, 0, v14
	s_and_saveexec_b64 s[20:21], vcc
	s_cbranch_execz .LBB6_2551
; %bb.2546:                             ;   in Loop: Header=BB6_2379 Depth=2
	v_cmp_ne_u16_e32 vcc, s52, v14
	v_bfrev_b32_e32 v15, 1
	s_and_saveexec_b64 s[88:89], vcc
	s_cbranch_execz .LBB6_2550
; %bb.2547:                             ;   in Loop: Header=BB6_2379 Depth=2
	v_and_b32_e32 v3, 0x7f, v2
	v_cmp_ne_u32_e32 vcc, s53, v3
	v_mov_b32_e32 v15, 0x7f800001
	s_and_saveexec_b64 s[90:91], vcc
	s_cbranch_execz .LBB6_2549
; %bb.2548:                             ;   in Loop: Header=BB6_2379 Depth=2
	v_and_b32_e32 v33, 7, v14
	v_lshrrev_b32_e32 v34, 3, v3
	v_cmp_gt_u32_e32 vcc, 8, v3
	v_ffbh_u32_e32 v3, v33
	v_min_u32_e32 v3, 32, v3
	v_subrev_u32_e32 v15, 28, v3
	v_lshlrev_b64 v[14:15], v15, v[14:15]
	v_sub_u32_e32 v3, 29, v3
	v_and_b32_e32 v14, 7, v14
	v_cndmask_b32_e32 v3, v34, v3, vcc
	v_cndmask_b32_e32 v14, v33, v14, vcc
	v_lshlrev_b32_e32 v2, 24, v2
	v_lshlrev_b32_e32 v14, 20, v14
	v_and_b32_e32 v2, 0x80000000, v2
	v_lshl_add_u32 v3, v3, 23, v62
	v_or3_b32 v15, v2, v3, v14
.LBB6_2549:                             ;   in Loop: Header=BB6_2379 Depth=2
	s_or_b64 exec, exec, s[90:91]
.LBB6_2550:                             ;   in Loop: Header=BB6_2379 Depth=2
	s_or_b64 exec, exec, s[88:89]
.LBB6_2551:                             ;   in Loop: Header=BB6_2379 Depth=2
	s_or_b64 exec, exec, s[20:21]
	v_add_f32_e32 v3, v16, v15
	v_and_b32_e32 v60, 0x7f800000, v3
	v_cmp_ne_u64_e32 vcc, s[56:57], v[60:61]
                                        ; implicit-def: $vgpr36
	s_and_saveexec_b64 s[20:21], vcc
	s_xor_b64 s[88:89], exec, s[20:21]
	s_cbranch_execz .LBB6_2569
; %bb.2552:                             ;   in Loop: Header=BB6_2379 Depth=2
	v_and_b32_e32 v60, 0x7fffffff, v3
	v_cmp_gt_u64_e32 vcc, s[58:59], v[60:61]
	v_and_b32_sdwa v2, v3, s52 dst_sel:DWORD dst_unused:UNUSED_PAD src0_sel:BYTE_3 src1_sel:DWORD
                                        ; implicit-def: $vgpr36
	s_and_saveexec_b64 s[20:21], vcc
	s_xor_b64 s[90:91], exec, s[20:21]
	s_cbranch_execz .LBB6_2566
; %bb.2553:                             ;   in Loop: Header=BB6_2379 Depth=2
	v_cmp_ne_u32_e32 vcc, 0, v3
	v_mov_b32_e32 v36, 0
	s_and_saveexec_b64 s[92:93], vcc
	s_cbranch_execz .LBB6_2565
; %bb.2554:                             ;   in Loop: Header=BB6_2379 Depth=2
	v_and_b32_e32 v14, 0x7fffff, v3
	v_bfe_u32 v3, v3, 23, 8
	v_cmp_gt_u32_e64 s[20:21], s54, v3
	v_sub_u32_e32 v15, 0x79, v3
	v_cmp_eq_u32_e32 vcc, 0, v3
	v_cndmask_b32_e64 v15, 0, v15, s[20:21]
	v_mov_b32_e32 v33, 0x78
	v_or_b32_e32 v16, 0x800000, v14
	v_cndmask_b32_e32 v33, v15, v33, vcc
	v_cndmask_b32_e32 v60, v16, v14, vcc
	v_add_u32_e32 v14, 20, v33
	v_lshlrev_b64 v[14:15], v14, -1
	v_add_u32_e32 v16, 19, v33
	v_lshlrev_b64 v[36:37], v16, 1
	v_bfi_b32 v15, v15, 0, 0
	v_bfi_b32 v14, v14, 0, v60
	v_cmp_eq_u64_e64 s[20:21], v[14:15], v[36:37]
	v_lshrrev_b64 v[14:15], v33, v[60:61]
	v_mov_b32_e32 v16, v15
	v_mov_b32_e32 v15, v14
	s_and_saveexec_b64 s[94:95], s[20:21]
; %bb.2555:                             ;   in Loop: Header=BB6_2379 Depth=2
	v_bfe_u32 v15, v14, 20, 1
	v_add_co_u32_e64 v15, s[20:21], v14, v15
	v_add_co_u32_e64 v15, s[20:21], -1, v15
; %bb.2556:                             ;   in Loop: Header=BB6_2379 Depth=2
	s_or_b64 exec, exec, s[94:95]
	v_add_u32_e32 v3, 0xffffff81, v3
	v_mov_b32_e32 v16, 0xffffff82
	v_cndmask_b32_e32 v3, v3, v16, vcc
	v_lshrrev_b32_e32 v16, 23, v14
	v_add3_u32 v33, v33, v3, v16
	v_add_u32_e32 v16, 6, v33
	v_and_b32_e32 v3, 0xfffff, v15
	v_add_u32_e32 v60, v3, v14
	v_cmp_ne_u32_e32 vcc, 0, v16
                                        ; implicit-def: $vgpr14_vgpr15
                                        ; implicit-def: $vgpr3
	s_and_saveexec_b64 s[20:21], vcc
	s_xor_b64 s[20:21], exec, s[20:21]
; %bb.2557:                             ;   in Loop: Header=BB6_2379 Depth=2
	v_cmp_lt_u64_e32 vcc, s[60:61], v[60:61]
	v_add_u32_e32 v3, 7, v33
	v_cndmask_b32_e64 v14, 0, 1, vcc
	v_lshrrev_b64 v[14:15], v14, v[60:61]
	v_cndmask_b32_e32 v3, v16, v3, vcc
; %bb.2558:                             ;   in Loop: Header=BB6_2379 Depth=2
	s_andn2_saveexec_b64 s[20:21], s[20:21]
; %bb.2559:                             ;   in Loop: Header=BB6_2379 Depth=2
	v_mov_b32_e32 v14, v60
	v_bfe_u32 v3, v60, 23, 1
	v_mov_b32_e32 v15, v61
; %bb.2560:                             ;   in Loop: Header=BB6_2379 Depth=2
	s_or_b64 exec, exec, s[20:21]
	v_lshrrev_b64 v[14:15], 20, v[14:15]
	v_cmp_gt_i32_e32 vcc, 16, v3
	v_cndmask_b32_e32 v15, 0, v15, vcc
	v_cndmask_b32_e32 v14, 7, v14, vcc
	v_cmp_ne_u64_e32 vcc, 0, v[14:15]
	v_cmp_ne_u32_e64 s[20:21], 0, v3
	s_or_b64 s[20:21], s[20:21], vcc
                                        ; implicit-def: $vgpr36
	s_and_saveexec_b64 s[94:95], s[20:21]
	s_xor_b64 s[20:21], exec, s[94:95]
; %bb.2561:                             ;   in Loop: Header=BB6_2379 Depth=2
	v_min_i32_e32 v3, 15, v3
	v_lshl_or_b32 v2, v3, 3, v2
	v_and_or_b32 v36, v14, 7, v2
                                        ; implicit-def: $vgpr2
; %bb.2562:                             ;   in Loop: Header=BB6_2379 Depth=2
	s_andn2_saveexec_b64 s[20:21], s[20:21]
; %bb.2563:                             ;   in Loop: Header=BB6_2379 Depth=2
	v_mov_b32_e32 v36, v2
; %bb.2564:                             ;   in Loop: Header=BB6_2379 Depth=2
	s_or_b64 exec, exec, s[20:21]
.LBB6_2565:                             ;   in Loop: Header=BB6_2379 Depth=2
	s_or_b64 exec, exec, s[92:93]
                                        ; implicit-def: $vgpr2
.LBB6_2566:                             ;   in Loop: Header=BB6_2379 Depth=2
	s_andn2_saveexec_b64 s[20:21], s[90:91]
; %bb.2567:                             ;   in Loop: Header=BB6_2379 Depth=2
	v_or_b32_e32 v36, 0x7e, v2
; %bb.2568:                             ;   in Loop: Header=BB6_2379 Depth=2
	s_or_b64 exec, exec, s[20:21]
                                        ; implicit-def: $vgpr3
.LBB6_2569:                             ;   in Loop: Header=BB6_2379 Depth=2
	s_andn2_saveexec_b64 s[20:21], s[88:89]
; %bb.2570:                             ;   in Loop: Header=BB6_2379 Depth=2
	v_or_b32_sdwa v36, v3, s53 dst_sel:DWORD dst_unused:UNUSED_PAD src0_sel:BYTE_3 src1_sel:DWORD
; %bb.2571:                             ;   in Loop: Header=BB6_2379 Depth=2
	s_or_b64 exec, exec, s[20:21]
	v_and_b32_e32 v14, 0xff, v31
	v_cmp_ne_u16_e32 vcc, 0, v14
	v_mov_b32_e32 v2, 0
	v_mov_b32_e32 v3, 0
	s_and_saveexec_b64 s[20:21], vcc
	s_cbranch_execz .LBB6_2577
; %bb.2572:                             ;   in Loop: Header=BB6_2379 Depth=2
	v_cmp_ne_u16_e32 vcc, s52, v14
	v_bfrev_b32_e32 v3, 1
	s_and_saveexec_b64 s[88:89], vcc
	s_cbranch_execz .LBB6_2576
; %bb.2573:                             ;   in Loop: Header=BB6_2379 Depth=2
	v_and_b32_e32 v15, 0x7f, v31
	v_cmp_ne_u32_e32 vcc, s53, v15
	v_mov_b32_e32 v3, 0x7f800001
	s_and_saveexec_b64 s[90:91], vcc
	s_cbranch_execz .LBB6_2575
; %bb.2574:                             ;   in Loop: Header=BB6_2379 Depth=2
	v_and_b32_e32 v3, 7, v14
	v_lshrrev_b32_e32 v16, 3, v15
	v_cmp_gt_u32_e32 vcc, 8, v15
	v_ffbh_u32_e32 v15, v3
	v_min_u32_e32 v33, 32, v15
	v_subrev_u32_e32 v15, 28, v33
	v_lshlrev_b64 v[14:15], v15, v[14:15]
	v_sub_u32_e32 v15, 29, v33
	v_and_b32_e32 v14, 7, v14
	v_cndmask_b32_e32 v15, v16, v15, vcc
	v_cndmask_b32_e32 v3, v3, v14, vcc
	v_lshlrev_b32_e32 v14, 24, v31
	v_lshlrev_b32_e32 v3, 20, v3
	v_and_b32_e32 v14, 0x80000000, v14
	v_lshl_add_u32 v15, v15, 23, v62
	v_or3_b32 v3, v14, v15, v3
.LBB6_2575:                             ;   in Loop: Header=BB6_2379 Depth=2
	s_or_b64 exec, exec, s[90:91]
.LBB6_2576:                             ;   in Loop: Header=BB6_2379 Depth=2
	s_or_b64 exec, exec, s[88:89]
.LBB6_2577:                             ;   in Loop: Header=BB6_2379 Depth=2
	s_or_b64 exec, exec, s[20:21]
	v_and_b32_e32 v14, 0xff, v38
	v_cmp_ne_u16_e32 vcc, 0, v14
	s_and_saveexec_b64 s[20:21], vcc
	s_cbranch_execz .LBB6_2583
; %bb.2578:                             ;   in Loop: Header=BB6_2379 Depth=2
	v_cmp_ne_u16_e32 vcc, s52, v14
	v_bfrev_b32_e32 v2, 1
	s_and_saveexec_b64 s[88:89], vcc
	s_cbranch_execz .LBB6_2582
; %bb.2579:                             ;   in Loop: Header=BB6_2379 Depth=2
	v_and_b32_e32 v15, 0x7f, v38
	v_cmp_ne_u32_e32 vcc, s53, v15
	v_mov_b32_e32 v2, 0x7f800001
	s_and_saveexec_b64 s[90:91], vcc
	s_cbranch_execz .LBB6_2581
; %bb.2580:                             ;   in Loop: Header=BB6_2379 Depth=2
	v_and_b32_e32 v2, 7, v14
	v_lshrrev_b32_e32 v16, 3, v15
	v_cmp_gt_u32_e32 vcc, 8, v15
	v_ffbh_u32_e32 v15, v2
	v_min_u32_e32 v31, 32, v15
	v_subrev_u32_e32 v15, 28, v31
	v_lshlrev_b64 v[14:15], v15, v[14:15]
	v_sub_u32_e32 v15, 29, v31
	v_and_b32_e32 v14, 7, v14
	v_cndmask_b32_e32 v15, v16, v15, vcc
	v_cndmask_b32_e32 v2, v2, v14, vcc
	v_lshlrev_b32_e32 v14, 24, v38
	v_lshlrev_b32_e32 v2, 20, v2
	v_and_b32_e32 v14, 0x80000000, v14
	v_lshl_add_u32 v15, v15, 23, v62
	v_or3_b32 v2, v14, v15, v2
.LBB6_2581:                             ;   in Loop: Header=BB6_2379 Depth=2
	s_or_b64 exec, exec, s[90:91]
.LBB6_2582:                             ;   in Loop: Header=BB6_2379 Depth=2
	s_or_b64 exec, exec, s[88:89]
.LBB6_2583:                             ;   in Loop: Header=BB6_2379 Depth=2
	s_or_b64 exec, exec, s[20:21]
	v_add_f32_e32 v3, v3, v2
	v_and_b32_e32 v60, 0x7f800000, v3
	v_cmp_ne_u64_e32 vcc, s[56:57], v[60:61]
                                        ; implicit-def: $vgpr38
	s_and_saveexec_b64 s[20:21], vcc
	s_xor_b64 s[88:89], exec, s[20:21]
	s_cbranch_execz .LBB6_2601
; %bb.2584:                             ;   in Loop: Header=BB6_2379 Depth=2
	v_and_b32_e32 v60, 0x7fffffff, v3
	v_cmp_gt_u64_e32 vcc, s[58:59], v[60:61]
	v_and_b32_sdwa v2, v3, s52 dst_sel:DWORD dst_unused:UNUSED_PAD src0_sel:BYTE_3 src1_sel:DWORD
                                        ; implicit-def: $vgpr38
	s_and_saveexec_b64 s[20:21], vcc
	s_xor_b64 s[90:91], exec, s[20:21]
	s_cbranch_execz .LBB6_2598
; %bb.2585:                             ;   in Loop: Header=BB6_2379 Depth=2
	v_cmp_ne_u32_e32 vcc, 0, v3
	v_mov_b32_e32 v38, 0
	s_and_saveexec_b64 s[92:93], vcc
	s_cbranch_execz .LBB6_2597
; %bb.2586:                             ;   in Loop: Header=BB6_2379 Depth=2
	v_and_b32_e32 v14, 0x7fffff, v3
	v_bfe_u32 v3, v3, 23, 8
	v_cmp_gt_u32_e64 s[20:21], s54, v3
	v_sub_u32_e32 v15, 0x79, v3
	v_cmp_eq_u32_e32 vcc, 0, v3
	v_cndmask_b32_e64 v15, 0, v15, s[20:21]
	v_mov_b32_e32 v31, 0x78
	v_or_b32_e32 v16, 0x800000, v14
	v_cndmask_b32_e32 v31, v15, v31, vcc
	v_cndmask_b32_e32 v60, v16, v14, vcc
	v_add_u32_e32 v14, 20, v31
	v_lshlrev_b64 v[14:15], v14, -1
	v_add_u32_e32 v16, 19, v31
	v_lshlrev_b64 v[33:34], v16, 1
	v_bfi_b32 v15, v15, 0, 0
	v_bfi_b32 v14, v14, 0, v60
	v_cmp_eq_u64_e64 s[20:21], v[14:15], v[33:34]
	v_lshrrev_b64 v[14:15], v31, v[60:61]
	v_mov_b32_e32 v16, v15
	v_mov_b32_e32 v15, v14
	s_and_saveexec_b64 s[94:95], s[20:21]
; %bb.2587:                             ;   in Loop: Header=BB6_2379 Depth=2
	v_bfe_u32 v15, v14, 20, 1
	v_add_co_u32_e64 v15, s[20:21], v14, v15
	v_add_co_u32_e64 v15, s[20:21], -1, v15
; %bb.2588:                             ;   in Loop: Header=BB6_2379 Depth=2
	s_or_b64 exec, exec, s[94:95]
	v_add_u32_e32 v3, 0xffffff81, v3
	v_mov_b32_e32 v16, 0xffffff82
	v_cndmask_b32_e32 v3, v3, v16, vcc
	v_lshrrev_b32_e32 v16, 23, v14
	v_add3_u32 v31, v31, v3, v16
	v_add_u32_e32 v16, 6, v31
	v_and_b32_e32 v3, 0xfffff, v15
	v_add_u32_e32 v60, v3, v14
	v_cmp_ne_u32_e32 vcc, 0, v16
                                        ; implicit-def: $vgpr14_vgpr15
                                        ; implicit-def: $vgpr3
	s_and_saveexec_b64 s[20:21], vcc
	s_xor_b64 s[20:21], exec, s[20:21]
; %bb.2589:                             ;   in Loop: Header=BB6_2379 Depth=2
	v_cmp_lt_u64_e32 vcc, s[60:61], v[60:61]
	v_add_u32_e32 v3, 7, v31
	v_cndmask_b32_e64 v14, 0, 1, vcc
	v_lshrrev_b64 v[14:15], v14, v[60:61]
	v_cndmask_b32_e32 v3, v16, v3, vcc
; %bb.2590:                             ;   in Loop: Header=BB6_2379 Depth=2
	s_andn2_saveexec_b64 s[20:21], s[20:21]
; %bb.2591:                             ;   in Loop: Header=BB6_2379 Depth=2
	v_mov_b32_e32 v14, v60
	v_bfe_u32 v3, v60, 23, 1
	v_mov_b32_e32 v15, v61
; %bb.2592:                             ;   in Loop: Header=BB6_2379 Depth=2
	s_or_b64 exec, exec, s[20:21]
	v_lshrrev_b64 v[14:15], 20, v[14:15]
	v_cmp_gt_i32_e32 vcc, 16, v3
	v_cndmask_b32_e32 v15, 0, v15, vcc
	v_cndmask_b32_e32 v14, 7, v14, vcc
	v_cmp_ne_u64_e32 vcc, 0, v[14:15]
	v_cmp_ne_u32_e64 s[20:21], 0, v3
	s_or_b64 s[20:21], s[20:21], vcc
                                        ; implicit-def: $vgpr38
	s_and_saveexec_b64 s[94:95], s[20:21]
	s_xor_b64 s[20:21], exec, s[94:95]
; %bb.2593:                             ;   in Loop: Header=BB6_2379 Depth=2
	v_min_i32_e32 v3, 15, v3
	v_lshl_or_b32 v2, v3, 3, v2
	v_and_or_b32 v38, v14, 7, v2
                                        ; implicit-def: $vgpr2
; %bb.2594:                             ;   in Loop: Header=BB6_2379 Depth=2
	s_andn2_saveexec_b64 s[20:21], s[20:21]
; %bb.2595:                             ;   in Loop: Header=BB6_2379 Depth=2
	v_mov_b32_e32 v38, v2
; %bb.2596:                             ;   in Loop: Header=BB6_2379 Depth=2
	s_or_b64 exec, exec, s[20:21]
.LBB6_2597:                             ;   in Loop: Header=BB6_2379 Depth=2
	s_or_b64 exec, exec, s[92:93]
                                        ; implicit-def: $vgpr2
.LBB6_2598:                             ;   in Loop: Header=BB6_2379 Depth=2
	s_andn2_saveexec_b64 s[20:21], s[90:91]
; %bb.2599:                             ;   in Loop: Header=BB6_2379 Depth=2
	v_or_b32_e32 v38, 0x7e, v2
; %bb.2600:                             ;   in Loop: Header=BB6_2379 Depth=2
	s_or_b64 exec, exec, s[20:21]
                                        ; implicit-def: $vgpr3
.LBB6_2601:                             ;   in Loop: Header=BB6_2379 Depth=2
	s_andn2_saveexec_b64 s[20:21], s[88:89]
; %bb.2602:                             ;   in Loop: Header=BB6_2379 Depth=2
	v_or_b32_sdwa v38, v3, s53 dst_sel:DWORD dst_unused:UNUSED_PAD src0_sel:BYTE_3 src1_sel:DWORD
; %bb.2603:                             ;   in Loop: Header=BB6_2379 Depth=2
	s_or_b64 exec, exec, s[20:21]
	v_and_b32_e32 v14, 0xff, v30
	v_cmp_ne_u16_e32 vcc, 0, v14
	v_mov_b32_e32 v2, 0
	v_mov_b32_e32 v3, 0
	s_and_saveexec_b64 s[20:21], vcc
	s_cbranch_execz .LBB6_2609
; %bb.2604:                             ;   in Loop: Header=BB6_2379 Depth=2
	v_cmp_ne_u16_e32 vcc, s52, v14
	v_bfrev_b32_e32 v3, 1
	s_and_saveexec_b64 s[88:89], vcc
	s_cbranch_execz .LBB6_2608
; %bb.2605:                             ;   in Loop: Header=BB6_2379 Depth=2
	v_and_b32_e32 v15, 0x7f, v30
	v_cmp_ne_u32_e32 vcc, s53, v15
	v_mov_b32_e32 v3, 0x7f800001
	s_and_saveexec_b64 s[90:91], vcc
	s_cbranch_execz .LBB6_2607
; %bb.2606:                             ;   in Loop: Header=BB6_2379 Depth=2
	v_and_b32_e32 v3, 7, v14
	v_lshrrev_b32_e32 v16, 3, v15
	v_cmp_gt_u32_e32 vcc, 8, v15
	v_ffbh_u32_e32 v15, v3
	v_min_u32_e32 v31, 32, v15
	v_subrev_u32_e32 v15, 28, v31
	v_lshlrev_b64 v[14:15], v15, v[14:15]
	v_sub_u32_e32 v15, 29, v31
	v_and_b32_e32 v14, 7, v14
	v_cndmask_b32_e32 v15, v16, v15, vcc
	v_cndmask_b32_e32 v3, v3, v14, vcc
	v_lshlrev_b32_e32 v14, 24, v30
	v_lshlrev_b32_e32 v3, 20, v3
	v_and_b32_e32 v14, 0x80000000, v14
	v_lshl_add_u32 v15, v15, 23, v62
	v_or3_b32 v3, v14, v15, v3
.LBB6_2607:                             ;   in Loop: Header=BB6_2379 Depth=2
	s_or_b64 exec, exec, s[90:91]
.LBB6_2608:                             ;   in Loop: Header=BB6_2379 Depth=2
	s_or_b64 exec, exec, s[88:89]
.LBB6_2609:                             ;   in Loop: Header=BB6_2379 Depth=2
	s_or_b64 exec, exec, s[20:21]
	v_and_b32_e32 v14, 0xff, v49
	v_cmp_ne_u16_e32 vcc, 0, v14
	s_and_saveexec_b64 s[20:21], vcc
	s_cbranch_execz .LBB6_2615
; %bb.2610:                             ;   in Loop: Header=BB6_2379 Depth=2
	v_cmp_ne_u16_e32 vcc, s52, v14
	v_bfrev_b32_e32 v2, 1
	s_and_saveexec_b64 s[88:89], vcc
	s_cbranch_execz .LBB6_2614
; %bb.2611:                             ;   in Loop: Header=BB6_2379 Depth=2
	v_and_b32_e32 v15, 0x7f, v49
	v_cmp_ne_u32_e32 vcc, s53, v15
	v_mov_b32_e32 v2, 0x7f800001
	s_and_saveexec_b64 s[90:91], vcc
	s_cbranch_execz .LBB6_2613
; %bb.2612:                             ;   in Loop: Header=BB6_2379 Depth=2
	v_and_b32_e32 v2, 7, v14
	v_lshrrev_b32_e32 v16, 3, v15
	v_cmp_gt_u32_e32 vcc, 8, v15
	v_ffbh_u32_e32 v15, v2
	v_min_u32_e32 v30, 32, v15
	v_subrev_u32_e32 v15, 28, v30
	v_lshlrev_b64 v[14:15], v15, v[14:15]
	v_sub_u32_e32 v15, 29, v30
	v_and_b32_e32 v14, 7, v14
	v_cndmask_b32_e32 v15, v16, v15, vcc
	v_cndmask_b32_e32 v2, v2, v14, vcc
	v_lshlrev_b32_e32 v14, 24, v49
	v_lshlrev_b32_e32 v2, 20, v2
	v_and_b32_e32 v14, 0x80000000, v14
	v_lshl_add_u32 v15, v15, 23, v62
	v_or3_b32 v2, v14, v15, v2
.LBB6_2613:                             ;   in Loop: Header=BB6_2379 Depth=2
	s_or_b64 exec, exec, s[90:91]
.LBB6_2614:                             ;   in Loop: Header=BB6_2379 Depth=2
	s_or_b64 exec, exec, s[88:89]
.LBB6_2615:                             ;   in Loop: Header=BB6_2379 Depth=2
	s_or_b64 exec, exec, s[20:21]
	v_add_f32_e32 v3, v3, v2
	v_and_b32_e32 v60, 0x7f800000, v3
	v_cmp_ne_u64_e32 vcc, s[56:57], v[60:61]
                                        ; implicit-def: $vgpr49
	s_and_saveexec_b64 s[20:21], vcc
	s_xor_b64 s[88:89], exec, s[20:21]
	s_cbranch_execz .LBB6_2633
; %bb.2616:                             ;   in Loop: Header=BB6_2379 Depth=2
	v_and_b32_e32 v60, 0x7fffffff, v3
	v_cmp_gt_u64_e32 vcc, s[58:59], v[60:61]
	v_and_b32_sdwa v2, v3, s52 dst_sel:DWORD dst_unused:UNUSED_PAD src0_sel:BYTE_3 src1_sel:DWORD
                                        ; implicit-def: $vgpr49
	s_and_saveexec_b64 s[20:21], vcc
	s_xor_b64 s[90:91], exec, s[20:21]
	s_cbranch_execz .LBB6_2630
; %bb.2617:                             ;   in Loop: Header=BB6_2379 Depth=2
	v_cmp_ne_u32_e32 vcc, 0, v3
	v_mov_b32_e32 v49, 0
	s_and_saveexec_b64 s[92:93], vcc
	s_cbranch_execz .LBB6_2629
; %bb.2618:                             ;   in Loop: Header=BB6_2379 Depth=2
	v_and_b32_e32 v14, 0x7fffff, v3
	v_bfe_u32 v3, v3, 23, 8
	v_cmp_gt_u32_e64 s[20:21], s54, v3
	v_sub_u32_e32 v15, 0x79, v3
	v_cmp_eq_u32_e32 vcc, 0, v3
	v_cndmask_b32_e64 v15, 0, v15, s[20:21]
	v_mov_b32_e32 v30, 0x78
	v_or_b32_e32 v16, 0x800000, v14
	v_cndmask_b32_e32 v30, v15, v30, vcc
	v_cndmask_b32_e32 v60, v16, v14, vcc
	v_add_u32_e32 v14, 20, v30
	v_lshlrev_b64 v[14:15], v14, -1
	v_add_u32_e32 v16, 19, v30
	v_lshlrev_b64 v[33:34], v16, 1
	v_bfi_b32 v15, v15, 0, 0
	v_bfi_b32 v14, v14, 0, v60
	v_cmp_eq_u64_e64 s[20:21], v[14:15], v[33:34]
	v_lshrrev_b64 v[14:15], v30, v[60:61]
	v_mov_b32_e32 v16, v15
	v_mov_b32_e32 v15, v14
	s_and_saveexec_b64 s[94:95], s[20:21]
; %bb.2619:                             ;   in Loop: Header=BB6_2379 Depth=2
	v_bfe_u32 v15, v14, 20, 1
	v_add_co_u32_e64 v15, s[20:21], v14, v15
	v_add_co_u32_e64 v15, s[20:21], -1, v15
; %bb.2620:                             ;   in Loop: Header=BB6_2379 Depth=2
	s_or_b64 exec, exec, s[94:95]
	v_add_u32_e32 v3, 0xffffff81, v3
	v_mov_b32_e32 v16, 0xffffff82
	v_cndmask_b32_e32 v3, v3, v16, vcc
	v_lshrrev_b32_e32 v16, 23, v14
	v_add3_u32 v30, v30, v3, v16
	v_add_u32_e32 v16, 6, v30
	v_and_b32_e32 v3, 0xfffff, v15
	v_add_u32_e32 v60, v3, v14
	v_cmp_ne_u32_e32 vcc, 0, v16
                                        ; implicit-def: $vgpr14_vgpr15
                                        ; implicit-def: $vgpr3
	s_and_saveexec_b64 s[20:21], vcc
	s_xor_b64 s[20:21], exec, s[20:21]
; %bb.2621:                             ;   in Loop: Header=BB6_2379 Depth=2
	v_cmp_lt_u64_e32 vcc, s[60:61], v[60:61]
	v_add_u32_e32 v3, 7, v30
	v_cndmask_b32_e64 v14, 0, 1, vcc
	v_lshrrev_b64 v[14:15], v14, v[60:61]
	v_cndmask_b32_e32 v3, v16, v3, vcc
; %bb.2622:                             ;   in Loop: Header=BB6_2379 Depth=2
	s_andn2_saveexec_b64 s[20:21], s[20:21]
; %bb.2623:                             ;   in Loop: Header=BB6_2379 Depth=2
	v_mov_b32_e32 v14, v60
	v_bfe_u32 v3, v60, 23, 1
	v_mov_b32_e32 v15, v61
; %bb.2624:                             ;   in Loop: Header=BB6_2379 Depth=2
	s_or_b64 exec, exec, s[20:21]
	v_lshrrev_b64 v[14:15], 20, v[14:15]
	v_cmp_gt_i32_e32 vcc, 16, v3
	v_cndmask_b32_e32 v15, 0, v15, vcc
	v_cndmask_b32_e32 v14, 7, v14, vcc
	v_cmp_ne_u64_e32 vcc, 0, v[14:15]
	v_cmp_ne_u32_e64 s[20:21], 0, v3
	s_or_b64 s[20:21], s[20:21], vcc
                                        ; implicit-def: $vgpr49
	s_and_saveexec_b64 s[94:95], s[20:21]
	s_xor_b64 s[20:21], exec, s[94:95]
; %bb.2625:                             ;   in Loop: Header=BB6_2379 Depth=2
	v_min_i32_e32 v3, 15, v3
	v_lshl_or_b32 v2, v3, 3, v2
	v_and_or_b32 v49, v14, 7, v2
                                        ; implicit-def: $vgpr2
; %bb.2626:                             ;   in Loop: Header=BB6_2379 Depth=2
	s_andn2_saveexec_b64 s[20:21], s[20:21]
; %bb.2627:                             ;   in Loop: Header=BB6_2379 Depth=2
	v_mov_b32_e32 v49, v2
; %bb.2628:                             ;   in Loop: Header=BB6_2379 Depth=2
	s_or_b64 exec, exec, s[20:21]
.LBB6_2629:                             ;   in Loop: Header=BB6_2379 Depth=2
	s_or_b64 exec, exec, s[92:93]
                                        ; implicit-def: $vgpr2
.LBB6_2630:                             ;   in Loop: Header=BB6_2379 Depth=2
	s_andn2_saveexec_b64 s[20:21], s[90:91]
; %bb.2631:                             ;   in Loop: Header=BB6_2379 Depth=2
	v_or_b32_e32 v49, 0x7e, v2
; %bb.2632:                             ;   in Loop: Header=BB6_2379 Depth=2
	s_or_b64 exec, exec, s[20:21]
                                        ; implicit-def: $vgpr3
.LBB6_2633:                             ;   in Loop: Header=BB6_2379 Depth=2
	s_andn2_saveexec_b64 s[20:21], s[88:89]
; %bb.2634:                             ;   in Loop: Header=BB6_2379 Depth=2
	v_or_b32_sdwa v49, v3, s53 dst_sel:DWORD dst_unused:UNUSED_PAD src0_sel:BYTE_3 src1_sel:DWORD
; %bb.2635:                             ;   in Loop: Header=BB6_2379 Depth=2
	s_or_b64 exec, exec, s[20:21]
	v_and_b32_e32 v14, 0xff, v35
	v_cmp_ne_u16_e32 vcc, 0, v14
	v_mov_b32_e32 v2, 0
	v_mov_b32_e32 v3, 0
	s_and_saveexec_b64 s[20:21], vcc
	s_cbranch_execz .LBB6_2641
; %bb.2636:                             ;   in Loop: Header=BB6_2379 Depth=2
	v_cmp_ne_u16_e32 vcc, s52, v14
	v_bfrev_b32_e32 v3, 1
	s_and_saveexec_b64 s[88:89], vcc
	s_cbranch_execz .LBB6_2640
; %bb.2637:                             ;   in Loop: Header=BB6_2379 Depth=2
	v_and_b32_e32 v15, 0x7f, v35
	v_cmp_ne_u32_e32 vcc, s53, v15
	v_mov_b32_e32 v3, 0x7f800001
	s_and_saveexec_b64 s[90:91], vcc
	s_cbranch_execz .LBB6_2639
; %bb.2638:                             ;   in Loop: Header=BB6_2379 Depth=2
	v_and_b32_e32 v3, 7, v14
	v_lshrrev_b32_e32 v16, 3, v15
	v_cmp_gt_u32_e32 vcc, 8, v15
	v_ffbh_u32_e32 v15, v3
	v_min_u32_e32 v30, 32, v15
	v_subrev_u32_e32 v15, 28, v30
	v_lshlrev_b64 v[14:15], v15, v[14:15]
	v_sub_u32_e32 v15, 29, v30
	v_and_b32_e32 v14, 7, v14
	v_cndmask_b32_e32 v15, v16, v15, vcc
	v_cndmask_b32_e32 v3, v3, v14, vcc
	v_lshlrev_b32_e32 v14, 24, v35
	v_lshlrev_b32_e32 v3, 20, v3
	v_and_b32_e32 v14, 0x80000000, v14
	v_lshl_add_u32 v15, v15, 23, v62
	v_or3_b32 v3, v14, v15, v3
.LBB6_2639:                             ;   in Loop: Header=BB6_2379 Depth=2
	s_or_b64 exec, exec, s[90:91]
.LBB6_2640:                             ;   in Loop: Header=BB6_2379 Depth=2
	s_or_b64 exec, exec, s[88:89]
.LBB6_2641:                             ;   in Loop: Header=BB6_2379 Depth=2
	s_or_b64 exec, exec, s[20:21]
	v_and_b32_e32 v14, 0xff, v52
	v_cmp_ne_u16_e32 vcc, 0, v14
	s_and_saveexec_b64 s[20:21], vcc
	s_cbranch_execz .LBB6_2647
; %bb.2642:                             ;   in Loop: Header=BB6_2379 Depth=2
	v_cmp_ne_u16_e32 vcc, s52, v14
	v_bfrev_b32_e32 v2, 1
	s_and_saveexec_b64 s[88:89], vcc
	s_cbranch_execz .LBB6_2646
; %bb.2643:                             ;   in Loop: Header=BB6_2379 Depth=2
	v_and_b32_e32 v15, 0x7f, v52
	v_cmp_ne_u32_e32 vcc, s53, v15
	v_mov_b32_e32 v2, 0x7f800001
	s_and_saveexec_b64 s[90:91], vcc
	s_cbranch_execz .LBB6_2645
; %bb.2644:                             ;   in Loop: Header=BB6_2379 Depth=2
	v_and_b32_e32 v2, 7, v14
	v_lshrrev_b32_e32 v16, 3, v15
	v_cmp_gt_u32_e32 vcc, 8, v15
	v_ffbh_u32_e32 v15, v2
	v_min_u32_e32 v30, 32, v15
	v_subrev_u32_e32 v15, 28, v30
	v_lshlrev_b64 v[14:15], v15, v[14:15]
	v_sub_u32_e32 v15, 29, v30
	v_and_b32_e32 v14, 7, v14
	v_cndmask_b32_e32 v15, v16, v15, vcc
	v_cndmask_b32_e32 v2, v2, v14, vcc
	v_lshlrev_b32_e32 v14, 24, v52
	v_lshlrev_b32_e32 v2, 20, v2
	v_and_b32_e32 v14, 0x80000000, v14
	v_lshl_add_u32 v15, v15, 23, v62
	v_or3_b32 v2, v14, v15, v2
.LBB6_2645:                             ;   in Loop: Header=BB6_2379 Depth=2
	s_or_b64 exec, exec, s[90:91]
.LBB6_2646:                             ;   in Loop: Header=BB6_2379 Depth=2
	s_or_b64 exec, exec, s[88:89]
.LBB6_2647:                             ;   in Loop: Header=BB6_2379 Depth=2
	s_or_b64 exec, exec, s[20:21]
	v_add_f32_e32 v3, v3, v2
	v_and_b32_e32 v60, 0x7f800000, v3
	v_cmp_ne_u64_e32 vcc, s[56:57], v[60:61]
                                        ; implicit-def: $vgpr52
	s_and_saveexec_b64 s[20:21], vcc
	s_xor_b64 s[88:89], exec, s[20:21]
	s_cbranch_execz .LBB6_2665
; %bb.2648:                             ;   in Loop: Header=BB6_2379 Depth=2
	v_and_b32_e32 v60, 0x7fffffff, v3
	v_cmp_gt_u64_e32 vcc, s[58:59], v[60:61]
	v_and_b32_sdwa v2, v3, s52 dst_sel:DWORD dst_unused:UNUSED_PAD src0_sel:BYTE_3 src1_sel:DWORD
                                        ; implicit-def: $vgpr52
	s_and_saveexec_b64 s[20:21], vcc
	s_xor_b64 s[90:91], exec, s[20:21]
	s_cbranch_execz .LBB6_2662
; %bb.2649:                             ;   in Loop: Header=BB6_2379 Depth=2
	v_cmp_ne_u32_e32 vcc, 0, v3
	v_mov_b32_e32 v52, 0
	s_and_saveexec_b64 s[92:93], vcc
	s_cbranch_execz .LBB6_2661
; %bb.2650:                             ;   in Loop: Header=BB6_2379 Depth=2
	v_and_b32_e32 v14, 0x7fffff, v3
	v_bfe_u32 v3, v3, 23, 8
	v_cmp_gt_u32_e64 s[20:21], s54, v3
	v_sub_u32_e32 v15, 0x79, v3
	v_cmp_eq_u32_e32 vcc, 0, v3
	v_cndmask_b32_e64 v15, 0, v15, s[20:21]
	v_mov_b32_e32 v30, 0x78
	v_or_b32_e32 v16, 0x800000, v14
	v_cndmask_b32_e32 v30, v15, v30, vcc
	v_cndmask_b32_e32 v60, v16, v14, vcc
	v_add_u32_e32 v14, 20, v30
	v_lshlrev_b64 v[14:15], v14, -1
	v_add_u32_e32 v16, 19, v30
	v_lshlrev_b64 v[33:34], v16, 1
	v_bfi_b32 v15, v15, 0, 0
	v_bfi_b32 v14, v14, 0, v60
	v_cmp_eq_u64_e64 s[20:21], v[14:15], v[33:34]
	v_lshrrev_b64 v[14:15], v30, v[60:61]
	v_mov_b32_e32 v16, v15
	v_mov_b32_e32 v15, v14
	s_and_saveexec_b64 s[94:95], s[20:21]
; %bb.2651:                             ;   in Loop: Header=BB6_2379 Depth=2
	v_bfe_u32 v15, v14, 20, 1
	v_add_co_u32_e64 v15, s[20:21], v14, v15
	v_add_co_u32_e64 v15, s[20:21], -1, v15
; %bb.2652:                             ;   in Loop: Header=BB6_2379 Depth=2
	s_or_b64 exec, exec, s[94:95]
	v_add_u32_e32 v3, 0xffffff81, v3
	v_mov_b32_e32 v16, 0xffffff82
	v_cndmask_b32_e32 v3, v3, v16, vcc
	v_lshrrev_b32_e32 v16, 23, v14
	v_add3_u32 v30, v30, v3, v16
	v_add_u32_e32 v16, 6, v30
	v_and_b32_e32 v3, 0xfffff, v15
	v_add_u32_e32 v60, v3, v14
	v_cmp_ne_u32_e32 vcc, 0, v16
                                        ; implicit-def: $vgpr14_vgpr15
                                        ; implicit-def: $vgpr3
	s_and_saveexec_b64 s[20:21], vcc
	s_xor_b64 s[20:21], exec, s[20:21]
; %bb.2653:                             ;   in Loop: Header=BB6_2379 Depth=2
	v_cmp_lt_u64_e32 vcc, s[60:61], v[60:61]
	v_add_u32_e32 v3, 7, v30
	v_cndmask_b32_e64 v14, 0, 1, vcc
	v_lshrrev_b64 v[14:15], v14, v[60:61]
	v_cndmask_b32_e32 v3, v16, v3, vcc
; %bb.2654:                             ;   in Loop: Header=BB6_2379 Depth=2
	s_andn2_saveexec_b64 s[20:21], s[20:21]
; %bb.2655:                             ;   in Loop: Header=BB6_2379 Depth=2
	v_mov_b32_e32 v14, v60
	v_bfe_u32 v3, v60, 23, 1
	v_mov_b32_e32 v15, v61
; %bb.2656:                             ;   in Loop: Header=BB6_2379 Depth=2
	s_or_b64 exec, exec, s[20:21]
	v_lshrrev_b64 v[14:15], 20, v[14:15]
	v_cmp_gt_i32_e32 vcc, 16, v3
	v_cndmask_b32_e32 v15, 0, v15, vcc
	v_cndmask_b32_e32 v14, 7, v14, vcc
	v_cmp_ne_u64_e32 vcc, 0, v[14:15]
	v_cmp_ne_u32_e64 s[20:21], 0, v3
	s_or_b64 s[20:21], s[20:21], vcc
                                        ; implicit-def: $vgpr52
	s_and_saveexec_b64 s[94:95], s[20:21]
	s_xor_b64 s[20:21], exec, s[94:95]
; %bb.2657:                             ;   in Loop: Header=BB6_2379 Depth=2
	v_min_i32_e32 v3, 15, v3
	v_lshl_or_b32 v2, v3, 3, v2
	v_and_or_b32 v52, v14, 7, v2
                                        ; implicit-def: $vgpr2
; %bb.2658:                             ;   in Loop: Header=BB6_2379 Depth=2
	s_andn2_saveexec_b64 s[20:21], s[20:21]
; %bb.2659:                             ;   in Loop: Header=BB6_2379 Depth=2
	v_mov_b32_e32 v52, v2
; %bb.2660:                             ;   in Loop: Header=BB6_2379 Depth=2
	s_or_b64 exec, exec, s[20:21]
.LBB6_2661:                             ;   in Loop: Header=BB6_2379 Depth=2
	s_or_b64 exec, exec, s[92:93]
                                        ; implicit-def: $vgpr2
.LBB6_2662:                             ;   in Loop: Header=BB6_2379 Depth=2
	s_andn2_saveexec_b64 s[20:21], s[90:91]
; %bb.2663:                             ;   in Loop: Header=BB6_2379 Depth=2
	v_or_b32_e32 v52, 0x7e, v2
; %bb.2664:                             ;   in Loop: Header=BB6_2379 Depth=2
	s_or_b64 exec, exec, s[20:21]
                                        ; implicit-def: $vgpr3
.LBB6_2665:                             ;   in Loop: Header=BB6_2379 Depth=2
	s_andn2_saveexec_b64 s[20:21], s[88:89]
; %bb.2666:                             ;   in Loop: Header=BB6_2379 Depth=2
	v_or_b32_sdwa v52, v3, s53 dst_sel:DWORD dst_unused:UNUSED_PAD src0_sel:BYTE_3 src1_sel:DWORD
; %bb.2667:                             ;   in Loop: Header=BB6_2379 Depth=2
	s_or_b64 exec, exec, s[20:21]
	v_and_b32_e32 v14, 0xff, v28
	v_cmp_ne_u16_e32 vcc, 0, v14
	v_mov_b32_e32 v2, 0
	v_mov_b32_e32 v3, 0
	s_and_saveexec_b64 s[20:21], vcc
	s_cbranch_execz .LBB6_2673
; %bb.2668:                             ;   in Loop: Header=BB6_2379 Depth=2
	v_cmp_ne_u16_e32 vcc, s52, v14
	v_bfrev_b32_e32 v3, 1
	s_and_saveexec_b64 s[88:89], vcc
	s_cbranch_execz .LBB6_2672
; %bb.2669:                             ;   in Loop: Header=BB6_2379 Depth=2
	v_and_b32_e32 v15, 0x7f, v28
	v_cmp_ne_u32_e32 vcc, s53, v15
	v_mov_b32_e32 v3, 0x7f800001
	s_and_saveexec_b64 s[90:91], vcc
	s_cbranch_execz .LBB6_2671
; %bb.2670:                             ;   in Loop: Header=BB6_2379 Depth=2
	v_and_b32_e32 v3, 7, v14
	v_lshrrev_b32_e32 v16, 3, v15
	v_cmp_gt_u32_e32 vcc, 8, v15
	v_ffbh_u32_e32 v15, v3
	v_min_u32_e32 v30, 32, v15
	v_subrev_u32_e32 v15, 28, v30
	v_lshlrev_b64 v[14:15], v15, v[14:15]
	v_sub_u32_e32 v15, 29, v30
	v_and_b32_e32 v14, 7, v14
	v_cndmask_b32_e32 v15, v16, v15, vcc
	v_cndmask_b32_e32 v3, v3, v14, vcc
	v_lshlrev_b32_e32 v14, 24, v28
	v_lshlrev_b32_e32 v3, 20, v3
	v_and_b32_e32 v14, 0x80000000, v14
	v_lshl_add_u32 v15, v15, 23, v62
	v_or3_b32 v3, v14, v15, v3
.LBB6_2671:                             ;   in Loop: Header=BB6_2379 Depth=2
	s_or_b64 exec, exec, s[90:91]
.LBB6_2672:                             ;   in Loop: Header=BB6_2379 Depth=2
	s_or_b64 exec, exec, s[88:89]
.LBB6_2673:                             ;   in Loop: Header=BB6_2379 Depth=2
	s_or_b64 exec, exec, s[20:21]
	v_and_b32_e32 v14, 0xff, v43
	v_cmp_ne_u16_e32 vcc, 0, v14
	s_and_saveexec_b64 s[20:21], vcc
	s_cbranch_execz .LBB6_2679
; %bb.2674:                             ;   in Loop: Header=BB6_2379 Depth=2
	v_cmp_ne_u16_e32 vcc, s52, v14
	v_bfrev_b32_e32 v2, 1
	s_and_saveexec_b64 s[88:89], vcc
	s_cbranch_execz .LBB6_2678
; %bb.2675:                             ;   in Loop: Header=BB6_2379 Depth=2
	v_and_b32_e32 v15, 0x7f, v43
	v_cmp_ne_u32_e32 vcc, s53, v15
	v_mov_b32_e32 v2, 0x7f800001
	s_and_saveexec_b64 s[90:91], vcc
	s_cbranch_execz .LBB6_2677
; %bb.2676:                             ;   in Loop: Header=BB6_2379 Depth=2
	v_and_b32_e32 v2, 7, v14
	v_lshrrev_b32_e32 v16, 3, v15
	v_cmp_gt_u32_e32 vcc, 8, v15
	v_ffbh_u32_e32 v15, v2
	v_min_u32_e32 v28, 32, v15
	v_subrev_u32_e32 v15, 28, v28
	v_lshlrev_b64 v[14:15], v15, v[14:15]
	v_sub_u32_e32 v15, 29, v28
	v_and_b32_e32 v14, 7, v14
	v_cndmask_b32_e32 v15, v16, v15, vcc
	v_cndmask_b32_e32 v2, v2, v14, vcc
	v_lshlrev_b32_e32 v14, 24, v43
	v_lshlrev_b32_e32 v2, 20, v2
	v_and_b32_e32 v14, 0x80000000, v14
	v_lshl_add_u32 v15, v15, 23, v62
	v_or3_b32 v2, v14, v15, v2
.LBB6_2677:                             ;   in Loop: Header=BB6_2379 Depth=2
	s_or_b64 exec, exec, s[90:91]
.LBB6_2678:                             ;   in Loop: Header=BB6_2379 Depth=2
	s_or_b64 exec, exec, s[88:89]
.LBB6_2679:                             ;   in Loop: Header=BB6_2379 Depth=2
	s_or_b64 exec, exec, s[20:21]
	v_add_f32_e32 v3, v3, v2
	v_and_b32_e32 v60, 0x7f800000, v3
	v_cmp_ne_u64_e32 vcc, s[56:57], v[60:61]
                                        ; implicit-def: $vgpr43
	s_and_saveexec_b64 s[20:21], vcc
	s_xor_b64 s[88:89], exec, s[20:21]
	s_cbranch_execz .LBB6_2697
; %bb.2680:                             ;   in Loop: Header=BB6_2379 Depth=2
	v_and_b32_e32 v60, 0x7fffffff, v3
	v_cmp_gt_u64_e32 vcc, s[58:59], v[60:61]
	v_and_b32_sdwa v2, v3, s52 dst_sel:DWORD dst_unused:UNUSED_PAD src0_sel:BYTE_3 src1_sel:DWORD
                                        ; implicit-def: $vgpr43
	s_and_saveexec_b64 s[20:21], vcc
	s_xor_b64 s[90:91], exec, s[20:21]
	s_cbranch_execz .LBB6_2694
; %bb.2681:                             ;   in Loop: Header=BB6_2379 Depth=2
	v_cmp_ne_u32_e32 vcc, 0, v3
	v_mov_b32_e32 v43, 0
	s_and_saveexec_b64 s[92:93], vcc
	s_cbranch_execz .LBB6_2693
; %bb.2682:                             ;   in Loop: Header=BB6_2379 Depth=2
	v_and_b32_e32 v14, 0x7fffff, v3
	v_bfe_u32 v3, v3, 23, 8
	v_cmp_gt_u32_e64 s[20:21], s54, v3
	v_sub_u32_e32 v15, 0x79, v3
	v_cmp_eq_u32_e32 vcc, 0, v3
	v_cndmask_b32_e64 v15, 0, v15, s[20:21]
	v_mov_b32_e32 v28, 0x78
	v_or_b32_e32 v16, 0x800000, v14
	v_cndmask_b32_e32 v28, v15, v28, vcc
	v_cndmask_b32_e32 v60, v16, v14, vcc
	v_add_u32_e32 v14, 20, v28
	v_lshlrev_b64 v[14:15], v14, -1
	v_add_u32_e32 v16, 19, v28
	v_lshlrev_b64 v[30:31], v16, 1
	v_bfi_b32 v15, v15, 0, 0
	v_bfi_b32 v14, v14, 0, v60
	v_cmp_eq_u64_e64 s[20:21], v[14:15], v[30:31]
	v_lshrrev_b64 v[14:15], v28, v[60:61]
	v_mov_b32_e32 v16, v15
	v_mov_b32_e32 v15, v14
	s_and_saveexec_b64 s[94:95], s[20:21]
; %bb.2683:                             ;   in Loop: Header=BB6_2379 Depth=2
	v_bfe_u32 v15, v14, 20, 1
	v_add_co_u32_e64 v15, s[20:21], v14, v15
	v_add_co_u32_e64 v15, s[20:21], -1, v15
; %bb.2684:                             ;   in Loop: Header=BB6_2379 Depth=2
	s_or_b64 exec, exec, s[94:95]
	v_add_u32_e32 v3, 0xffffff81, v3
	v_mov_b32_e32 v16, 0xffffff82
	v_cndmask_b32_e32 v3, v3, v16, vcc
	v_lshrrev_b32_e32 v16, 23, v14
	v_add3_u32 v28, v28, v3, v16
	v_add_u32_e32 v16, 6, v28
	v_and_b32_e32 v3, 0xfffff, v15
	v_add_u32_e32 v60, v3, v14
	v_cmp_ne_u32_e32 vcc, 0, v16
                                        ; implicit-def: $vgpr14_vgpr15
                                        ; implicit-def: $vgpr3
	s_and_saveexec_b64 s[20:21], vcc
	s_xor_b64 s[20:21], exec, s[20:21]
; %bb.2685:                             ;   in Loop: Header=BB6_2379 Depth=2
	v_cmp_lt_u64_e32 vcc, s[60:61], v[60:61]
	v_add_u32_e32 v3, 7, v28
	v_cndmask_b32_e64 v14, 0, 1, vcc
	v_lshrrev_b64 v[14:15], v14, v[60:61]
	v_cndmask_b32_e32 v3, v16, v3, vcc
; %bb.2686:                             ;   in Loop: Header=BB6_2379 Depth=2
	s_andn2_saveexec_b64 s[20:21], s[20:21]
; %bb.2687:                             ;   in Loop: Header=BB6_2379 Depth=2
	v_mov_b32_e32 v14, v60
	v_bfe_u32 v3, v60, 23, 1
	v_mov_b32_e32 v15, v61
; %bb.2688:                             ;   in Loop: Header=BB6_2379 Depth=2
	s_or_b64 exec, exec, s[20:21]
	v_lshrrev_b64 v[14:15], 20, v[14:15]
	v_cmp_gt_i32_e32 vcc, 16, v3
	v_cndmask_b32_e32 v15, 0, v15, vcc
	v_cndmask_b32_e32 v14, 7, v14, vcc
	v_cmp_ne_u64_e32 vcc, 0, v[14:15]
	v_cmp_ne_u32_e64 s[20:21], 0, v3
	s_or_b64 s[20:21], s[20:21], vcc
                                        ; implicit-def: $vgpr43
	s_and_saveexec_b64 s[94:95], s[20:21]
	s_xor_b64 s[20:21], exec, s[94:95]
; %bb.2689:                             ;   in Loop: Header=BB6_2379 Depth=2
	v_min_i32_e32 v3, 15, v3
	v_lshl_or_b32 v2, v3, 3, v2
	v_and_or_b32 v43, v14, 7, v2
                                        ; implicit-def: $vgpr2
; %bb.2690:                             ;   in Loop: Header=BB6_2379 Depth=2
	s_andn2_saveexec_b64 s[20:21], s[20:21]
; %bb.2691:                             ;   in Loop: Header=BB6_2379 Depth=2
	v_mov_b32_e32 v43, v2
; %bb.2692:                             ;   in Loop: Header=BB6_2379 Depth=2
	s_or_b64 exec, exec, s[20:21]
.LBB6_2693:                             ;   in Loop: Header=BB6_2379 Depth=2
	s_or_b64 exec, exec, s[92:93]
                                        ; implicit-def: $vgpr2
.LBB6_2694:                             ;   in Loop: Header=BB6_2379 Depth=2
	s_andn2_saveexec_b64 s[20:21], s[90:91]
; %bb.2695:                             ;   in Loop: Header=BB6_2379 Depth=2
	v_or_b32_e32 v43, 0x7e, v2
; %bb.2696:                             ;   in Loop: Header=BB6_2379 Depth=2
	s_or_b64 exec, exec, s[20:21]
                                        ; implicit-def: $vgpr3
.LBB6_2697:                             ;   in Loop: Header=BB6_2379 Depth=2
	s_andn2_saveexec_b64 s[20:21], s[88:89]
; %bb.2698:                             ;   in Loop: Header=BB6_2379 Depth=2
	v_or_b32_sdwa v43, v3, s53 dst_sel:DWORD dst_unused:UNUSED_PAD src0_sel:BYTE_3 src1_sel:DWORD
; %bb.2699:                             ;   in Loop: Header=BB6_2379 Depth=2
	s_or_b64 exec, exec, s[20:21]
	v_and_b32_e32 v14, 0xff, v27
	v_cmp_ne_u16_e32 vcc, 0, v14
	v_mov_b32_e32 v2, 0
	v_mov_b32_e32 v3, 0
	s_and_saveexec_b64 s[20:21], vcc
	s_cbranch_execz .LBB6_2705
; %bb.2700:                             ;   in Loop: Header=BB6_2379 Depth=2
	v_cmp_ne_u16_e32 vcc, s52, v14
	v_bfrev_b32_e32 v3, 1
	s_and_saveexec_b64 s[88:89], vcc
	s_cbranch_execz .LBB6_2704
; %bb.2701:                             ;   in Loop: Header=BB6_2379 Depth=2
	v_and_b32_e32 v15, 0x7f, v27
	v_cmp_ne_u32_e32 vcc, s53, v15
	v_mov_b32_e32 v3, 0x7f800001
	s_and_saveexec_b64 s[90:91], vcc
	s_cbranch_execz .LBB6_2703
; %bb.2702:                             ;   in Loop: Header=BB6_2379 Depth=2
	v_and_b32_e32 v3, 7, v14
	v_lshrrev_b32_e32 v16, 3, v15
	v_cmp_gt_u32_e32 vcc, 8, v15
	v_ffbh_u32_e32 v15, v3
	v_min_u32_e32 v28, 32, v15
	v_subrev_u32_e32 v15, 28, v28
	v_lshlrev_b64 v[14:15], v15, v[14:15]
	v_sub_u32_e32 v15, 29, v28
	v_and_b32_e32 v14, 7, v14
	v_cndmask_b32_e32 v15, v16, v15, vcc
	v_cndmask_b32_e32 v3, v3, v14, vcc
	v_lshlrev_b32_e32 v14, 24, v27
	v_lshlrev_b32_e32 v3, 20, v3
	v_and_b32_e32 v14, 0x80000000, v14
	v_lshl_add_u32 v15, v15, 23, v62
	v_or3_b32 v3, v14, v15, v3
.LBB6_2703:                             ;   in Loop: Header=BB6_2379 Depth=2
	s_or_b64 exec, exec, s[90:91]
.LBB6_2704:                             ;   in Loop: Header=BB6_2379 Depth=2
	s_or_b64 exec, exec, s[88:89]
.LBB6_2705:                             ;   in Loop: Header=BB6_2379 Depth=2
	s_or_b64 exec, exec, s[20:21]
	v_and_b32_e32 v14, 0xff, v57
	v_cmp_ne_u16_e32 vcc, 0, v14
	s_and_saveexec_b64 s[20:21], vcc
	s_cbranch_execz .LBB6_2711
; %bb.2706:                             ;   in Loop: Header=BB6_2379 Depth=2
	v_cmp_ne_u16_e32 vcc, s52, v14
	v_bfrev_b32_e32 v2, 1
	s_and_saveexec_b64 s[88:89], vcc
	s_cbranch_execz .LBB6_2710
; %bb.2707:                             ;   in Loop: Header=BB6_2379 Depth=2
	v_and_b32_e32 v15, 0x7f, v57
	v_cmp_ne_u32_e32 vcc, s53, v15
	v_mov_b32_e32 v2, 0x7f800001
	s_and_saveexec_b64 s[90:91], vcc
	s_cbranch_execz .LBB6_2709
; %bb.2708:                             ;   in Loop: Header=BB6_2379 Depth=2
	v_and_b32_e32 v2, 7, v14
	v_lshrrev_b32_e32 v16, 3, v15
	v_cmp_gt_u32_e32 vcc, 8, v15
	v_ffbh_u32_e32 v15, v2
	v_min_u32_e32 v27, 32, v15
	v_subrev_u32_e32 v15, 28, v27
	v_lshlrev_b64 v[14:15], v15, v[14:15]
	v_sub_u32_e32 v15, 29, v27
	v_and_b32_e32 v14, 7, v14
	v_cndmask_b32_e32 v15, v16, v15, vcc
	v_cndmask_b32_e32 v2, v2, v14, vcc
	v_lshlrev_b32_e32 v14, 24, v57
	v_lshlrev_b32_e32 v2, 20, v2
	v_and_b32_e32 v14, 0x80000000, v14
	v_lshl_add_u32 v15, v15, 23, v62
	v_or3_b32 v2, v14, v15, v2
.LBB6_2709:                             ;   in Loop: Header=BB6_2379 Depth=2
	s_or_b64 exec, exec, s[90:91]
.LBB6_2710:                             ;   in Loop: Header=BB6_2379 Depth=2
	s_or_b64 exec, exec, s[88:89]
.LBB6_2711:                             ;   in Loop: Header=BB6_2379 Depth=2
	s_or_b64 exec, exec, s[20:21]
	v_add_f32_e32 v3, v3, v2
	v_and_b32_e32 v60, 0x7f800000, v3
	v_cmp_ne_u64_e32 vcc, s[56:57], v[60:61]
                                        ; implicit-def: $vgpr57
	s_and_saveexec_b64 s[20:21], vcc
	s_xor_b64 s[88:89], exec, s[20:21]
	s_cbranch_execz .LBB6_2729
; %bb.2712:                             ;   in Loop: Header=BB6_2379 Depth=2
	v_and_b32_e32 v60, 0x7fffffff, v3
	v_cmp_gt_u64_e32 vcc, s[58:59], v[60:61]
	v_and_b32_sdwa v2, v3, s52 dst_sel:DWORD dst_unused:UNUSED_PAD src0_sel:BYTE_3 src1_sel:DWORD
                                        ; implicit-def: $vgpr57
	s_and_saveexec_b64 s[20:21], vcc
	s_xor_b64 s[90:91], exec, s[20:21]
	s_cbranch_execz .LBB6_2726
; %bb.2713:                             ;   in Loop: Header=BB6_2379 Depth=2
	v_cmp_ne_u32_e32 vcc, 0, v3
	v_mov_b32_e32 v57, 0
	s_and_saveexec_b64 s[92:93], vcc
	s_cbranch_execz .LBB6_2725
; %bb.2714:                             ;   in Loop: Header=BB6_2379 Depth=2
	v_and_b32_e32 v14, 0x7fffff, v3
	v_bfe_u32 v3, v3, 23, 8
	v_cmp_gt_u32_e64 s[20:21], s54, v3
	v_sub_u32_e32 v15, 0x79, v3
	v_cmp_eq_u32_e32 vcc, 0, v3
	v_cndmask_b32_e64 v15, 0, v15, s[20:21]
	v_mov_b32_e32 v27, 0x78
	v_or_b32_e32 v16, 0x800000, v14
	v_cndmask_b32_e32 v27, v15, v27, vcc
	v_cndmask_b32_e32 v60, v16, v14, vcc
	v_add_u32_e32 v14, 20, v27
	v_lshlrev_b64 v[14:15], v14, -1
	v_add_u32_e32 v16, 19, v27
	v_lshlrev_b64 v[30:31], v16, 1
	v_bfi_b32 v15, v15, 0, 0
	v_bfi_b32 v14, v14, 0, v60
	v_cmp_eq_u64_e64 s[20:21], v[14:15], v[30:31]
	v_lshrrev_b64 v[14:15], v27, v[60:61]
	v_mov_b32_e32 v16, v15
	v_mov_b32_e32 v15, v14
	s_and_saveexec_b64 s[94:95], s[20:21]
; %bb.2715:                             ;   in Loop: Header=BB6_2379 Depth=2
	v_bfe_u32 v15, v14, 20, 1
	v_add_co_u32_e64 v15, s[20:21], v14, v15
	v_add_co_u32_e64 v15, s[20:21], -1, v15
; %bb.2716:                             ;   in Loop: Header=BB6_2379 Depth=2
	s_or_b64 exec, exec, s[94:95]
	v_add_u32_e32 v3, 0xffffff81, v3
	v_mov_b32_e32 v16, 0xffffff82
	v_cndmask_b32_e32 v3, v3, v16, vcc
	v_lshrrev_b32_e32 v16, 23, v14
	v_add3_u32 v27, v27, v3, v16
	v_add_u32_e32 v16, 6, v27
	v_and_b32_e32 v3, 0xfffff, v15
	v_add_u32_e32 v60, v3, v14
	v_cmp_ne_u32_e32 vcc, 0, v16
                                        ; implicit-def: $vgpr14_vgpr15
                                        ; implicit-def: $vgpr3
	s_and_saveexec_b64 s[20:21], vcc
	s_xor_b64 s[20:21], exec, s[20:21]
; %bb.2717:                             ;   in Loop: Header=BB6_2379 Depth=2
	v_cmp_lt_u64_e32 vcc, s[60:61], v[60:61]
	v_add_u32_e32 v3, 7, v27
	v_cndmask_b32_e64 v14, 0, 1, vcc
	v_lshrrev_b64 v[14:15], v14, v[60:61]
	v_cndmask_b32_e32 v3, v16, v3, vcc
; %bb.2718:                             ;   in Loop: Header=BB6_2379 Depth=2
	s_andn2_saveexec_b64 s[20:21], s[20:21]
; %bb.2719:                             ;   in Loop: Header=BB6_2379 Depth=2
	v_mov_b32_e32 v14, v60
	v_bfe_u32 v3, v60, 23, 1
	v_mov_b32_e32 v15, v61
; %bb.2720:                             ;   in Loop: Header=BB6_2379 Depth=2
	s_or_b64 exec, exec, s[20:21]
	v_lshrrev_b64 v[14:15], 20, v[14:15]
	v_cmp_gt_i32_e32 vcc, 16, v3
	v_cndmask_b32_e32 v15, 0, v15, vcc
	v_cndmask_b32_e32 v14, 7, v14, vcc
	v_cmp_ne_u64_e32 vcc, 0, v[14:15]
	v_cmp_ne_u32_e64 s[20:21], 0, v3
	s_or_b64 s[20:21], s[20:21], vcc
                                        ; implicit-def: $vgpr57
	s_and_saveexec_b64 s[94:95], s[20:21]
	s_xor_b64 s[20:21], exec, s[94:95]
; %bb.2721:                             ;   in Loop: Header=BB6_2379 Depth=2
	v_min_i32_e32 v3, 15, v3
	v_lshl_or_b32 v2, v3, 3, v2
	v_and_or_b32 v57, v14, 7, v2
                                        ; implicit-def: $vgpr2
; %bb.2722:                             ;   in Loop: Header=BB6_2379 Depth=2
	s_andn2_saveexec_b64 s[20:21], s[20:21]
; %bb.2723:                             ;   in Loop: Header=BB6_2379 Depth=2
	v_mov_b32_e32 v57, v2
; %bb.2724:                             ;   in Loop: Header=BB6_2379 Depth=2
	s_or_b64 exec, exec, s[20:21]
.LBB6_2725:                             ;   in Loop: Header=BB6_2379 Depth=2
	s_or_b64 exec, exec, s[92:93]
                                        ; implicit-def: $vgpr2
.LBB6_2726:                             ;   in Loop: Header=BB6_2379 Depth=2
	s_andn2_saveexec_b64 s[20:21], s[90:91]
; %bb.2727:                             ;   in Loop: Header=BB6_2379 Depth=2
	v_or_b32_e32 v57, 0x7e, v2
; %bb.2728:                             ;   in Loop: Header=BB6_2379 Depth=2
	s_or_b64 exec, exec, s[20:21]
                                        ; implicit-def: $vgpr3
.LBB6_2729:                             ;   in Loop: Header=BB6_2379 Depth=2
	s_andn2_saveexec_b64 s[20:21], s[88:89]
; %bb.2730:                             ;   in Loop: Header=BB6_2379 Depth=2
	v_or_b32_sdwa v57, v3, s53 dst_sel:DWORD dst_unused:UNUSED_PAD src0_sel:BYTE_3 src1_sel:DWORD
; %bb.2731:                             ;   in Loop: Header=BB6_2379 Depth=2
	s_or_b64 exec, exec, s[20:21]
	v_and_b32_e32 v14, 0xff, v32
	v_cmp_ne_u16_e32 vcc, 0, v14
	v_mov_b32_e32 v2, 0
	v_mov_b32_e32 v3, 0
	s_and_saveexec_b64 s[20:21], vcc
	s_cbranch_execz .LBB6_2737
; %bb.2732:                             ;   in Loop: Header=BB6_2379 Depth=2
	v_cmp_ne_u16_e32 vcc, s52, v14
	v_bfrev_b32_e32 v3, 1
	s_and_saveexec_b64 s[88:89], vcc
	s_cbranch_execz .LBB6_2736
; %bb.2733:                             ;   in Loop: Header=BB6_2379 Depth=2
	v_and_b32_e32 v15, 0x7f, v32
	v_cmp_ne_u32_e32 vcc, s53, v15
	v_mov_b32_e32 v3, 0x7f800001
	s_and_saveexec_b64 s[90:91], vcc
	s_cbranch_execz .LBB6_2735
; %bb.2734:                             ;   in Loop: Header=BB6_2379 Depth=2
	v_and_b32_e32 v3, 7, v14
	v_lshrrev_b32_e32 v16, 3, v15
	v_cmp_gt_u32_e32 vcc, 8, v15
	v_ffbh_u32_e32 v15, v3
	v_min_u32_e32 v27, 32, v15
	v_subrev_u32_e32 v15, 28, v27
	v_lshlrev_b64 v[14:15], v15, v[14:15]
	v_sub_u32_e32 v15, 29, v27
	v_and_b32_e32 v14, 7, v14
	v_cndmask_b32_e32 v15, v16, v15, vcc
	v_cndmask_b32_e32 v3, v3, v14, vcc
	v_lshlrev_b32_e32 v14, 24, v32
	v_lshlrev_b32_e32 v3, 20, v3
	v_and_b32_e32 v14, 0x80000000, v14
	v_lshl_add_u32 v15, v15, 23, v62
	v_or3_b32 v3, v14, v15, v3
.LBB6_2735:                             ;   in Loop: Header=BB6_2379 Depth=2
	s_or_b64 exec, exec, s[90:91]
.LBB6_2736:                             ;   in Loop: Header=BB6_2379 Depth=2
	s_or_b64 exec, exec, s[88:89]
.LBB6_2737:                             ;   in Loop: Header=BB6_2379 Depth=2
	s_or_b64 exec, exec, s[20:21]
	v_and_b32_e32 v14, 0xff, v19
	v_cmp_ne_u16_e32 vcc, 0, v14
	s_and_saveexec_b64 s[20:21], vcc
	s_cbranch_execz .LBB6_2743
; %bb.2738:                             ;   in Loop: Header=BB6_2379 Depth=2
	v_cmp_ne_u16_e32 vcc, s52, v14
	v_bfrev_b32_e32 v2, 1
	s_and_saveexec_b64 s[88:89], vcc
	s_cbranch_execz .LBB6_2742
; %bb.2739:                             ;   in Loop: Header=BB6_2379 Depth=2
	v_and_b32_e32 v15, 0x7f, v19
	v_cmp_ne_u32_e32 vcc, s53, v15
	v_mov_b32_e32 v2, 0x7f800001
	s_and_saveexec_b64 s[90:91], vcc
	s_cbranch_execz .LBB6_2741
; %bb.2740:                             ;   in Loop: Header=BB6_2379 Depth=2
	v_and_b32_e32 v2, 7, v14
	v_lshrrev_b32_e32 v16, 3, v15
	v_cmp_gt_u32_e32 vcc, 8, v15
	v_ffbh_u32_e32 v15, v2
	v_min_u32_e32 v27, 32, v15
	v_subrev_u32_e32 v15, 28, v27
	v_lshlrev_b64 v[14:15], v15, v[14:15]
	v_sub_u32_e32 v15, 29, v27
	v_and_b32_e32 v14, 7, v14
	v_cndmask_b32_e32 v15, v16, v15, vcc
	v_cndmask_b32_e32 v2, v2, v14, vcc
	v_lshlrev_b32_e32 v14, 24, v19
	v_lshlrev_b32_e32 v2, 20, v2
	v_and_b32_e32 v14, 0x80000000, v14
	v_lshl_add_u32 v15, v15, 23, v62
	v_or3_b32 v2, v14, v15, v2
.LBB6_2741:                             ;   in Loop: Header=BB6_2379 Depth=2
	s_or_b64 exec, exec, s[90:91]
.LBB6_2742:                             ;   in Loop: Header=BB6_2379 Depth=2
	s_or_b64 exec, exec, s[88:89]
.LBB6_2743:                             ;   in Loop: Header=BB6_2379 Depth=2
	s_or_b64 exec, exec, s[20:21]
	v_add_f32_e32 v3, v3, v2
	v_and_b32_e32 v60, 0x7f800000, v3
	v_cmp_ne_u64_e32 vcc, s[56:57], v[60:61]
                                        ; implicit-def: $vgpr19
	s_and_saveexec_b64 s[20:21], vcc
	s_xor_b64 s[88:89], exec, s[20:21]
	s_cbranch_execz .LBB6_2761
; %bb.2744:                             ;   in Loop: Header=BB6_2379 Depth=2
	v_and_b32_e32 v60, 0x7fffffff, v3
	v_cmp_gt_u64_e32 vcc, s[58:59], v[60:61]
	v_and_b32_sdwa v2, v3, s52 dst_sel:DWORD dst_unused:UNUSED_PAD src0_sel:BYTE_3 src1_sel:DWORD
                                        ; implicit-def: $vgpr19
	s_and_saveexec_b64 s[20:21], vcc
	s_xor_b64 s[90:91], exec, s[20:21]
	s_cbranch_execz .LBB6_2758
; %bb.2745:                             ;   in Loop: Header=BB6_2379 Depth=2
	v_cmp_ne_u32_e32 vcc, 0, v3
	v_mov_b32_e32 v19, 0
	s_and_saveexec_b64 s[92:93], vcc
	s_cbranch_execz .LBB6_2757
; %bb.2746:                             ;   in Loop: Header=BB6_2379 Depth=2
	v_and_b32_e32 v14, 0x7fffff, v3
	v_bfe_u32 v3, v3, 23, 8
	v_cmp_gt_u32_e64 s[20:21], s54, v3
	v_sub_u32_e32 v15, 0x79, v3
	v_cmp_eq_u32_e32 vcc, 0, v3
	v_cndmask_b32_e64 v15, 0, v15, s[20:21]
	v_mov_b32_e32 v19, 0x78
	v_or_b32_e32 v16, 0x800000, v14
	v_cndmask_b32_e32 v19, v15, v19, vcc
	v_cndmask_b32_e32 v60, v16, v14, vcc
	v_add_u32_e32 v14, 20, v19
	v_lshlrev_b64 v[14:15], v14, -1
	v_add_u32_e32 v16, 19, v19
	v_lshlrev_b64 v[27:28], v16, 1
	v_bfi_b32 v15, v15, 0, 0
	v_bfi_b32 v14, v14, 0, v60
	v_cmp_eq_u64_e64 s[20:21], v[14:15], v[27:28]
	v_lshrrev_b64 v[14:15], v19, v[60:61]
	v_mov_b32_e32 v16, v15
	v_mov_b32_e32 v15, v14
	s_and_saveexec_b64 s[94:95], s[20:21]
; %bb.2747:                             ;   in Loop: Header=BB6_2379 Depth=2
	v_bfe_u32 v15, v14, 20, 1
	v_add_co_u32_e64 v15, s[20:21], v14, v15
	v_add_co_u32_e64 v15, s[20:21], -1, v15
; %bb.2748:                             ;   in Loop: Header=BB6_2379 Depth=2
	s_or_b64 exec, exec, s[94:95]
	v_add_u32_e32 v3, 0xffffff81, v3
	v_mov_b32_e32 v16, 0xffffff82
	v_cndmask_b32_e32 v3, v3, v16, vcc
	v_lshrrev_b32_e32 v16, 23, v14
	v_add3_u32 v19, v19, v3, v16
	v_add_u32_e32 v16, 6, v19
	v_and_b32_e32 v3, 0xfffff, v15
	v_add_u32_e32 v60, v3, v14
	v_cmp_ne_u32_e32 vcc, 0, v16
                                        ; implicit-def: $vgpr14_vgpr15
                                        ; implicit-def: $vgpr3
	s_and_saveexec_b64 s[20:21], vcc
	s_xor_b64 s[20:21], exec, s[20:21]
; %bb.2749:                             ;   in Loop: Header=BB6_2379 Depth=2
	v_cmp_lt_u64_e32 vcc, s[60:61], v[60:61]
	v_add_u32_e32 v3, 7, v19
	v_cndmask_b32_e64 v14, 0, 1, vcc
	v_lshrrev_b64 v[14:15], v14, v[60:61]
	v_cndmask_b32_e32 v3, v16, v3, vcc
; %bb.2750:                             ;   in Loop: Header=BB6_2379 Depth=2
	s_andn2_saveexec_b64 s[20:21], s[20:21]
; %bb.2751:                             ;   in Loop: Header=BB6_2379 Depth=2
	v_mov_b32_e32 v14, v60
	v_bfe_u32 v3, v60, 23, 1
	v_mov_b32_e32 v15, v61
; %bb.2752:                             ;   in Loop: Header=BB6_2379 Depth=2
	s_or_b64 exec, exec, s[20:21]
	v_lshrrev_b64 v[14:15], 20, v[14:15]
	v_cmp_gt_i32_e32 vcc, 16, v3
	v_cndmask_b32_e32 v15, 0, v15, vcc
	v_cndmask_b32_e32 v14, 7, v14, vcc
	v_cmp_ne_u64_e32 vcc, 0, v[14:15]
	v_cmp_ne_u32_e64 s[20:21], 0, v3
	s_or_b64 s[20:21], s[20:21], vcc
                                        ; implicit-def: $vgpr19
	s_and_saveexec_b64 s[94:95], s[20:21]
	s_xor_b64 s[20:21], exec, s[94:95]
; %bb.2753:                             ;   in Loop: Header=BB6_2379 Depth=2
	v_min_i32_e32 v3, 15, v3
	v_lshl_or_b32 v2, v3, 3, v2
	v_and_or_b32 v19, v14, 7, v2
                                        ; implicit-def: $vgpr2
; %bb.2754:                             ;   in Loop: Header=BB6_2379 Depth=2
	s_andn2_saveexec_b64 s[20:21], s[20:21]
; %bb.2755:                             ;   in Loop: Header=BB6_2379 Depth=2
	v_mov_b32_e32 v19, v2
; %bb.2756:                             ;   in Loop: Header=BB6_2379 Depth=2
	s_or_b64 exec, exec, s[20:21]
.LBB6_2757:                             ;   in Loop: Header=BB6_2379 Depth=2
	s_or_b64 exec, exec, s[92:93]
                                        ; implicit-def: $vgpr2
.LBB6_2758:                             ;   in Loop: Header=BB6_2379 Depth=2
	s_andn2_saveexec_b64 s[20:21], s[90:91]
; %bb.2759:                             ;   in Loop: Header=BB6_2379 Depth=2
	v_or_b32_e32 v19, 0x7e, v2
; %bb.2760:                             ;   in Loop: Header=BB6_2379 Depth=2
	s_or_b64 exec, exec, s[20:21]
                                        ; implicit-def: $vgpr3
.LBB6_2761:                             ;   in Loop: Header=BB6_2379 Depth=2
	s_andn2_saveexec_b64 s[20:21], s[88:89]
; %bb.2762:                             ;   in Loop: Header=BB6_2379 Depth=2
	v_or_b32_sdwa v19, v3, s53 dst_sel:DWORD dst_unused:UNUSED_PAD src0_sel:BYTE_3 src1_sel:DWORD
; %bb.2763:                             ;   in Loop: Header=BB6_2379 Depth=2
	s_or_b64 exec, exec, s[20:21]
	v_and_b32_e32 v14, 0xff, v24
	v_cmp_ne_u16_e32 vcc, 0, v14
	v_mov_b32_e32 v2, 0
	v_mov_b32_e32 v3, 0
	s_and_saveexec_b64 s[20:21], vcc
	s_cbranch_execz .LBB6_2769
; %bb.2764:                             ;   in Loop: Header=BB6_2379 Depth=2
	v_cmp_ne_u16_e32 vcc, s52, v14
	v_bfrev_b32_e32 v3, 1
	s_and_saveexec_b64 s[88:89], vcc
	s_cbranch_execz .LBB6_2768
; %bb.2765:                             ;   in Loop: Header=BB6_2379 Depth=2
	v_and_b32_e32 v15, 0x7f, v24
	v_cmp_ne_u32_e32 vcc, s53, v15
	v_mov_b32_e32 v3, 0x7f800001
	s_and_saveexec_b64 s[90:91], vcc
	s_cbranch_execz .LBB6_2767
; %bb.2766:                             ;   in Loop: Header=BB6_2379 Depth=2
	v_and_b32_e32 v3, 7, v14
	v_lshrrev_b32_e32 v16, 3, v15
	v_cmp_gt_u32_e32 vcc, 8, v15
	v_ffbh_u32_e32 v15, v3
	v_min_u32_e32 v27, 32, v15
	v_subrev_u32_e32 v15, 28, v27
	v_lshlrev_b64 v[14:15], v15, v[14:15]
	v_sub_u32_e32 v15, 29, v27
	v_and_b32_e32 v14, 7, v14
	v_cndmask_b32_e32 v15, v16, v15, vcc
	v_cndmask_b32_e32 v3, v3, v14, vcc
	v_lshlrev_b32_e32 v14, 24, v24
	v_lshlrev_b32_e32 v3, 20, v3
	v_and_b32_e32 v14, 0x80000000, v14
	v_lshl_add_u32 v15, v15, 23, v62
	v_or3_b32 v3, v14, v15, v3
.LBB6_2767:                             ;   in Loop: Header=BB6_2379 Depth=2
	s_or_b64 exec, exec, s[90:91]
.LBB6_2768:                             ;   in Loop: Header=BB6_2379 Depth=2
	s_or_b64 exec, exec, s[88:89]
.LBB6_2769:                             ;   in Loop: Header=BB6_2379 Depth=2
	s_or_b64 exec, exec, s[20:21]
	v_and_b32_e32 v14, 0xff, v5
	v_cmp_ne_u16_e32 vcc, 0, v14
	s_and_saveexec_b64 s[20:21], vcc
	s_cbranch_execz .LBB6_2775
; %bb.2770:                             ;   in Loop: Header=BB6_2379 Depth=2
	v_cmp_ne_u16_e32 vcc, s52, v14
	v_bfrev_b32_e32 v2, 1
	s_and_saveexec_b64 s[88:89], vcc
	s_cbranch_execz .LBB6_2774
; %bb.2771:                             ;   in Loop: Header=BB6_2379 Depth=2
	v_and_b32_e32 v15, 0x7f, v5
	v_cmp_ne_u32_e32 vcc, s53, v15
	v_mov_b32_e32 v2, 0x7f800001
	s_and_saveexec_b64 s[90:91], vcc
	s_cbranch_execz .LBB6_2773
; %bb.2772:                             ;   in Loop: Header=BB6_2379 Depth=2
	v_and_b32_e32 v2, 7, v14
	v_lshrrev_b32_e32 v16, 3, v15
	v_cmp_gt_u32_e32 vcc, 8, v15
	v_ffbh_u32_e32 v15, v2
	v_min_u32_e32 v24, 32, v15
	v_subrev_u32_e32 v15, 28, v24
	v_lshlrev_b64 v[14:15], v15, v[14:15]
	v_sub_u32_e32 v15, 29, v24
	v_and_b32_e32 v14, 7, v14
	v_cndmask_b32_e32 v15, v16, v15, vcc
	v_cndmask_b32_e32 v2, v2, v14, vcc
	v_lshlrev_b32_e32 v5, 24, v5
	v_lshlrev_b32_e32 v2, 20, v2
	v_and_b32_e32 v5, 0x80000000, v5
	v_lshl_add_u32 v14, v15, 23, v62
	v_or3_b32 v2, v5, v14, v2
.LBB6_2773:                             ;   in Loop: Header=BB6_2379 Depth=2
	s_or_b64 exec, exec, s[90:91]
.LBB6_2774:                             ;   in Loop: Header=BB6_2379 Depth=2
	s_or_b64 exec, exec, s[88:89]
.LBB6_2775:                             ;   in Loop: Header=BB6_2379 Depth=2
	s_or_b64 exec, exec, s[20:21]
	v_add_f32_e32 v3, v3, v2
	v_and_b32_e32 v60, 0x7f800000, v3
	v_cmp_ne_u64_e32 vcc, s[56:57], v[60:61]
                                        ; implicit-def: $vgpr5
	s_and_saveexec_b64 s[20:21], vcc
	s_xor_b64 s[88:89], exec, s[20:21]
	s_cbranch_execz .LBB6_2793
; %bb.2776:                             ;   in Loop: Header=BB6_2379 Depth=2
	v_and_b32_e32 v60, 0x7fffffff, v3
	v_cmp_gt_u64_e32 vcc, s[58:59], v[60:61]
	v_and_b32_sdwa v2, v3, s52 dst_sel:DWORD dst_unused:UNUSED_PAD src0_sel:BYTE_3 src1_sel:DWORD
                                        ; implicit-def: $vgpr5
	s_and_saveexec_b64 s[20:21], vcc
	s_xor_b64 s[90:91], exec, s[20:21]
	s_cbranch_execz .LBB6_2790
; %bb.2777:                             ;   in Loop: Header=BB6_2379 Depth=2
	v_cmp_ne_u32_e32 vcc, 0, v3
	v_mov_b32_e32 v5, 0
	s_and_saveexec_b64 s[92:93], vcc
	s_cbranch_execz .LBB6_2789
; %bb.2778:                             ;   in Loop: Header=BB6_2379 Depth=2
	v_and_b32_e32 v14, 0x7fffff, v3
	v_bfe_u32 v3, v3, 23, 8
	v_cmp_gt_u32_e64 s[20:21], s54, v3
	v_sub_u32_e32 v5, 0x79, v3
	v_cmp_eq_u32_e32 vcc, 0, v3
	v_cndmask_b32_e64 v5, 0, v5, s[20:21]
	v_mov_b32_e32 v16, 0x78
	v_or_b32_e32 v15, 0x800000, v14
	v_cndmask_b32_e32 v5, v5, v16, vcc
	v_cndmask_b32_e32 v60, v15, v14, vcc
	v_add_u32_e32 v14, 20, v5
	v_lshlrev_b64 v[14:15], v14, -1
	v_add_u32_e32 v16, 19, v5
	v_lshlrev_b64 v[27:28], v16, 1
	v_bfi_b32 v15, v15, 0, 0
	v_bfi_b32 v14, v14, 0, v60
	v_cmp_eq_u64_e64 s[20:21], v[14:15], v[27:28]
	v_lshrrev_b64 v[14:15], v5, v[60:61]
	v_mov_b32_e32 v16, v15
	v_mov_b32_e32 v15, v14
	s_and_saveexec_b64 s[94:95], s[20:21]
; %bb.2779:                             ;   in Loop: Header=BB6_2379 Depth=2
	v_bfe_u32 v15, v14, 20, 1
	v_add_co_u32_e64 v15, s[20:21], v14, v15
	v_add_co_u32_e64 v15, s[20:21], -1, v15
; %bb.2780:                             ;   in Loop: Header=BB6_2379 Depth=2
	s_or_b64 exec, exec, s[94:95]
	v_add_u32_e32 v3, 0xffffff81, v3
	v_mov_b32_e32 v16, 0xffffff82
	v_cndmask_b32_e32 v3, v3, v16, vcc
	v_lshrrev_b32_e32 v16, 23, v14
	v_add3_u32 v16, v5, v3, v16
	v_add_u32_e32 v5, 6, v16
	v_and_b32_e32 v3, 0xfffff, v15
	v_add_u32_e32 v60, v3, v14
	v_cmp_ne_u32_e32 vcc, 0, v5
                                        ; implicit-def: $vgpr14_vgpr15
                                        ; implicit-def: $vgpr3
	s_and_saveexec_b64 s[20:21], vcc
	s_xor_b64 s[20:21], exec, s[20:21]
; %bb.2781:                             ;   in Loop: Header=BB6_2379 Depth=2
	v_cmp_lt_u64_e32 vcc, s[60:61], v[60:61]
	v_add_u32_e32 v3, 7, v16
	v_cndmask_b32_e32 v3, v5, v3, vcc
	v_cndmask_b32_e64 v5, 0, 1, vcc
	v_lshrrev_b64 v[14:15], v5, v[60:61]
; %bb.2782:                             ;   in Loop: Header=BB6_2379 Depth=2
	s_andn2_saveexec_b64 s[20:21], s[20:21]
; %bb.2783:                             ;   in Loop: Header=BB6_2379 Depth=2
	v_mov_b32_e32 v14, v60
	v_bfe_u32 v3, v60, 23, 1
	v_mov_b32_e32 v15, v61
; %bb.2784:                             ;   in Loop: Header=BB6_2379 Depth=2
	s_or_b64 exec, exec, s[20:21]
	v_lshrrev_b64 v[14:15], 20, v[14:15]
	v_cmp_gt_i32_e32 vcc, 16, v3
	v_cndmask_b32_e32 v15, 0, v15, vcc
	v_cndmask_b32_e32 v14, 7, v14, vcc
	v_cmp_ne_u64_e32 vcc, 0, v[14:15]
	v_cmp_ne_u32_e64 s[20:21], 0, v3
	s_or_b64 s[20:21], s[20:21], vcc
                                        ; implicit-def: $vgpr5
	s_and_saveexec_b64 s[94:95], s[20:21]
	s_xor_b64 s[20:21], exec, s[94:95]
; %bb.2785:                             ;   in Loop: Header=BB6_2379 Depth=2
	v_min_i32_e32 v3, 15, v3
	v_lshl_or_b32 v2, v3, 3, v2
	v_and_or_b32 v5, v14, 7, v2
                                        ; implicit-def: $vgpr2
; %bb.2786:                             ;   in Loop: Header=BB6_2379 Depth=2
	s_andn2_saveexec_b64 s[20:21], s[20:21]
; %bb.2787:                             ;   in Loop: Header=BB6_2379 Depth=2
	v_mov_b32_e32 v5, v2
; %bb.2788:                             ;   in Loop: Header=BB6_2379 Depth=2
	s_or_b64 exec, exec, s[20:21]
.LBB6_2789:                             ;   in Loop: Header=BB6_2379 Depth=2
	s_or_b64 exec, exec, s[92:93]
                                        ; implicit-def: $vgpr2
.LBB6_2790:                             ;   in Loop: Header=BB6_2379 Depth=2
	s_andn2_saveexec_b64 s[20:21], s[90:91]
; %bb.2791:                             ;   in Loop: Header=BB6_2379 Depth=2
	v_or_b32_e32 v5, 0x7e, v2
; %bb.2792:                             ;   in Loop: Header=BB6_2379 Depth=2
	s_or_b64 exec, exec, s[20:21]
                                        ; implicit-def: $vgpr3
.LBB6_2793:                             ;   in Loop: Header=BB6_2379 Depth=2
	s_andn2_saveexec_b64 s[20:21], s[88:89]
; %bb.2794:                             ;   in Loop: Header=BB6_2379 Depth=2
	v_or_b32_sdwa v5, v3, s53 dst_sel:DWORD dst_unused:UNUSED_PAD src0_sel:BYTE_3 src1_sel:DWORD
; %bb.2795:                             ;   in Loop: Header=BB6_2379 Depth=2
	s_or_b64 exec, exec, s[20:21]
	v_and_b32_e32 v14, 0xff, v23
	v_cmp_ne_u16_e32 vcc, 0, v14
	v_mov_b32_e32 v2, 0
	v_mov_b32_e32 v3, 0
	s_and_saveexec_b64 s[20:21], vcc
	s_cbranch_execz .LBB6_2801
; %bb.2796:                             ;   in Loop: Header=BB6_2379 Depth=2
	v_cmp_ne_u16_e32 vcc, s52, v14
	v_bfrev_b32_e32 v3, 1
	s_and_saveexec_b64 s[88:89], vcc
	s_cbranch_execz .LBB6_2800
; %bb.2797:                             ;   in Loop: Header=BB6_2379 Depth=2
	v_and_b32_e32 v15, 0x7f, v23
	v_cmp_ne_u32_e32 vcc, s53, v15
	v_mov_b32_e32 v3, 0x7f800001
	s_and_saveexec_b64 s[90:91], vcc
	s_cbranch_execz .LBB6_2799
; %bb.2798:                             ;   in Loop: Header=BB6_2379 Depth=2
	v_and_b32_e32 v3, 7, v14
	v_lshrrev_b32_e32 v16, 3, v15
	v_cmp_gt_u32_e32 vcc, 8, v15
	v_ffbh_u32_e32 v15, v3
	v_min_u32_e32 v24, 32, v15
	v_subrev_u32_e32 v15, 28, v24
	v_lshlrev_b64 v[14:15], v15, v[14:15]
	v_sub_u32_e32 v15, 29, v24
	v_and_b32_e32 v14, 7, v14
	v_cndmask_b32_e32 v15, v16, v15, vcc
	v_cndmask_b32_e32 v3, v3, v14, vcc
	v_lshlrev_b32_e32 v14, 24, v23
	v_lshlrev_b32_e32 v3, 20, v3
	v_and_b32_e32 v14, 0x80000000, v14
	v_lshl_add_u32 v15, v15, 23, v62
	v_or3_b32 v3, v14, v15, v3
.LBB6_2799:                             ;   in Loop: Header=BB6_2379 Depth=2
	s_or_b64 exec, exec, s[90:91]
.LBB6_2800:                             ;   in Loop: Header=BB6_2379 Depth=2
	s_or_b64 exec, exec, s[88:89]
.LBB6_2801:                             ;   in Loop: Header=BB6_2379 Depth=2
	s_or_b64 exec, exec, s[20:21]
	v_and_b32_e32 v14, 0xff, v54
	v_cmp_ne_u16_e32 vcc, 0, v14
	s_and_saveexec_b64 s[20:21], vcc
	s_cbranch_execz .LBB6_2807
; %bb.2802:                             ;   in Loop: Header=BB6_2379 Depth=2
	v_cmp_ne_u16_e32 vcc, s52, v14
	v_bfrev_b32_e32 v2, 1
	s_and_saveexec_b64 s[88:89], vcc
	s_cbranch_execz .LBB6_2806
; %bb.2803:                             ;   in Loop: Header=BB6_2379 Depth=2
	v_and_b32_e32 v15, 0x7f, v54
	v_cmp_ne_u32_e32 vcc, s53, v15
	v_mov_b32_e32 v2, 0x7f800001
	s_and_saveexec_b64 s[90:91], vcc
	s_cbranch_execz .LBB6_2805
; %bb.2804:                             ;   in Loop: Header=BB6_2379 Depth=2
	v_and_b32_e32 v2, 7, v14
	v_lshrrev_b32_e32 v16, 3, v15
	v_cmp_gt_u32_e32 vcc, 8, v15
	v_ffbh_u32_e32 v15, v2
	v_min_u32_e32 v23, 32, v15
	v_subrev_u32_e32 v15, 28, v23
	v_lshlrev_b64 v[14:15], v15, v[14:15]
	v_sub_u32_e32 v15, 29, v23
	v_and_b32_e32 v14, 7, v14
	v_cndmask_b32_e32 v15, v16, v15, vcc
	v_cndmask_b32_e32 v2, v2, v14, vcc
	v_lshlrev_b32_e32 v14, 24, v54
	v_lshlrev_b32_e32 v2, 20, v2
	v_and_b32_e32 v14, 0x80000000, v14
	v_lshl_add_u32 v15, v15, 23, v62
	v_or3_b32 v2, v14, v15, v2
.LBB6_2805:                             ;   in Loop: Header=BB6_2379 Depth=2
	s_or_b64 exec, exec, s[90:91]
.LBB6_2806:                             ;   in Loop: Header=BB6_2379 Depth=2
	s_or_b64 exec, exec, s[88:89]
.LBB6_2807:                             ;   in Loop: Header=BB6_2379 Depth=2
	s_or_b64 exec, exec, s[20:21]
	v_add_f32_e32 v3, v3, v2
	v_and_b32_e32 v60, 0x7f800000, v3
	v_cmp_ne_u64_e32 vcc, s[56:57], v[60:61]
                                        ; implicit-def: $vgpr54
	s_and_saveexec_b64 s[20:21], vcc
	s_xor_b64 s[88:89], exec, s[20:21]
	s_cbranch_execz .LBB6_2825
; %bb.2808:                             ;   in Loop: Header=BB6_2379 Depth=2
	v_and_b32_e32 v60, 0x7fffffff, v3
	v_cmp_gt_u64_e32 vcc, s[58:59], v[60:61]
	v_and_b32_sdwa v2, v3, s52 dst_sel:DWORD dst_unused:UNUSED_PAD src0_sel:BYTE_3 src1_sel:DWORD
                                        ; implicit-def: $vgpr54
	s_and_saveexec_b64 s[20:21], vcc
	s_xor_b64 s[90:91], exec, s[20:21]
	s_cbranch_execz .LBB6_2822
; %bb.2809:                             ;   in Loop: Header=BB6_2379 Depth=2
	v_cmp_ne_u32_e32 vcc, 0, v3
	v_mov_b32_e32 v54, 0
	s_and_saveexec_b64 s[92:93], vcc
	s_cbranch_execz .LBB6_2821
; %bb.2810:                             ;   in Loop: Header=BB6_2379 Depth=2
	v_and_b32_e32 v14, 0x7fffff, v3
	v_bfe_u32 v3, v3, 23, 8
	v_cmp_gt_u32_e64 s[20:21], s54, v3
	v_sub_u32_e32 v15, 0x79, v3
	v_cmp_eq_u32_e32 vcc, 0, v3
	v_cndmask_b32_e64 v15, 0, v15, s[20:21]
	v_mov_b32_e32 v23, 0x78
	v_or_b32_e32 v16, 0x800000, v14
	v_cndmask_b32_e32 v23, v15, v23, vcc
	v_cndmask_b32_e32 v60, v16, v14, vcc
	v_add_u32_e32 v14, 20, v23
	v_lshlrev_b64 v[14:15], v14, -1
	v_add_u32_e32 v16, 19, v23
	v_lshlrev_b64 v[27:28], v16, 1
	v_bfi_b32 v15, v15, 0, 0
	v_bfi_b32 v14, v14, 0, v60
	v_cmp_eq_u64_e64 s[20:21], v[14:15], v[27:28]
	v_lshrrev_b64 v[14:15], v23, v[60:61]
	v_mov_b32_e32 v16, v15
	v_mov_b32_e32 v15, v14
	s_and_saveexec_b64 s[94:95], s[20:21]
; %bb.2811:                             ;   in Loop: Header=BB6_2379 Depth=2
	v_bfe_u32 v15, v14, 20, 1
	v_add_co_u32_e64 v15, s[20:21], v14, v15
	v_add_co_u32_e64 v15, s[20:21], -1, v15
; %bb.2812:                             ;   in Loop: Header=BB6_2379 Depth=2
	s_or_b64 exec, exec, s[94:95]
	v_add_u32_e32 v3, 0xffffff81, v3
	v_mov_b32_e32 v16, 0xffffff82
	v_cndmask_b32_e32 v3, v3, v16, vcc
	v_lshrrev_b32_e32 v16, 23, v14
	v_add3_u32 v23, v23, v3, v16
	v_add_u32_e32 v16, 6, v23
	v_and_b32_e32 v3, 0xfffff, v15
	v_add_u32_e32 v60, v3, v14
	v_cmp_ne_u32_e32 vcc, 0, v16
                                        ; implicit-def: $vgpr14_vgpr15
                                        ; implicit-def: $vgpr3
	s_and_saveexec_b64 s[20:21], vcc
	s_xor_b64 s[20:21], exec, s[20:21]
; %bb.2813:                             ;   in Loop: Header=BB6_2379 Depth=2
	v_cmp_lt_u64_e32 vcc, s[60:61], v[60:61]
	v_add_u32_e32 v3, 7, v23
	v_cndmask_b32_e64 v14, 0, 1, vcc
	v_lshrrev_b64 v[14:15], v14, v[60:61]
	v_cndmask_b32_e32 v3, v16, v3, vcc
; %bb.2814:                             ;   in Loop: Header=BB6_2379 Depth=2
	s_andn2_saveexec_b64 s[20:21], s[20:21]
; %bb.2815:                             ;   in Loop: Header=BB6_2379 Depth=2
	v_mov_b32_e32 v14, v60
	v_bfe_u32 v3, v60, 23, 1
	v_mov_b32_e32 v15, v61
; %bb.2816:                             ;   in Loop: Header=BB6_2379 Depth=2
	s_or_b64 exec, exec, s[20:21]
	v_lshrrev_b64 v[14:15], 20, v[14:15]
	v_cmp_gt_i32_e32 vcc, 16, v3
	v_cndmask_b32_e32 v15, 0, v15, vcc
	v_cndmask_b32_e32 v14, 7, v14, vcc
	v_cmp_ne_u64_e32 vcc, 0, v[14:15]
	v_cmp_ne_u32_e64 s[20:21], 0, v3
	s_or_b64 s[20:21], s[20:21], vcc
                                        ; implicit-def: $vgpr54
	s_and_saveexec_b64 s[94:95], s[20:21]
	s_xor_b64 s[20:21], exec, s[94:95]
; %bb.2817:                             ;   in Loop: Header=BB6_2379 Depth=2
	v_min_i32_e32 v3, 15, v3
	v_lshl_or_b32 v2, v3, 3, v2
	v_and_or_b32 v54, v14, 7, v2
                                        ; implicit-def: $vgpr2
; %bb.2818:                             ;   in Loop: Header=BB6_2379 Depth=2
	s_andn2_saveexec_b64 s[20:21], s[20:21]
; %bb.2819:                             ;   in Loop: Header=BB6_2379 Depth=2
	v_mov_b32_e32 v54, v2
; %bb.2820:                             ;   in Loop: Header=BB6_2379 Depth=2
	s_or_b64 exec, exec, s[20:21]
.LBB6_2821:                             ;   in Loop: Header=BB6_2379 Depth=2
	s_or_b64 exec, exec, s[92:93]
                                        ; implicit-def: $vgpr2
.LBB6_2822:                             ;   in Loop: Header=BB6_2379 Depth=2
	s_andn2_saveexec_b64 s[20:21], s[90:91]
; %bb.2823:                             ;   in Loop: Header=BB6_2379 Depth=2
	v_or_b32_e32 v54, 0x7e, v2
; %bb.2824:                             ;   in Loop: Header=BB6_2379 Depth=2
	s_or_b64 exec, exec, s[20:21]
                                        ; implicit-def: $vgpr3
.LBB6_2825:                             ;   in Loop: Header=BB6_2379 Depth=2
	s_andn2_saveexec_b64 s[20:21], s[88:89]
; %bb.2826:                             ;   in Loop: Header=BB6_2379 Depth=2
	v_or_b32_sdwa v54, v3, s53 dst_sel:DWORD dst_unused:UNUSED_PAD src0_sel:BYTE_3 src1_sel:DWORD
; %bb.2827:                             ;   in Loop: Header=BB6_2379 Depth=2
	s_or_b64 exec, exec, s[20:21]
	v_and_b32_e32 v14, 0xff, v21
	v_cmp_ne_u16_e32 vcc, 0, v14
	v_mov_b32_e32 v2, 0
	v_mov_b32_e32 v3, 0
	s_and_saveexec_b64 s[20:21], vcc
	s_cbranch_execz .LBB6_2833
; %bb.2828:                             ;   in Loop: Header=BB6_2379 Depth=2
	v_cmp_ne_u16_e32 vcc, s52, v14
	v_bfrev_b32_e32 v3, 1
	s_and_saveexec_b64 s[88:89], vcc
	s_cbranch_execz .LBB6_2832
; %bb.2829:                             ;   in Loop: Header=BB6_2379 Depth=2
	v_and_b32_e32 v15, 0x7f, v21
	v_cmp_ne_u32_e32 vcc, s53, v15
	v_mov_b32_e32 v3, 0x7f800001
	s_and_saveexec_b64 s[90:91], vcc
	s_cbranch_execz .LBB6_2831
; %bb.2830:                             ;   in Loop: Header=BB6_2379 Depth=2
	v_and_b32_e32 v3, 7, v14
	v_lshrrev_b32_e32 v16, 3, v15
	v_cmp_gt_u32_e32 vcc, 8, v15
	v_ffbh_u32_e32 v15, v3
	v_min_u32_e32 v23, 32, v15
	v_subrev_u32_e32 v15, 28, v23
	v_lshlrev_b64 v[14:15], v15, v[14:15]
	v_sub_u32_e32 v15, 29, v23
	v_and_b32_e32 v14, 7, v14
	v_cndmask_b32_e32 v15, v16, v15, vcc
	v_cndmask_b32_e32 v3, v3, v14, vcc
	v_lshlrev_b32_e32 v14, 24, v21
	v_lshlrev_b32_e32 v3, 20, v3
	v_and_b32_e32 v14, 0x80000000, v14
	v_lshl_add_u32 v15, v15, 23, v62
	v_or3_b32 v3, v14, v15, v3
.LBB6_2831:                             ;   in Loop: Header=BB6_2379 Depth=2
	s_or_b64 exec, exec, s[90:91]
.LBB6_2832:                             ;   in Loop: Header=BB6_2379 Depth=2
	s_or_b64 exec, exec, s[88:89]
.LBB6_2833:                             ;   in Loop: Header=BB6_2379 Depth=2
	s_or_b64 exec, exec, s[20:21]
	v_and_b32_e32 v14, 0xff, v8
	v_cmp_ne_u16_e32 vcc, 0, v14
	s_and_saveexec_b64 s[20:21], vcc
	s_cbranch_execz .LBB6_2839
; %bb.2834:                             ;   in Loop: Header=BB6_2379 Depth=2
	v_cmp_ne_u16_e32 vcc, s52, v14
	v_bfrev_b32_e32 v2, 1
	s_and_saveexec_b64 s[88:89], vcc
	s_cbranch_execz .LBB6_2838
; %bb.2835:                             ;   in Loop: Header=BB6_2379 Depth=2
	v_and_b32_e32 v15, 0x7f, v8
	v_cmp_ne_u32_e32 vcc, s53, v15
	v_mov_b32_e32 v2, 0x7f800001
	s_and_saveexec_b64 s[90:91], vcc
	s_cbranch_execz .LBB6_2837
; %bb.2836:                             ;   in Loop: Header=BB6_2379 Depth=2
	v_and_b32_e32 v2, 7, v14
	v_lshrrev_b32_e32 v16, 3, v15
	v_cmp_gt_u32_e32 vcc, 8, v15
	v_ffbh_u32_e32 v15, v2
	v_min_u32_e32 v21, 32, v15
	v_subrev_u32_e32 v15, 28, v21
	v_lshlrev_b64 v[14:15], v15, v[14:15]
	v_sub_u32_e32 v15, 29, v21
	v_and_b32_e32 v14, 7, v14
	v_cndmask_b32_e32 v15, v16, v15, vcc
	v_cndmask_b32_e32 v2, v2, v14, vcc
	v_lshlrev_b32_e32 v8, 24, v8
	v_lshlrev_b32_e32 v2, 20, v2
	v_and_b32_e32 v8, 0x80000000, v8
	v_lshl_add_u32 v14, v15, 23, v62
	v_or3_b32 v2, v8, v14, v2
.LBB6_2837:                             ;   in Loop: Header=BB6_2379 Depth=2
	s_or_b64 exec, exec, s[90:91]
.LBB6_2838:                             ;   in Loop: Header=BB6_2379 Depth=2
	s_or_b64 exec, exec, s[88:89]
.LBB6_2839:                             ;   in Loop: Header=BB6_2379 Depth=2
	s_or_b64 exec, exec, s[20:21]
	v_add_f32_e32 v3, v3, v2
	v_and_b32_e32 v60, 0x7f800000, v3
	v_cmp_ne_u64_e32 vcc, s[56:57], v[60:61]
                                        ; implicit-def: $vgpr8
	s_and_saveexec_b64 s[20:21], vcc
	s_xor_b64 s[88:89], exec, s[20:21]
	s_cbranch_execz .LBB6_2857
; %bb.2840:                             ;   in Loop: Header=BB6_2379 Depth=2
	v_and_b32_e32 v60, 0x7fffffff, v3
	v_cmp_gt_u64_e32 vcc, s[58:59], v[60:61]
	v_and_b32_sdwa v2, v3, s52 dst_sel:DWORD dst_unused:UNUSED_PAD src0_sel:BYTE_3 src1_sel:DWORD
                                        ; implicit-def: $vgpr8
	s_and_saveexec_b64 s[20:21], vcc
	s_xor_b64 s[90:91], exec, s[20:21]
	s_cbranch_execz .LBB6_2854
; %bb.2841:                             ;   in Loop: Header=BB6_2379 Depth=2
	v_cmp_ne_u32_e32 vcc, 0, v3
	v_mov_b32_e32 v8, 0
	s_and_saveexec_b64 s[92:93], vcc
	s_cbranch_execz .LBB6_2853
; %bb.2842:                             ;   in Loop: Header=BB6_2379 Depth=2
	v_and_b32_e32 v14, 0x7fffff, v3
	v_bfe_u32 v3, v3, 23, 8
	v_cmp_gt_u32_e64 s[20:21], s54, v3
	v_sub_u32_e32 v8, 0x79, v3
	v_cmp_eq_u32_e32 vcc, 0, v3
	v_cndmask_b32_e64 v8, 0, v8, s[20:21]
	v_mov_b32_e32 v16, 0x78
	v_or_b32_e32 v15, 0x800000, v14
	v_cndmask_b32_e32 v8, v8, v16, vcc
	v_cndmask_b32_e32 v60, v15, v14, vcc
	v_add_u32_e32 v14, 20, v8
	v_lshlrev_b64 v[14:15], v14, -1
	v_add_u32_e32 v16, 19, v8
	v_lshlrev_b64 v[23:24], v16, 1
	v_bfi_b32 v15, v15, 0, 0
	v_bfi_b32 v14, v14, 0, v60
	v_cmp_eq_u64_e64 s[20:21], v[14:15], v[23:24]
	v_lshrrev_b64 v[14:15], v8, v[60:61]
	v_mov_b32_e32 v16, v15
	v_mov_b32_e32 v15, v14
	s_and_saveexec_b64 s[94:95], s[20:21]
; %bb.2843:                             ;   in Loop: Header=BB6_2379 Depth=2
	v_bfe_u32 v15, v14, 20, 1
	v_add_co_u32_e64 v15, s[20:21], v14, v15
	v_add_co_u32_e64 v15, s[20:21], -1, v15
; %bb.2844:                             ;   in Loop: Header=BB6_2379 Depth=2
	s_or_b64 exec, exec, s[94:95]
	v_add_u32_e32 v3, 0xffffff81, v3
	v_mov_b32_e32 v16, 0xffffff82
	v_cndmask_b32_e32 v3, v3, v16, vcc
	v_lshrrev_b32_e32 v16, 23, v14
	v_add3_u32 v16, v8, v3, v16
	v_add_u32_e32 v8, 6, v16
	v_and_b32_e32 v3, 0xfffff, v15
	v_add_u32_e32 v60, v3, v14
	v_cmp_ne_u32_e32 vcc, 0, v8
                                        ; implicit-def: $vgpr14_vgpr15
                                        ; implicit-def: $vgpr3
	s_and_saveexec_b64 s[20:21], vcc
	s_xor_b64 s[20:21], exec, s[20:21]
; %bb.2845:                             ;   in Loop: Header=BB6_2379 Depth=2
	v_cmp_lt_u64_e32 vcc, s[60:61], v[60:61]
	v_add_u32_e32 v3, 7, v16
	v_cndmask_b32_e32 v3, v8, v3, vcc
	v_cndmask_b32_e64 v8, 0, 1, vcc
	v_lshrrev_b64 v[14:15], v8, v[60:61]
; %bb.2846:                             ;   in Loop: Header=BB6_2379 Depth=2
	s_andn2_saveexec_b64 s[20:21], s[20:21]
; %bb.2847:                             ;   in Loop: Header=BB6_2379 Depth=2
	v_mov_b32_e32 v14, v60
	v_bfe_u32 v3, v60, 23, 1
	v_mov_b32_e32 v15, v61
; %bb.2848:                             ;   in Loop: Header=BB6_2379 Depth=2
	s_or_b64 exec, exec, s[20:21]
	v_lshrrev_b64 v[14:15], 20, v[14:15]
	v_cmp_gt_i32_e32 vcc, 16, v3
	v_cndmask_b32_e32 v15, 0, v15, vcc
	v_cndmask_b32_e32 v14, 7, v14, vcc
	v_cmp_ne_u64_e32 vcc, 0, v[14:15]
	v_cmp_ne_u32_e64 s[20:21], 0, v3
	s_or_b64 s[20:21], s[20:21], vcc
                                        ; implicit-def: $vgpr8
	s_and_saveexec_b64 s[94:95], s[20:21]
	s_xor_b64 s[20:21], exec, s[94:95]
; %bb.2849:                             ;   in Loop: Header=BB6_2379 Depth=2
	v_min_i32_e32 v3, 15, v3
	v_lshl_or_b32 v2, v3, 3, v2
	v_and_or_b32 v8, v14, 7, v2
                                        ; implicit-def: $vgpr2
; %bb.2850:                             ;   in Loop: Header=BB6_2379 Depth=2
	s_andn2_saveexec_b64 s[20:21], s[20:21]
; %bb.2851:                             ;   in Loop: Header=BB6_2379 Depth=2
	v_mov_b32_e32 v8, v2
; %bb.2852:                             ;   in Loop: Header=BB6_2379 Depth=2
	s_or_b64 exec, exec, s[20:21]
.LBB6_2853:                             ;   in Loop: Header=BB6_2379 Depth=2
	s_or_b64 exec, exec, s[92:93]
                                        ; implicit-def: $vgpr2
.LBB6_2854:                             ;   in Loop: Header=BB6_2379 Depth=2
	s_andn2_saveexec_b64 s[20:21], s[90:91]
; %bb.2855:                             ;   in Loop: Header=BB6_2379 Depth=2
	v_or_b32_e32 v8, 0x7e, v2
; %bb.2856:                             ;   in Loop: Header=BB6_2379 Depth=2
	s_or_b64 exec, exec, s[20:21]
                                        ; implicit-def: $vgpr3
.LBB6_2857:                             ;   in Loop: Header=BB6_2379 Depth=2
	s_andn2_saveexec_b64 s[20:21], s[88:89]
; %bb.2858:                             ;   in Loop: Header=BB6_2379 Depth=2
	v_or_b32_sdwa v8, v3, s53 dst_sel:DWORD dst_unused:UNUSED_PAD src0_sel:BYTE_3 src1_sel:DWORD
; %bb.2859:                             ;   in Loop: Header=BB6_2379 Depth=2
	s_or_b64 exec, exec, s[20:21]
	v_and_b32_e32 v14, 0xff, v20
	v_cmp_ne_u16_e32 vcc, 0, v14
	v_mov_b32_e32 v2, 0
	v_mov_b32_e32 v3, 0
	s_and_saveexec_b64 s[20:21], vcc
	s_cbranch_execz .LBB6_2865
; %bb.2860:                             ;   in Loop: Header=BB6_2379 Depth=2
	v_cmp_ne_u16_e32 vcc, s52, v14
	v_bfrev_b32_e32 v3, 1
	s_and_saveexec_b64 s[88:89], vcc
	s_cbranch_execz .LBB6_2864
; %bb.2861:                             ;   in Loop: Header=BB6_2379 Depth=2
	v_and_b32_e32 v15, 0x7f, v20
	v_cmp_ne_u32_e32 vcc, s53, v15
	v_mov_b32_e32 v3, 0x7f800001
	s_and_saveexec_b64 s[90:91], vcc
	s_cbranch_execz .LBB6_2863
; %bb.2862:                             ;   in Loop: Header=BB6_2379 Depth=2
	v_and_b32_e32 v3, 7, v14
	v_lshrrev_b32_e32 v16, 3, v15
	v_cmp_gt_u32_e32 vcc, 8, v15
	v_ffbh_u32_e32 v15, v3
	v_min_u32_e32 v21, 32, v15
	v_subrev_u32_e32 v15, 28, v21
	v_lshlrev_b64 v[14:15], v15, v[14:15]
	v_sub_u32_e32 v15, 29, v21
	v_and_b32_e32 v14, 7, v14
	v_cndmask_b32_e32 v15, v16, v15, vcc
	v_cndmask_b32_e32 v3, v3, v14, vcc
	v_lshlrev_b32_e32 v14, 24, v20
	v_lshlrev_b32_e32 v3, 20, v3
	v_and_b32_e32 v14, 0x80000000, v14
	v_lshl_add_u32 v15, v15, 23, v62
	v_or3_b32 v3, v14, v15, v3
.LBB6_2863:                             ;   in Loop: Header=BB6_2379 Depth=2
	s_or_b64 exec, exec, s[90:91]
.LBB6_2864:                             ;   in Loop: Header=BB6_2379 Depth=2
	s_or_b64 exec, exec, s[88:89]
.LBB6_2865:                             ;   in Loop: Header=BB6_2379 Depth=2
	s_or_b64 exec, exec, s[20:21]
	v_and_b32_e32 v14, 0xff, v25
	v_cmp_ne_u16_e32 vcc, 0, v14
	s_and_saveexec_b64 s[20:21], vcc
	s_cbranch_execz .LBB6_2871
; %bb.2866:                             ;   in Loop: Header=BB6_2379 Depth=2
	v_cmp_ne_u16_e32 vcc, s52, v14
	v_bfrev_b32_e32 v2, 1
	s_and_saveexec_b64 s[88:89], vcc
	s_cbranch_execz .LBB6_2870
; %bb.2867:                             ;   in Loop: Header=BB6_2379 Depth=2
	v_and_b32_e32 v15, 0x7f, v25
	v_cmp_ne_u32_e32 vcc, s53, v15
	v_mov_b32_e32 v2, 0x7f800001
	s_and_saveexec_b64 s[90:91], vcc
	s_cbranch_execz .LBB6_2869
; %bb.2868:                             ;   in Loop: Header=BB6_2379 Depth=2
	v_and_b32_e32 v2, 7, v14
	v_lshrrev_b32_e32 v16, 3, v15
	v_cmp_gt_u32_e32 vcc, 8, v15
	v_ffbh_u32_e32 v15, v2
	v_min_u32_e32 v20, 32, v15
	v_subrev_u32_e32 v15, 28, v20
	v_lshlrev_b64 v[14:15], v15, v[14:15]
	v_sub_u32_e32 v15, 29, v20
	v_and_b32_e32 v14, 7, v14
	v_cndmask_b32_e32 v15, v16, v15, vcc
	v_cndmask_b32_e32 v2, v2, v14, vcc
	v_lshlrev_b32_e32 v14, 24, v25
	v_lshlrev_b32_e32 v2, 20, v2
	v_and_b32_e32 v14, 0x80000000, v14
	v_lshl_add_u32 v15, v15, 23, v62
	v_or3_b32 v2, v14, v15, v2
.LBB6_2869:                             ;   in Loop: Header=BB6_2379 Depth=2
	s_or_b64 exec, exec, s[90:91]
.LBB6_2870:                             ;   in Loop: Header=BB6_2379 Depth=2
	s_or_b64 exec, exec, s[88:89]
.LBB6_2871:                             ;   in Loop: Header=BB6_2379 Depth=2
	s_or_b64 exec, exec, s[20:21]
	v_add_f32_e32 v3, v3, v2
	v_and_b32_e32 v60, 0x7f800000, v3
	v_cmp_ne_u64_e32 vcc, s[56:57], v[60:61]
                                        ; implicit-def: $vgpr25
	s_and_saveexec_b64 s[20:21], vcc
	s_xor_b64 s[88:89], exec, s[20:21]
	s_cbranch_execz .LBB6_2889
; %bb.2872:                             ;   in Loop: Header=BB6_2379 Depth=2
	v_and_b32_e32 v60, 0x7fffffff, v3
	v_cmp_gt_u64_e32 vcc, s[58:59], v[60:61]
	v_and_b32_sdwa v2, v3, s52 dst_sel:DWORD dst_unused:UNUSED_PAD src0_sel:BYTE_3 src1_sel:DWORD
                                        ; implicit-def: $vgpr25
	s_and_saveexec_b64 s[20:21], vcc
	s_xor_b64 s[90:91], exec, s[20:21]
	s_cbranch_execz .LBB6_2886
; %bb.2873:                             ;   in Loop: Header=BB6_2379 Depth=2
	v_cmp_ne_u32_e32 vcc, 0, v3
	v_mov_b32_e32 v25, 0
	s_and_saveexec_b64 s[92:93], vcc
	s_cbranch_execz .LBB6_2885
; %bb.2874:                             ;   in Loop: Header=BB6_2379 Depth=2
	v_and_b32_e32 v14, 0x7fffff, v3
	v_bfe_u32 v3, v3, 23, 8
	v_cmp_gt_u32_e64 s[20:21], s54, v3
	v_sub_u32_e32 v15, 0x79, v3
	v_cmp_eq_u32_e32 vcc, 0, v3
	v_cndmask_b32_e64 v15, 0, v15, s[20:21]
	v_mov_b32_e32 v20, 0x78
	v_or_b32_e32 v16, 0x800000, v14
	v_cndmask_b32_e32 v20, v15, v20, vcc
	v_cndmask_b32_e32 v60, v16, v14, vcc
	v_add_u32_e32 v14, 20, v20
	v_lshlrev_b64 v[14:15], v14, -1
	v_add_u32_e32 v16, 19, v20
	v_lshlrev_b64 v[23:24], v16, 1
	v_bfi_b32 v15, v15, 0, 0
	v_bfi_b32 v14, v14, 0, v60
	v_cmp_eq_u64_e64 s[20:21], v[14:15], v[23:24]
	v_lshrrev_b64 v[14:15], v20, v[60:61]
	v_mov_b32_e32 v16, v15
	v_mov_b32_e32 v15, v14
	s_and_saveexec_b64 s[94:95], s[20:21]
; %bb.2875:                             ;   in Loop: Header=BB6_2379 Depth=2
	v_bfe_u32 v15, v14, 20, 1
	v_add_co_u32_e64 v15, s[20:21], v14, v15
	v_add_co_u32_e64 v15, s[20:21], -1, v15
; %bb.2876:                             ;   in Loop: Header=BB6_2379 Depth=2
	s_or_b64 exec, exec, s[94:95]
	v_add_u32_e32 v3, 0xffffff81, v3
	v_mov_b32_e32 v16, 0xffffff82
	v_cndmask_b32_e32 v3, v3, v16, vcc
	v_lshrrev_b32_e32 v16, 23, v14
	v_add3_u32 v20, v20, v3, v16
	v_add_u32_e32 v16, 6, v20
	v_and_b32_e32 v3, 0xfffff, v15
	v_add_u32_e32 v60, v3, v14
	v_cmp_ne_u32_e32 vcc, 0, v16
                                        ; implicit-def: $vgpr14_vgpr15
                                        ; implicit-def: $vgpr3
	s_and_saveexec_b64 s[20:21], vcc
	s_xor_b64 s[20:21], exec, s[20:21]
; %bb.2877:                             ;   in Loop: Header=BB6_2379 Depth=2
	v_cmp_lt_u64_e32 vcc, s[60:61], v[60:61]
	v_add_u32_e32 v3, 7, v20
	v_cndmask_b32_e64 v14, 0, 1, vcc
	v_lshrrev_b64 v[14:15], v14, v[60:61]
	v_cndmask_b32_e32 v3, v16, v3, vcc
; %bb.2878:                             ;   in Loop: Header=BB6_2379 Depth=2
	s_andn2_saveexec_b64 s[20:21], s[20:21]
; %bb.2879:                             ;   in Loop: Header=BB6_2379 Depth=2
	v_mov_b32_e32 v14, v60
	v_bfe_u32 v3, v60, 23, 1
	v_mov_b32_e32 v15, v61
; %bb.2880:                             ;   in Loop: Header=BB6_2379 Depth=2
	s_or_b64 exec, exec, s[20:21]
	v_lshrrev_b64 v[14:15], 20, v[14:15]
	v_cmp_gt_i32_e32 vcc, 16, v3
	v_cndmask_b32_e32 v15, 0, v15, vcc
	v_cndmask_b32_e32 v14, 7, v14, vcc
	v_cmp_ne_u64_e32 vcc, 0, v[14:15]
	v_cmp_ne_u32_e64 s[20:21], 0, v3
	s_or_b64 s[20:21], s[20:21], vcc
                                        ; implicit-def: $vgpr25
	s_and_saveexec_b64 s[94:95], s[20:21]
	s_xor_b64 s[20:21], exec, s[94:95]
; %bb.2881:                             ;   in Loop: Header=BB6_2379 Depth=2
	v_min_i32_e32 v3, 15, v3
	v_lshl_or_b32 v2, v3, 3, v2
	v_and_or_b32 v25, v14, 7, v2
                                        ; implicit-def: $vgpr2
; %bb.2882:                             ;   in Loop: Header=BB6_2379 Depth=2
	s_andn2_saveexec_b64 s[20:21], s[20:21]
; %bb.2883:                             ;   in Loop: Header=BB6_2379 Depth=2
	v_mov_b32_e32 v25, v2
; %bb.2884:                             ;   in Loop: Header=BB6_2379 Depth=2
	s_or_b64 exec, exec, s[20:21]
.LBB6_2885:                             ;   in Loop: Header=BB6_2379 Depth=2
	s_or_b64 exec, exec, s[92:93]
                                        ; implicit-def: $vgpr2
.LBB6_2886:                             ;   in Loop: Header=BB6_2379 Depth=2
	s_andn2_saveexec_b64 s[20:21], s[90:91]
; %bb.2887:                             ;   in Loop: Header=BB6_2379 Depth=2
	v_or_b32_e32 v25, 0x7e, v2
; %bb.2888:                             ;   in Loop: Header=BB6_2379 Depth=2
	s_or_b64 exec, exec, s[20:21]
                                        ; implicit-def: $vgpr3
.LBB6_2889:                             ;   in Loop: Header=BB6_2379 Depth=2
	s_andn2_saveexec_b64 s[20:21], s[88:89]
; %bb.2890:                             ;   in Loop: Header=BB6_2379 Depth=2
	v_or_b32_sdwa v25, v3, s53 dst_sel:DWORD dst_unused:UNUSED_PAD src0_sel:BYTE_3 src1_sel:DWORD
; %bb.2891:                             ;   in Loop: Header=BB6_2379 Depth=2
	s_or_b64 exec, exec, s[20:21]
	v_and_b32_e32 v14, 0xff, v29
	v_cmp_ne_u16_e32 vcc, 0, v14
	v_mov_b32_e32 v2, 0
	v_mov_b32_e32 v3, 0
	s_and_saveexec_b64 s[20:21], vcc
	s_cbranch_execz .LBB6_2897
; %bb.2892:                             ;   in Loop: Header=BB6_2379 Depth=2
	v_cmp_ne_u16_e32 vcc, s52, v14
	v_bfrev_b32_e32 v3, 1
	s_and_saveexec_b64 s[88:89], vcc
	s_cbranch_execz .LBB6_2896
; %bb.2893:                             ;   in Loop: Header=BB6_2379 Depth=2
	v_and_b32_e32 v15, 0x7f, v29
	v_cmp_ne_u32_e32 vcc, s53, v15
	v_mov_b32_e32 v3, 0x7f800001
	s_and_saveexec_b64 s[90:91], vcc
	s_cbranch_execz .LBB6_2895
; %bb.2894:                             ;   in Loop: Header=BB6_2379 Depth=2
	v_and_b32_e32 v3, 7, v14
	v_lshrrev_b32_e32 v16, 3, v15
	v_cmp_gt_u32_e32 vcc, 8, v15
	v_ffbh_u32_e32 v15, v3
	v_min_u32_e32 v20, 32, v15
	v_subrev_u32_e32 v15, 28, v20
	v_lshlrev_b64 v[14:15], v15, v[14:15]
	v_sub_u32_e32 v15, 29, v20
	v_and_b32_e32 v14, 7, v14
	v_cndmask_b32_e32 v15, v16, v15, vcc
	v_cndmask_b32_e32 v3, v3, v14, vcc
	v_lshlrev_b32_e32 v14, 24, v29
	v_lshlrev_b32_e32 v3, 20, v3
	v_and_b32_e32 v14, 0x80000000, v14
	v_lshl_add_u32 v15, v15, 23, v62
	v_or3_b32 v3, v14, v15, v3
.LBB6_2895:                             ;   in Loop: Header=BB6_2379 Depth=2
	s_or_b64 exec, exec, s[90:91]
.LBB6_2896:                             ;   in Loop: Header=BB6_2379 Depth=2
	s_or_b64 exec, exec, s[88:89]
.LBB6_2897:                             ;   in Loop: Header=BB6_2379 Depth=2
	s_or_b64 exec, exec, s[20:21]
	v_and_b32_e32 v14, 0xff, v26
	v_cmp_ne_u16_e32 vcc, 0, v14
	s_and_saveexec_b64 s[20:21], vcc
	s_cbranch_execz .LBB6_2903
; %bb.2898:                             ;   in Loop: Header=BB6_2379 Depth=2
	v_cmp_ne_u16_e32 vcc, s52, v14
	v_bfrev_b32_e32 v2, 1
	s_and_saveexec_b64 s[88:89], vcc
	s_cbranch_execz .LBB6_2902
; %bb.2899:                             ;   in Loop: Header=BB6_2379 Depth=2
	v_and_b32_e32 v15, 0x7f, v26
	v_cmp_ne_u32_e32 vcc, s53, v15
	v_mov_b32_e32 v2, 0x7f800001
	s_and_saveexec_b64 s[90:91], vcc
	s_cbranch_execz .LBB6_2901
; %bb.2900:                             ;   in Loop: Header=BB6_2379 Depth=2
	v_and_b32_e32 v2, 7, v14
	v_lshrrev_b32_e32 v16, 3, v15
	v_cmp_gt_u32_e32 vcc, 8, v15
	v_ffbh_u32_e32 v15, v2
	v_min_u32_e32 v20, 32, v15
	v_subrev_u32_e32 v15, 28, v20
	v_lshlrev_b64 v[14:15], v15, v[14:15]
	v_sub_u32_e32 v15, 29, v20
	v_and_b32_e32 v14, 7, v14
	v_cndmask_b32_e32 v15, v16, v15, vcc
	v_cndmask_b32_e32 v2, v2, v14, vcc
	v_lshlrev_b32_e32 v14, 24, v26
	v_lshlrev_b32_e32 v2, 20, v2
	v_and_b32_e32 v14, 0x80000000, v14
	v_lshl_add_u32 v15, v15, 23, v62
	v_or3_b32 v2, v14, v15, v2
.LBB6_2901:                             ;   in Loop: Header=BB6_2379 Depth=2
	s_or_b64 exec, exec, s[90:91]
.LBB6_2902:                             ;   in Loop: Header=BB6_2379 Depth=2
	s_or_b64 exec, exec, s[88:89]
.LBB6_2903:                             ;   in Loop: Header=BB6_2379 Depth=2
	s_or_b64 exec, exec, s[20:21]
	v_add_f32_e32 v3, v3, v2
	v_and_b32_e32 v60, 0x7f800000, v3
	v_cmp_ne_u64_e32 vcc, s[56:57], v[60:61]
                                        ; implicit-def: $vgpr26
	s_and_saveexec_b64 s[20:21], vcc
	s_xor_b64 s[88:89], exec, s[20:21]
	s_cbranch_execz .LBB6_2921
; %bb.2904:                             ;   in Loop: Header=BB6_2379 Depth=2
	v_and_b32_e32 v60, 0x7fffffff, v3
	v_cmp_gt_u64_e32 vcc, s[58:59], v[60:61]
	v_and_b32_sdwa v2, v3, s52 dst_sel:DWORD dst_unused:UNUSED_PAD src0_sel:BYTE_3 src1_sel:DWORD
                                        ; implicit-def: $vgpr26
	s_and_saveexec_b64 s[20:21], vcc
	s_xor_b64 s[90:91], exec, s[20:21]
	s_cbranch_execz .LBB6_2918
; %bb.2905:                             ;   in Loop: Header=BB6_2379 Depth=2
	v_cmp_ne_u32_e32 vcc, 0, v3
	v_mov_b32_e32 v26, 0
	s_and_saveexec_b64 s[92:93], vcc
	s_cbranch_execz .LBB6_2917
; %bb.2906:                             ;   in Loop: Header=BB6_2379 Depth=2
	v_and_b32_e32 v14, 0x7fffff, v3
	v_bfe_u32 v3, v3, 23, 8
	v_cmp_gt_u32_e64 s[20:21], s54, v3
	v_sub_u32_e32 v15, 0x79, v3
	v_cmp_eq_u32_e32 vcc, 0, v3
	v_cndmask_b32_e64 v15, 0, v15, s[20:21]
	v_mov_b32_e32 v20, 0x78
	v_or_b32_e32 v16, 0x800000, v14
	v_cndmask_b32_e32 v20, v15, v20, vcc
	v_cndmask_b32_e32 v60, v16, v14, vcc
	v_add_u32_e32 v14, 20, v20
	v_lshlrev_b64 v[14:15], v14, -1
	v_add_u32_e32 v16, 19, v20
	v_lshlrev_b64 v[23:24], v16, 1
	v_bfi_b32 v15, v15, 0, 0
	v_bfi_b32 v14, v14, 0, v60
	v_cmp_eq_u64_e64 s[20:21], v[14:15], v[23:24]
	v_lshrrev_b64 v[14:15], v20, v[60:61]
	v_mov_b32_e32 v16, v15
	v_mov_b32_e32 v15, v14
	s_and_saveexec_b64 s[94:95], s[20:21]
; %bb.2907:                             ;   in Loop: Header=BB6_2379 Depth=2
	v_bfe_u32 v15, v14, 20, 1
	v_add_co_u32_e64 v15, s[20:21], v14, v15
	v_add_co_u32_e64 v15, s[20:21], -1, v15
; %bb.2908:                             ;   in Loop: Header=BB6_2379 Depth=2
	s_or_b64 exec, exec, s[94:95]
	v_add_u32_e32 v3, 0xffffff81, v3
	v_mov_b32_e32 v16, 0xffffff82
	v_cndmask_b32_e32 v3, v3, v16, vcc
	v_lshrrev_b32_e32 v16, 23, v14
	v_add3_u32 v20, v20, v3, v16
	v_add_u32_e32 v16, 6, v20
	v_and_b32_e32 v3, 0xfffff, v15
	v_add_u32_e32 v60, v3, v14
	v_cmp_ne_u32_e32 vcc, 0, v16
                                        ; implicit-def: $vgpr14_vgpr15
                                        ; implicit-def: $vgpr3
	s_and_saveexec_b64 s[20:21], vcc
	s_xor_b64 s[20:21], exec, s[20:21]
; %bb.2909:                             ;   in Loop: Header=BB6_2379 Depth=2
	v_cmp_lt_u64_e32 vcc, s[60:61], v[60:61]
	v_add_u32_e32 v3, 7, v20
	v_cndmask_b32_e64 v14, 0, 1, vcc
	v_lshrrev_b64 v[14:15], v14, v[60:61]
	v_cndmask_b32_e32 v3, v16, v3, vcc
; %bb.2910:                             ;   in Loop: Header=BB6_2379 Depth=2
	s_andn2_saveexec_b64 s[20:21], s[20:21]
; %bb.2911:                             ;   in Loop: Header=BB6_2379 Depth=2
	v_mov_b32_e32 v14, v60
	v_bfe_u32 v3, v60, 23, 1
	v_mov_b32_e32 v15, v61
; %bb.2912:                             ;   in Loop: Header=BB6_2379 Depth=2
	s_or_b64 exec, exec, s[20:21]
	v_lshrrev_b64 v[14:15], 20, v[14:15]
	v_cmp_gt_i32_e32 vcc, 16, v3
	v_cndmask_b32_e32 v15, 0, v15, vcc
	v_cndmask_b32_e32 v14, 7, v14, vcc
	v_cmp_ne_u64_e32 vcc, 0, v[14:15]
	v_cmp_ne_u32_e64 s[20:21], 0, v3
	s_or_b64 s[20:21], s[20:21], vcc
                                        ; implicit-def: $vgpr26
	s_and_saveexec_b64 s[94:95], s[20:21]
	s_xor_b64 s[20:21], exec, s[94:95]
; %bb.2913:                             ;   in Loop: Header=BB6_2379 Depth=2
	v_min_i32_e32 v3, 15, v3
	v_lshl_or_b32 v2, v3, 3, v2
	v_and_or_b32 v26, v14, 7, v2
                                        ; implicit-def: $vgpr2
; %bb.2914:                             ;   in Loop: Header=BB6_2379 Depth=2
	s_andn2_saveexec_b64 s[20:21], s[20:21]
; %bb.2915:                             ;   in Loop: Header=BB6_2379 Depth=2
	v_mov_b32_e32 v26, v2
; %bb.2916:                             ;   in Loop: Header=BB6_2379 Depth=2
	s_or_b64 exec, exec, s[20:21]
.LBB6_2917:                             ;   in Loop: Header=BB6_2379 Depth=2
	s_or_b64 exec, exec, s[92:93]
                                        ; implicit-def: $vgpr2
.LBB6_2918:                             ;   in Loop: Header=BB6_2379 Depth=2
	s_andn2_saveexec_b64 s[20:21], s[90:91]
; %bb.2919:                             ;   in Loop: Header=BB6_2379 Depth=2
	v_or_b32_e32 v26, 0x7e, v2
; %bb.2920:                             ;   in Loop: Header=BB6_2379 Depth=2
	s_or_b64 exec, exec, s[20:21]
                                        ; implicit-def: $vgpr3
.LBB6_2921:                             ;   in Loop: Header=BB6_2379 Depth=2
	s_andn2_saveexec_b64 s[20:21], s[88:89]
; %bb.2922:                             ;   in Loop: Header=BB6_2379 Depth=2
	v_or_b32_sdwa v26, v3, s53 dst_sel:DWORD dst_unused:UNUSED_PAD src0_sel:BYTE_3 src1_sel:DWORD
; %bb.2923:                             ;   in Loop: Header=BB6_2379 Depth=2
	s_or_b64 exec, exec, s[20:21]
	v_and_b32_e32 v14, 0xff, v22
	v_cmp_ne_u16_e32 vcc, 0, v14
	v_mov_b32_e32 v2, 0
	v_mov_b32_e32 v3, 0
	s_and_saveexec_b64 s[20:21], vcc
	s_cbranch_execz .LBB6_2929
; %bb.2924:                             ;   in Loop: Header=BB6_2379 Depth=2
	v_cmp_ne_u16_e32 vcc, s52, v14
	v_bfrev_b32_e32 v3, 1
	s_and_saveexec_b64 s[88:89], vcc
	s_cbranch_execz .LBB6_2928
; %bb.2925:                             ;   in Loop: Header=BB6_2379 Depth=2
	v_and_b32_e32 v15, 0x7f, v22
	v_cmp_ne_u32_e32 vcc, s53, v15
	v_mov_b32_e32 v3, 0x7f800001
	s_and_saveexec_b64 s[90:91], vcc
	s_cbranch_execz .LBB6_2927
; %bb.2926:                             ;   in Loop: Header=BB6_2379 Depth=2
	v_and_b32_e32 v3, 7, v14
	v_lshrrev_b32_e32 v16, 3, v15
	v_cmp_gt_u32_e32 vcc, 8, v15
	v_ffbh_u32_e32 v15, v3
	v_min_u32_e32 v20, 32, v15
	v_subrev_u32_e32 v15, 28, v20
	v_lshlrev_b64 v[14:15], v15, v[14:15]
	v_sub_u32_e32 v15, 29, v20
	v_and_b32_e32 v14, 7, v14
	v_cndmask_b32_e32 v15, v16, v15, vcc
	v_cndmask_b32_e32 v3, v3, v14, vcc
	v_lshlrev_b32_e32 v14, 24, v22
	v_lshlrev_b32_e32 v3, 20, v3
	v_and_b32_e32 v14, 0x80000000, v14
	v_lshl_add_u32 v15, v15, 23, v62
	v_or3_b32 v3, v14, v15, v3
.LBB6_2927:                             ;   in Loop: Header=BB6_2379 Depth=2
	s_or_b64 exec, exec, s[90:91]
.LBB6_2928:                             ;   in Loop: Header=BB6_2379 Depth=2
	s_or_b64 exec, exec, s[88:89]
.LBB6_2929:                             ;   in Loop: Header=BB6_2379 Depth=2
	s_or_b64 exec, exec, s[20:21]
	v_and_b32_e32 v14, 0xff, v9
	v_cmp_ne_u16_e32 vcc, 0, v14
	s_and_saveexec_b64 s[20:21], vcc
	s_cbranch_execz .LBB6_2935
; %bb.2930:                             ;   in Loop: Header=BB6_2379 Depth=2
	v_cmp_ne_u16_e32 vcc, s52, v14
	v_bfrev_b32_e32 v2, 1
	s_and_saveexec_b64 s[88:89], vcc
	s_cbranch_execz .LBB6_2934
; %bb.2931:                             ;   in Loop: Header=BB6_2379 Depth=2
	v_and_b32_e32 v15, 0x7f, v9
	v_cmp_ne_u32_e32 vcc, s53, v15
	v_mov_b32_e32 v2, 0x7f800001
	s_and_saveexec_b64 s[90:91], vcc
	s_cbranch_execz .LBB6_2933
; %bb.2932:                             ;   in Loop: Header=BB6_2379 Depth=2
	v_and_b32_e32 v2, 7, v14
	v_lshrrev_b32_e32 v16, 3, v15
	v_cmp_gt_u32_e32 vcc, 8, v15
	v_ffbh_u32_e32 v15, v2
	v_min_u32_e32 v20, 32, v15
	v_subrev_u32_e32 v15, 28, v20
	v_lshlrev_b64 v[14:15], v15, v[14:15]
	v_sub_u32_e32 v15, 29, v20
	v_and_b32_e32 v14, 7, v14
	v_cndmask_b32_e32 v15, v16, v15, vcc
	v_cndmask_b32_e32 v2, v2, v14, vcc
	v_lshlrev_b32_e32 v9, 24, v9
	v_lshlrev_b32_e32 v2, 20, v2
	v_and_b32_e32 v9, 0x80000000, v9
	v_lshl_add_u32 v14, v15, 23, v62
	v_or3_b32 v2, v9, v14, v2
.LBB6_2933:                             ;   in Loop: Header=BB6_2379 Depth=2
	s_or_b64 exec, exec, s[90:91]
.LBB6_2934:                             ;   in Loop: Header=BB6_2379 Depth=2
	s_or_b64 exec, exec, s[88:89]
.LBB6_2935:                             ;   in Loop: Header=BB6_2379 Depth=2
	s_or_b64 exec, exec, s[20:21]
	v_add_f32_e32 v3, v3, v2
	v_and_b32_e32 v60, 0x7f800000, v3
	v_cmp_ne_u64_e32 vcc, s[56:57], v[60:61]
                                        ; implicit-def: $vgpr9
	s_and_saveexec_b64 s[20:21], vcc
	s_xor_b64 s[88:89], exec, s[20:21]
	s_cbranch_execz .LBB6_2953
; %bb.2936:                             ;   in Loop: Header=BB6_2379 Depth=2
	v_and_b32_e32 v60, 0x7fffffff, v3
	v_cmp_gt_u64_e32 vcc, s[58:59], v[60:61]
	v_and_b32_sdwa v2, v3, s52 dst_sel:DWORD dst_unused:UNUSED_PAD src0_sel:BYTE_3 src1_sel:DWORD
                                        ; implicit-def: $vgpr9
	s_and_saveexec_b64 s[20:21], vcc
	s_xor_b64 s[90:91], exec, s[20:21]
	s_cbranch_execz .LBB6_2950
; %bb.2937:                             ;   in Loop: Header=BB6_2379 Depth=2
	v_cmp_ne_u32_e32 vcc, 0, v3
	v_mov_b32_e32 v9, 0
	s_and_saveexec_b64 s[92:93], vcc
	s_cbranch_execz .LBB6_2949
; %bb.2938:                             ;   in Loop: Header=BB6_2379 Depth=2
	v_and_b32_e32 v14, 0x7fffff, v3
	v_bfe_u32 v3, v3, 23, 8
	v_cmp_gt_u32_e64 s[20:21], s54, v3
	v_sub_u32_e32 v9, 0x79, v3
	v_cmp_eq_u32_e32 vcc, 0, v3
	v_cndmask_b32_e64 v9, 0, v9, s[20:21]
	v_mov_b32_e32 v16, 0x78
	v_or_b32_e32 v15, 0x800000, v14
	v_cndmask_b32_e32 v9, v9, v16, vcc
	v_cndmask_b32_e32 v60, v15, v14, vcc
	v_add_u32_e32 v14, 20, v9
	v_lshlrev_b64 v[14:15], v14, -1
	v_add_u32_e32 v16, 19, v9
	v_lshlrev_b64 v[20:21], v16, 1
	v_bfi_b32 v15, v15, 0, 0
	v_bfi_b32 v14, v14, 0, v60
	v_cmp_eq_u64_e64 s[20:21], v[14:15], v[20:21]
	v_lshrrev_b64 v[14:15], v9, v[60:61]
	v_mov_b32_e32 v16, v15
	v_mov_b32_e32 v15, v14
	s_and_saveexec_b64 s[94:95], s[20:21]
; %bb.2939:                             ;   in Loop: Header=BB6_2379 Depth=2
	v_bfe_u32 v15, v14, 20, 1
	v_add_co_u32_e64 v15, s[20:21], v14, v15
	v_add_co_u32_e64 v15, s[20:21], -1, v15
; %bb.2940:                             ;   in Loop: Header=BB6_2379 Depth=2
	s_or_b64 exec, exec, s[94:95]
	v_add_u32_e32 v3, 0xffffff81, v3
	v_mov_b32_e32 v16, 0xffffff82
	v_cndmask_b32_e32 v3, v3, v16, vcc
	v_lshrrev_b32_e32 v16, 23, v14
	v_add3_u32 v16, v9, v3, v16
	v_add_u32_e32 v9, 6, v16
	v_and_b32_e32 v3, 0xfffff, v15
	v_add_u32_e32 v60, v3, v14
	v_cmp_ne_u32_e32 vcc, 0, v9
                                        ; implicit-def: $vgpr14_vgpr15
                                        ; implicit-def: $vgpr3
	s_and_saveexec_b64 s[20:21], vcc
	s_xor_b64 s[20:21], exec, s[20:21]
; %bb.2941:                             ;   in Loop: Header=BB6_2379 Depth=2
	v_cmp_lt_u64_e32 vcc, s[60:61], v[60:61]
	v_add_u32_e32 v3, 7, v16
	v_cndmask_b32_e32 v3, v9, v3, vcc
	v_cndmask_b32_e64 v9, 0, 1, vcc
	v_lshrrev_b64 v[14:15], v9, v[60:61]
; %bb.2942:                             ;   in Loop: Header=BB6_2379 Depth=2
	s_andn2_saveexec_b64 s[20:21], s[20:21]
; %bb.2943:                             ;   in Loop: Header=BB6_2379 Depth=2
	v_mov_b32_e32 v14, v60
	v_bfe_u32 v3, v60, 23, 1
	v_mov_b32_e32 v15, v61
; %bb.2944:                             ;   in Loop: Header=BB6_2379 Depth=2
	s_or_b64 exec, exec, s[20:21]
	v_lshrrev_b64 v[14:15], 20, v[14:15]
	v_cmp_gt_i32_e32 vcc, 16, v3
	v_cndmask_b32_e32 v15, 0, v15, vcc
	v_cndmask_b32_e32 v14, 7, v14, vcc
	v_cmp_ne_u64_e32 vcc, 0, v[14:15]
	v_cmp_ne_u32_e64 s[20:21], 0, v3
	s_or_b64 s[20:21], s[20:21], vcc
                                        ; implicit-def: $vgpr9
	s_and_saveexec_b64 s[94:95], s[20:21]
	s_xor_b64 s[20:21], exec, s[94:95]
; %bb.2945:                             ;   in Loop: Header=BB6_2379 Depth=2
	v_min_i32_e32 v3, 15, v3
	v_lshl_or_b32 v2, v3, 3, v2
	v_and_or_b32 v9, v14, 7, v2
                                        ; implicit-def: $vgpr2
; %bb.2946:                             ;   in Loop: Header=BB6_2379 Depth=2
	s_andn2_saveexec_b64 s[20:21], s[20:21]
; %bb.2947:                             ;   in Loop: Header=BB6_2379 Depth=2
	v_mov_b32_e32 v9, v2
; %bb.2948:                             ;   in Loop: Header=BB6_2379 Depth=2
	s_or_b64 exec, exec, s[20:21]
.LBB6_2949:                             ;   in Loop: Header=BB6_2379 Depth=2
	s_or_b64 exec, exec, s[92:93]
                                        ; implicit-def: $vgpr2
.LBB6_2950:                             ;   in Loop: Header=BB6_2379 Depth=2
	s_andn2_saveexec_b64 s[20:21], s[90:91]
; %bb.2951:                             ;   in Loop: Header=BB6_2379 Depth=2
	v_or_b32_e32 v9, 0x7e, v2
; %bb.2952:                             ;   in Loop: Header=BB6_2379 Depth=2
	s_or_b64 exec, exec, s[20:21]
                                        ; implicit-def: $vgpr3
.LBB6_2953:                             ;   in Loop: Header=BB6_2379 Depth=2
	s_andn2_saveexec_b64 s[20:21], s[88:89]
; %bb.2954:                             ;   in Loop: Header=BB6_2379 Depth=2
	v_or_b32_sdwa v9, v3, s53 dst_sel:DWORD dst_unused:UNUSED_PAD src0_sel:BYTE_3 src1_sel:DWORD
; %bb.2955:                             ;   in Loop: Header=BB6_2379 Depth=2
	s_or_b64 exec, exec, s[20:21]
	v_and_b32_e32 v14, 0xff, v7
	v_cmp_ne_u16_e32 vcc, 0, v14
	v_mov_b32_e32 v2, 0
	v_mov_b32_e32 v3, 0
	s_and_saveexec_b64 s[20:21], vcc
	s_cbranch_execz .LBB6_2961
; %bb.2956:                             ;   in Loop: Header=BB6_2379 Depth=2
	v_cmp_ne_u16_e32 vcc, s52, v14
	v_bfrev_b32_e32 v3, 1
	s_and_saveexec_b64 s[88:89], vcc
	s_cbranch_execz .LBB6_2960
; %bb.2957:                             ;   in Loop: Header=BB6_2379 Depth=2
	v_and_b32_e32 v15, 0x7f, v7
	v_cmp_ne_u32_e32 vcc, s53, v15
	v_mov_b32_e32 v3, 0x7f800001
	s_and_saveexec_b64 s[90:91], vcc
	s_cbranch_execz .LBB6_2959
; %bb.2958:                             ;   in Loop: Header=BB6_2379 Depth=2
	v_and_b32_e32 v3, 7, v14
	v_lshrrev_b32_e32 v16, 3, v15
	v_cmp_gt_u32_e32 vcc, 8, v15
	v_ffbh_u32_e32 v15, v3
	v_min_u32_e32 v20, 32, v15
	v_subrev_u32_e32 v15, 28, v20
	v_lshlrev_b64 v[14:15], v15, v[14:15]
	v_sub_u32_e32 v15, 29, v20
	v_and_b32_e32 v14, 7, v14
	v_cndmask_b32_e32 v15, v16, v15, vcc
	v_cndmask_b32_e32 v3, v3, v14, vcc
	v_lshlrev_b32_e32 v7, 24, v7
	v_lshlrev_b32_e32 v3, 20, v3
	v_and_b32_e32 v7, 0x80000000, v7
	v_lshl_add_u32 v14, v15, 23, v62
	v_or3_b32 v3, v7, v14, v3
.LBB6_2959:                             ;   in Loop: Header=BB6_2379 Depth=2
	s_or_b64 exec, exec, s[90:91]
.LBB6_2960:                             ;   in Loop: Header=BB6_2379 Depth=2
	s_or_b64 exec, exec, s[88:89]
.LBB6_2961:                             ;   in Loop: Header=BB6_2379 Depth=2
	s_or_b64 exec, exec, s[20:21]
	v_and_b32_e32 v14, 0xff, v6
	v_cmp_ne_u16_e32 vcc, 0, v14
	s_and_saveexec_b64 s[20:21], vcc
	s_cbranch_execz .LBB6_2967
; %bb.2962:                             ;   in Loop: Header=BB6_2379 Depth=2
	v_cmp_ne_u16_e32 vcc, s52, v14
	v_bfrev_b32_e32 v2, 1
	s_and_saveexec_b64 s[88:89], vcc
	s_cbranch_execz .LBB6_2966
; %bb.2963:                             ;   in Loop: Header=BB6_2379 Depth=2
	v_and_b32_e32 v7, 0x7f, v6
	v_cmp_ne_u32_e32 vcc, s53, v7
	v_mov_b32_e32 v2, 0x7f800001
	s_and_saveexec_b64 s[90:91], vcc
	s_cbranch_execz .LBB6_2965
; %bb.2964:                             ;   in Loop: Header=BB6_2379 Depth=2
	v_and_b32_e32 v2, 7, v14
	v_lshrrev_b32_e32 v16, 3, v7
	v_cmp_gt_u32_e32 vcc, 8, v7
	v_ffbh_u32_e32 v7, v2
	v_min_u32_e32 v7, 32, v7
	v_subrev_u32_e32 v15, 28, v7
	v_lshlrev_b64 v[14:15], v15, v[14:15]
	v_sub_u32_e32 v7, 29, v7
	v_and_b32_e32 v14, 7, v14
	v_cndmask_b32_e32 v7, v16, v7, vcc
	v_cndmask_b32_e32 v2, v2, v14, vcc
	v_lshlrev_b32_e32 v6, 24, v6
	v_lshlrev_b32_e32 v2, 20, v2
	v_and_b32_e32 v6, 0x80000000, v6
	v_lshl_add_u32 v7, v7, 23, v62
	v_or3_b32 v2, v6, v7, v2
.LBB6_2965:                             ;   in Loop: Header=BB6_2379 Depth=2
	s_or_b64 exec, exec, s[90:91]
.LBB6_2966:                             ;   in Loop: Header=BB6_2379 Depth=2
	s_or_b64 exec, exec, s[88:89]
.LBB6_2967:                             ;   in Loop: Header=BB6_2379 Depth=2
	s_or_b64 exec, exec, s[20:21]
	v_add_f32_e32 v3, v3, v2
	v_and_b32_e32 v60, 0x7f800000, v3
	v_cmp_ne_u64_e32 vcc, s[56:57], v[60:61]
                                        ; implicit-def: $vgpr6
	s_and_saveexec_b64 s[20:21], vcc
	s_xor_b64 s[88:89], exec, s[20:21]
	s_cbranch_execz .LBB6_2985
; %bb.2968:                             ;   in Loop: Header=BB6_2379 Depth=2
	v_and_b32_e32 v60, 0x7fffffff, v3
	v_cmp_gt_u64_e32 vcc, s[58:59], v[60:61]
	v_and_b32_sdwa v2, v3, s52 dst_sel:DWORD dst_unused:UNUSED_PAD src0_sel:BYTE_3 src1_sel:DWORD
                                        ; implicit-def: $vgpr6
	s_and_saveexec_b64 s[20:21], vcc
	s_xor_b64 s[90:91], exec, s[20:21]
	s_cbranch_execz .LBB6_2982
; %bb.2969:                             ;   in Loop: Header=BB6_2379 Depth=2
	v_cmp_ne_u32_e32 vcc, 0, v3
	v_mov_b32_e32 v6, 0
	s_and_saveexec_b64 s[92:93], vcc
	s_cbranch_execz .LBB6_2981
; %bb.2970:                             ;   in Loop: Header=BB6_2379 Depth=2
	v_and_b32_e32 v7, 0x7fffff, v3
	v_bfe_u32 v3, v3, 23, 8
	v_cmp_gt_u32_e64 s[20:21], s54, v3
	v_sub_u32_e32 v6, 0x79, v3
	v_cmp_eq_u32_e32 vcc, 0, v3
	v_cndmask_b32_e64 v6, 0, v6, s[20:21]
	v_mov_b32_e32 v15, 0x78
	v_or_b32_e32 v14, 0x800000, v7
	v_cndmask_b32_e32 v6, v6, v15, vcc
	v_cndmask_b32_e32 v60, v14, v7, vcc
	v_add_u32_e32 v7, 20, v6
	v_lshlrev_b64 v[14:15], v7, -1
	v_add_u32_e32 v7, 19, v6
	v_lshlrev_b64 v[20:21], v7, 1
	v_bfi_b32 v15, v15, 0, 0
	v_bfi_b32 v14, v14, 0, v60
	v_cmp_eq_u64_e64 s[20:21], v[14:15], v[20:21]
	v_lshrrev_b64 v[14:15], v6, v[60:61]
	v_mov_b32_e32 v16, v15
	v_mov_b32_e32 v15, v14
	s_and_saveexec_b64 s[94:95], s[20:21]
; %bb.2971:                             ;   in Loop: Header=BB6_2379 Depth=2
	v_bfe_u32 v7, v14, 20, 1
	v_add_co_u32_e64 v7, s[20:21], v14, v7
	v_add_co_u32_e64 v15, s[20:21], -1, v7
; %bb.2972:                             ;   in Loop: Header=BB6_2379 Depth=2
	s_or_b64 exec, exec, s[94:95]
	v_add_u32_e32 v3, 0xffffff81, v3
	v_mov_b32_e32 v7, 0xffffff82
	v_cndmask_b32_e32 v3, v3, v7, vcc
	v_lshrrev_b32_e32 v7, 23, v14
	v_add3_u32 v7, v6, v3, v7
	v_add_u32_e32 v6, 6, v7
	v_and_b32_e32 v3, 0xfffff, v15
	v_add_u32_e32 v60, v3, v14
	v_cmp_ne_u32_e32 vcc, 0, v6
                                        ; implicit-def: $vgpr14_vgpr15
                                        ; implicit-def: $vgpr3
	s_and_saveexec_b64 s[20:21], vcc
	s_xor_b64 s[20:21], exec, s[20:21]
; %bb.2973:                             ;   in Loop: Header=BB6_2379 Depth=2
	v_cmp_lt_u64_e32 vcc, s[60:61], v[60:61]
	v_add_u32_e32 v3, 7, v7
	v_cndmask_b32_e32 v3, v6, v3, vcc
	v_cndmask_b32_e64 v6, 0, 1, vcc
	v_lshrrev_b64 v[14:15], v6, v[60:61]
; %bb.2974:                             ;   in Loop: Header=BB6_2379 Depth=2
	s_andn2_saveexec_b64 s[20:21], s[20:21]
; %bb.2975:                             ;   in Loop: Header=BB6_2379 Depth=2
	v_mov_b32_e32 v14, v60
	v_bfe_u32 v3, v60, 23, 1
	v_mov_b32_e32 v15, v61
; %bb.2976:                             ;   in Loop: Header=BB6_2379 Depth=2
	s_or_b64 exec, exec, s[20:21]
	v_lshrrev_b64 v[6:7], 20, v[14:15]
	v_cmp_gt_i32_e32 vcc, 16, v3
	v_cndmask_b32_e32 v15, 0, v7, vcc
	v_cndmask_b32_e32 v14, 7, v6, vcc
	v_cmp_ne_u64_e32 vcc, 0, v[14:15]
	v_cmp_ne_u32_e64 s[20:21], 0, v3
	s_or_b64 s[20:21], s[20:21], vcc
                                        ; implicit-def: $vgpr6
	s_and_saveexec_b64 s[94:95], s[20:21]
	s_xor_b64 s[20:21], exec, s[94:95]
; %bb.2977:                             ;   in Loop: Header=BB6_2379 Depth=2
	v_min_i32_e32 v3, 15, v3
	v_lshl_or_b32 v2, v3, 3, v2
	v_and_or_b32 v6, v14, 7, v2
                                        ; implicit-def: $vgpr2
; %bb.2978:                             ;   in Loop: Header=BB6_2379 Depth=2
	s_andn2_saveexec_b64 s[20:21], s[20:21]
; %bb.2979:                             ;   in Loop: Header=BB6_2379 Depth=2
	v_mov_b32_e32 v6, v2
; %bb.2980:                             ;   in Loop: Header=BB6_2379 Depth=2
	s_or_b64 exec, exec, s[20:21]
.LBB6_2981:                             ;   in Loop: Header=BB6_2379 Depth=2
	s_or_b64 exec, exec, s[92:93]
                                        ; implicit-def: $vgpr2
.LBB6_2982:                             ;   in Loop: Header=BB6_2379 Depth=2
	s_andn2_saveexec_b64 s[20:21], s[90:91]
; %bb.2983:                             ;   in Loop: Header=BB6_2379 Depth=2
	v_or_b32_e32 v6, 0x7e, v2
; %bb.2984:                             ;   in Loop: Header=BB6_2379 Depth=2
	s_or_b64 exec, exec, s[20:21]
                                        ; implicit-def: $vgpr3
.LBB6_2985:                             ;   in Loop: Header=BB6_2379 Depth=2
	s_andn2_saveexec_b64 s[20:21], s[88:89]
; %bb.2986:                             ;   in Loop: Header=BB6_2379 Depth=2
	v_or_b32_sdwa v6, v3, s53 dst_sel:DWORD dst_unused:UNUSED_PAD src0_sel:BYTE_3 src1_sel:DWORD
; %bb.2987:                             ;   in Loop: Header=BB6_2379 Depth=2
	s_or_b64 exec, exec, s[20:21]
	v_and_b32_e32 v14, 0xff, v56
	v_cmp_ne_u16_e32 vcc, 0, v14
	v_mov_b32_e32 v2, 0
	v_mov_b32_e32 v3, 0
	s_and_saveexec_b64 s[20:21], vcc
	s_cbranch_execz .LBB6_2993
; %bb.2988:                             ;   in Loop: Header=BB6_2379 Depth=2
	v_cmp_ne_u16_e32 vcc, s52, v14
	v_bfrev_b32_e32 v3, 1
	s_and_saveexec_b64 s[88:89], vcc
	s_cbranch_execz .LBB6_2992
; %bb.2989:                             ;   in Loop: Header=BB6_2379 Depth=2
	v_and_b32_e32 v7, 0x7f, v56
	v_cmp_ne_u32_e32 vcc, s53, v7
	v_mov_b32_e32 v3, 0x7f800001
	s_and_saveexec_b64 s[90:91], vcc
	s_cbranch_execz .LBB6_2991
; %bb.2990:                             ;   in Loop: Header=BB6_2379 Depth=2
	v_and_b32_e32 v3, 7, v14
	v_lshrrev_b32_e32 v16, 3, v7
	v_cmp_gt_u32_e32 vcc, 8, v7
	v_ffbh_u32_e32 v7, v3
	v_min_u32_e32 v7, 32, v7
	v_subrev_u32_e32 v15, 28, v7
	v_lshlrev_b64 v[14:15], v15, v[14:15]
	v_sub_u32_e32 v7, 29, v7
	v_and_b32_e32 v14, 7, v14
	v_cndmask_b32_e32 v7, v16, v7, vcc
	v_cndmask_b32_e32 v3, v3, v14, vcc
	v_lshlrev_b32_e32 v14, 24, v56
	v_lshlrev_b32_e32 v3, 20, v3
	v_and_b32_e32 v14, 0x80000000, v14
	v_lshl_add_u32 v7, v7, 23, v62
	v_or3_b32 v3, v14, v7, v3
.LBB6_2991:                             ;   in Loop: Header=BB6_2379 Depth=2
	s_or_b64 exec, exec, s[90:91]
.LBB6_2992:                             ;   in Loop: Header=BB6_2379 Depth=2
	s_or_b64 exec, exec, s[88:89]
.LBB6_2993:                             ;   in Loop: Header=BB6_2379 Depth=2
	s_or_b64 exec, exec, s[20:21]
	v_and_b32_e32 v14, 0xff, v55
	v_cmp_ne_u16_e32 vcc, 0, v14
	s_and_saveexec_b64 s[20:21], vcc
	s_cbranch_execz .LBB6_2999
; %bb.2994:                             ;   in Loop: Header=BB6_2379 Depth=2
	v_cmp_ne_u16_e32 vcc, s52, v14
	v_bfrev_b32_e32 v2, 1
	s_and_saveexec_b64 s[88:89], vcc
	s_cbranch_execz .LBB6_2998
; %bb.2995:                             ;   in Loop: Header=BB6_2379 Depth=2
	v_and_b32_e32 v7, 0x7f, v55
	v_cmp_ne_u32_e32 vcc, s53, v7
	v_mov_b32_e32 v2, 0x7f800001
	s_and_saveexec_b64 s[90:91], vcc
	s_cbranch_execz .LBB6_2997
; %bb.2996:                             ;   in Loop: Header=BB6_2379 Depth=2
	v_and_b32_e32 v2, 7, v14
	v_lshrrev_b32_e32 v16, 3, v7
	v_cmp_gt_u32_e32 vcc, 8, v7
	v_ffbh_u32_e32 v7, v2
	v_min_u32_e32 v7, 32, v7
	v_subrev_u32_e32 v15, 28, v7
	v_lshlrev_b64 v[14:15], v15, v[14:15]
	v_sub_u32_e32 v7, 29, v7
	v_and_b32_e32 v14, 7, v14
	v_cndmask_b32_e32 v7, v16, v7, vcc
	v_cndmask_b32_e32 v2, v2, v14, vcc
	v_lshlrev_b32_e32 v14, 24, v55
	v_lshlrev_b32_e32 v2, 20, v2
	v_and_b32_e32 v14, 0x80000000, v14
	v_lshl_add_u32 v7, v7, 23, v62
	v_or3_b32 v2, v14, v7, v2
.LBB6_2997:                             ;   in Loop: Header=BB6_2379 Depth=2
	s_or_b64 exec, exec, s[90:91]
.LBB6_2998:                             ;   in Loop: Header=BB6_2379 Depth=2
	s_or_b64 exec, exec, s[88:89]
.LBB6_2999:                             ;   in Loop: Header=BB6_2379 Depth=2
	s_or_b64 exec, exec, s[20:21]
	v_add_f32_e32 v3, v3, v2
	v_and_b32_e32 v60, 0x7f800000, v3
	v_cmp_ne_u64_e32 vcc, s[56:57], v[60:61]
                                        ; implicit-def: $vgpr7
	s_and_saveexec_b64 s[20:21], vcc
	s_xor_b64 s[88:89], exec, s[20:21]
	s_cbranch_execz .LBB6_3017
; %bb.3000:                             ;   in Loop: Header=BB6_2379 Depth=2
	v_and_b32_e32 v60, 0x7fffffff, v3
	v_cmp_gt_u64_e32 vcc, s[58:59], v[60:61]
	v_and_b32_sdwa v2, v3, s52 dst_sel:DWORD dst_unused:UNUSED_PAD src0_sel:BYTE_3 src1_sel:DWORD
                                        ; implicit-def: $vgpr7
	s_and_saveexec_b64 s[20:21], vcc
	s_xor_b64 s[90:91], exec, s[20:21]
	s_cbranch_execz .LBB6_3014
; %bb.3001:                             ;   in Loop: Header=BB6_2379 Depth=2
	v_cmp_ne_u32_e32 vcc, 0, v3
	v_mov_b32_e32 v7, 0
	s_and_saveexec_b64 s[92:93], vcc
	s_cbranch_execz .LBB6_3013
; %bb.3002:                             ;   in Loop: Header=BB6_2379 Depth=2
	v_and_b32_e32 v14, 0x7fffff, v3
	v_bfe_u32 v3, v3, 23, 8
	v_cmp_gt_u32_e64 s[20:21], s54, v3
	v_sub_u32_e32 v7, 0x79, v3
	v_cmp_eq_u32_e32 vcc, 0, v3
	v_cndmask_b32_e64 v7, 0, v7, s[20:21]
	v_mov_b32_e32 v16, 0x78
	v_or_b32_e32 v15, 0x800000, v14
	v_cndmask_b32_e32 v7, v7, v16, vcc
	v_cndmask_b32_e32 v60, v15, v14, vcc
	v_add_u32_e32 v14, 20, v7
	v_lshlrev_b64 v[14:15], v14, -1
	v_add_u32_e32 v16, 19, v7
	v_lshlrev_b64 v[20:21], v16, 1
	v_bfi_b32 v15, v15, 0, 0
	v_bfi_b32 v14, v14, 0, v60
	v_cmp_eq_u64_e64 s[20:21], v[14:15], v[20:21]
	v_lshrrev_b64 v[14:15], v7, v[60:61]
	v_mov_b32_e32 v16, v15
	v_mov_b32_e32 v15, v14
	s_and_saveexec_b64 s[94:95], s[20:21]
; %bb.3003:                             ;   in Loop: Header=BB6_2379 Depth=2
	v_bfe_u32 v15, v14, 20, 1
	v_add_co_u32_e64 v15, s[20:21], v14, v15
	v_add_co_u32_e64 v15, s[20:21], -1, v15
; %bb.3004:                             ;   in Loop: Header=BB6_2379 Depth=2
	s_or_b64 exec, exec, s[94:95]
	v_add_u32_e32 v3, 0xffffff81, v3
	v_mov_b32_e32 v16, 0xffffff82
	v_cndmask_b32_e32 v3, v3, v16, vcc
	v_lshrrev_b32_e32 v16, 23, v14
	v_add3_u32 v16, v7, v3, v16
	v_add_u32_e32 v7, 6, v16
	v_and_b32_e32 v3, 0xfffff, v15
	v_add_u32_e32 v60, v3, v14
	v_cmp_ne_u32_e32 vcc, 0, v7
                                        ; implicit-def: $vgpr14_vgpr15
                                        ; implicit-def: $vgpr3
	s_and_saveexec_b64 s[20:21], vcc
	s_xor_b64 s[20:21], exec, s[20:21]
; %bb.3005:                             ;   in Loop: Header=BB6_2379 Depth=2
	v_cmp_lt_u64_e32 vcc, s[60:61], v[60:61]
	v_add_u32_e32 v3, 7, v16
	v_cndmask_b32_e32 v3, v7, v3, vcc
	v_cndmask_b32_e64 v7, 0, 1, vcc
	v_lshrrev_b64 v[14:15], v7, v[60:61]
; %bb.3006:                             ;   in Loop: Header=BB6_2379 Depth=2
	s_andn2_saveexec_b64 s[20:21], s[20:21]
; %bb.3007:                             ;   in Loop: Header=BB6_2379 Depth=2
	v_mov_b32_e32 v14, v60
	v_bfe_u32 v3, v60, 23, 1
	v_mov_b32_e32 v15, v61
; %bb.3008:                             ;   in Loop: Header=BB6_2379 Depth=2
	s_or_b64 exec, exec, s[20:21]
	v_lshrrev_b64 v[14:15], 20, v[14:15]
	v_cmp_gt_i32_e32 vcc, 16, v3
	v_cndmask_b32_e32 v15, 0, v15, vcc
	v_cndmask_b32_e32 v14, 7, v14, vcc
	v_cmp_ne_u64_e32 vcc, 0, v[14:15]
	v_cmp_ne_u32_e64 s[20:21], 0, v3
	s_or_b64 s[20:21], s[20:21], vcc
                                        ; implicit-def: $vgpr7
	s_and_saveexec_b64 s[94:95], s[20:21]
	s_xor_b64 s[20:21], exec, s[94:95]
; %bb.3009:                             ;   in Loop: Header=BB6_2379 Depth=2
	v_min_i32_e32 v3, 15, v3
	v_lshl_or_b32 v2, v3, 3, v2
	v_and_or_b32 v7, v14, 7, v2
                                        ; implicit-def: $vgpr2
; %bb.3010:                             ;   in Loop: Header=BB6_2379 Depth=2
	s_andn2_saveexec_b64 s[20:21], s[20:21]
; %bb.3011:                             ;   in Loop: Header=BB6_2379 Depth=2
	v_mov_b32_e32 v7, v2
; %bb.3012:                             ;   in Loop: Header=BB6_2379 Depth=2
	s_or_b64 exec, exec, s[20:21]
.LBB6_3013:                             ;   in Loop: Header=BB6_2379 Depth=2
	s_or_b64 exec, exec, s[92:93]
                                        ; implicit-def: $vgpr2
.LBB6_3014:                             ;   in Loop: Header=BB6_2379 Depth=2
	s_andn2_saveexec_b64 s[20:21], s[90:91]
; %bb.3015:                             ;   in Loop: Header=BB6_2379 Depth=2
	v_or_b32_e32 v7, 0x7e, v2
; %bb.3016:                             ;   in Loop: Header=BB6_2379 Depth=2
	s_or_b64 exec, exec, s[20:21]
                                        ; implicit-def: $vgpr3
.LBB6_3017:                             ;   in Loop: Header=BB6_2379 Depth=2
	s_andn2_saveexec_b64 s[20:21], s[88:89]
; %bb.3018:                             ;   in Loop: Header=BB6_2379 Depth=2
	v_or_b32_sdwa v7, v3, s53 dst_sel:DWORD dst_unused:UNUSED_PAD src0_sel:BYTE_3 src1_sel:DWORD
; %bb.3019:                             ;   in Loop: Header=BB6_2379 Depth=2
	s_or_b64 exec, exec, s[20:21]
	v_and_b32_e32 v14, 0xff, v17
	v_cmp_ne_u16_e32 vcc, 0, v14
	v_mov_b32_e32 v2, 0
	v_mov_b32_e32 v3, 0
	s_and_saveexec_b64 s[20:21], vcc
	s_cbranch_execz .LBB6_3025
; %bb.3020:                             ;   in Loop: Header=BB6_2379 Depth=2
	v_cmp_ne_u16_e32 vcc, s52, v14
	v_bfrev_b32_e32 v3, 1
	s_and_saveexec_b64 s[88:89], vcc
	s_cbranch_execz .LBB6_3024
; %bb.3021:                             ;   in Loop: Header=BB6_2379 Depth=2
	v_and_b32_e32 v15, 0x7f, v17
	v_cmp_ne_u32_e32 vcc, s53, v15
	v_mov_b32_e32 v3, 0x7f800001
	s_and_saveexec_b64 s[90:91], vcc
	s_cbranch_execz .LBB6_3023
; %bb.3022:                             ;   in Loop: Header=BB6_2379 Depth=2
	v_and_b32_e32 v3, 7, v14
	v_lshrrev_b32_e32 v16, 3, v15
	v_cmp_gt_u32_e32 vcc, 8, v15
	v_ffbh_u32_e32 v15, v3
	v_min_u32_e32 v20, 32, v15
	v_subrev_u32_e32 v15, 28, v20
	v_lshlrev_b64 v[14:15], v15, v[14:15]
	v_sub_u32_e32 v15, 29, v20
	v_and_b32_e32 v14, 7, v14
	v_cndmask_b32_e32 v15, v16, v15, vcc
	v_cndmask_b32_e32 v3, v3, v14, vcc
	v_lshlrev_b32_e32 v14, 24, v17
	v_lshlrev_b32_e32 v3, 20, v3
	v_and_b32_e32 v14, 0x80000000, v14
	v_lshl_add_u32 v15, v15, 23, v62
	v_or3_b32 v3, v14, v15, v3
.LBB6_3023:                             ;   in Loop: Header=BB6_2379 Depth=2
	s_or_b64 exec, exec, s[90:91]
.LBB6_3024:                             ;   in Loop: Header=BB6_2379 Depth=2
	s_or_b64 exec, exec, s[88:89]
.LBB6_3025:                             ;   in Loop: Header=BB6_2379 Depth=2
	s_or_b64 exec, exec, s[20:21]
	v_and_b32_e32 v14, 0xff, v4
	v_cmp_ne_u16_e32 vcc, 0, v14
	s_and_saveexec_b64 s[20:21], vcc
	s_cbranch_execz .LBB6_3031
; %bb.3026:                             ;   in Loop: Header=BB6_2379 Depth=2
	v_cmp_ne_u16_e32 vcc, s52, v14
	v_bfrev_b32_e32 v2, 1
	s_and_saveexec_b64 s[88:89], vcc
	s_cbranch_execz .LBB6_3030
; %bb.3027:                             ;   in Loop: Header=BB6_2379 Depth=2
	v_and_b32_e32 v15, 0x7f, v4
	v_cmp_ne_u32_e32 vcc, s53, v15
	v_mov_b32_e32 v2, 0x7f800001
	s_and_saveexec_b64 s[90:91], vcc
	s_cbranch_execz .LBB6_3029
; %bb.3028:                             ;   in Loop: Header=BB6_2379 Depth=2
	v_and_b32_e32 v2, 7, v14
	v_lshrrev_b32_e32 v16, 3, v15
	v_cmp_gt_u32_e32 vcc, 8, v15
	v_ffbh_u32_e32 v15, v2
	v_min_u32_e32 v17, 32, v15
	v_subrev_u32_e32 v15, 28, v17
	v_lshlrev_b64 v[14:15], v15, v[14:15]
	v_sub_u32_e32 v15, 29, v17
	v_and_b32_e32 v14, 7, v14
	v_cndmask_b32_e32 v15, v16, v15, vcc
	v_cndmask_b32_e32 v2, v2, v14, vcc
	v_lshlrev_b32_e32 v4, 24, v4
	v_lshlrev_b32_e32 v2, 20, v2
	v_and_b32_e32 v4, 0x80000000, v4
	v_lshl_add_u32 v14, v15, 23, v62
	v_or3_b32 v2, v4, v14, v2
.LBB6_3029:                             ;   in Loop: Header=BB6_2379 Depth=2
	s_or_b64 exec, exec, s[90:91]
.LBB6_3030:                             ;   in Loop: Header=BB6_2379 Depth=2
	s_or_b64 exec, exec, s[88:89]
.LBB6_3031:                             ;   in Loop: Header=BB6_2379 Depth=2
	s_or_b64 exec, exec, s[20:21]
	v_add_f32_e32 v3, v3, v2
	v_and_b32_e32 v60, 0x7f800000, v3
	v_cmp_ne_u64_e32 vcc, s[56:57], v[60:61]
                                        ; implicit-def: $vgpr4
	s_and_saveexec_b64 s[20:21], vcc
	s_xor_b64 s[88:89], exec, s[20:21]
	s_cbranch_execz .LBB6_3049
; %bb.3032:                             ;   in Loop: Header=BB6_2379 Depth=2
	v_and_b32_e32 v60, 0x7fffffff, v3
	v_cmp_gt_u64_e32 vcc, s[58:59], v[60:61]
	v_and_b32_sdwa v2, v3, s52 dst_sel:DWORD dst_unused:UNUSED_PAD src0_sel:BYTE_3 src1_sel:DWORD
                                        ; implicit-def: $vgpr4
	s_and_saveexec_b64 s[20:21], vcc
	s_xor_b64 s[90:91], exec, s[20:21]
	s_cbranch_execz .LBB6_3046
; %bb.3033:                             ;   in Loop: Header=BB6_2379 Depth=2
	v_cmp_ne_u32_e32 vcc, 0, v3
	v_mov_b32_e32 v4, 0
	s_and_saveexec_b64 s[92:93], vcc
	s_cbranch_execz .LBB6_3045
; %bb.3034:                             ;   in Loop: Header=BB6_2379 Depth=2
	v_and_b32_e32 v14, 0x7fffff, v3
	v_bfe_u32 v3, v3, 23, 8
	v_cmp_gt_u32_e64 s[20:21], s54, v3
	v_sub_u32_e32 v4, 0x79, v3
	v_cmp_eq_u32_e32 vcc, 0, v3
	v_cndmask_b32_e64 v4, 0, v4, s[20:21]
	v_mov_b32_e32 v16, 0x78
	v_or_b32_e32 v15, 0x800000, v14
	v_cndmask_b32_e32 v4, v4, v16, vcc
	v_cndmask_b32_e32 v60, v15, v14, vcc
	v_add_u32_e32 v14, 20, v4
	v_lshlrev_b64 v[14:15], v14, -1
	v_add_u32_e32 v16, 19, v4
	v_lshlrev_b64 v[16:17], v16, 1
	v_bfi_b32 v15, v15, 0, 0
	v_bfi_b32 v14, v14, 0, v60
	v_cmp_eq_u64_e64 s[20:21], v[14:15], v[16:17]
	v_lshrrev_b64 v[14:15], v4, v[60:61]
	v_mov_b32_e32 v16, v15
	v_mov_b32_e32 v15, v14
	s_and_saveexec_b64 s[94:95], s[20:21]
; %bb.3035:                             ;   in Loop: Header=BB6_2379 Depth=2
	v_bfe_u32 v15, v14, 20, 1
	v_add_co_u32_e64 v15, s[20:21], v14, v15
	v_add_co_u32_e64 v15, s[20:21], -1, v15
; %bb.3036:                             ;   in Loop: Header=BB6_2379 Depth=2
	s_or_b64 exec, exec, s[94:95]
	v_add_u32_e32 v3, 0xffffff81, v3
	v_mov_b32_e32 v16, 0xffffff82
	v_cndmask_b32_e32 v3, v3, v16, vcc
	v_lshrrev_b32_e32 v16, 23, v14
	v_add3_u32 v16, v4, v3, v16
	v_add_u32_e32 v4, 6, v16
	v_and_b32_e32 v3, 0xfffff, v15
	v_add_u32_e32 v60, v3, v14
	v_cmp_ne_u32_e32 vcc, 0, v4
                                        ; implicit-def: $vgpr14_vgpr15
                                        ; implicit-def: $vgpr3
	s_and_saveexec_b64 s[20:21], vcc
	s_xor_b64 s[20:21], exec, s[20:21]
; %bb.3037:                             ;   in Loop: Header=BB6_2379 Depth=2
	v_cmp_lt_u64_e32 vcc, s[60:61], v[60:61]
	v_add_u32_e32 v3, 7, v16
	v_cndmask_b32_e32 v3, v4, v3, vcc
	v_cndmask_b32_e64 v4, 0, 1, vcc
	v_lshrrev_b64 v[14:15], v4, v[60:61]
; %bb.3038:                             ;   in Loop: Header=BB6_2379 Depth=2
	s_andn2_saveexec_b64 s[20:21], s[20:21]
; %bb.3039:                             ;   in Loop: Header=BB6_2379 Depth=2
	v_mov_b32_e32 v14, v60
	v_bfe_u32 v3, v60, 23, 1
	v_mov_b32_e32 v15, v61
; %bb.3040:                             ;   in Loop: Header=BB6_2379 Depth=2
	s_or_b64 exec, exec, s[20:21]
	v_lshrrev_b64 v[14:15], 20, v[14:15]
	v_cmp_gt_i32_e32 vcc, 16, v3
	v_cndmask_b32_e32 v15, 0, v15, vcc
	v_cndmask_b32_e32 v14, 7, v14, vcc
	v_cmp_ne_u64_e32 vcc, 0, v[14:15]
	v_cmp_ne_u32_e64 s[20:21], 0, v3
	s_or_b64 s[20:21], s[20:21], vcc
                                        ; implicit-def: $vgpr4
	s_and_saveexec_b64 s[94:95], s[20:21]
	s_xor_b64 s[20:21], exec, s[94:95]
; %bb.3041:                             ;   in Loop: Header=BB6_2379 Depth=2
	v_min_i32_e32 v3, 15, v3
	v_lshl_or_b32 v2, v3, 3, v2
	v_and_or_b32 v4, v14, 7, v2
                                        ; implicit-def: $vgpr2
; %bb.3042:                             ;   in Loop: Header=BB6_2379 Depth=2
	s_andn2_saveexec_b64 s[20:21], s[20:21]
; %bb.3043:                             ;   in Loop: Header=BB6_2379 Depth=2
	v_mov_b32_e32 v4, v2
; %bb.3044:                             ;   in Loop: Header=BB6_2379 Depth=2
	s_or_b64 exec, exec, s[20:21]
.LBB6_3045:                             ;   in Loop: Header=BB6_2379 Depth=2
	s_or_b64 exec, exec, s[92:93]
                                        ; implicit-def: $vgpr2
.LBB6_3046:                             ;   in Loop: Header=BB6_2379 Depth=2
	s_andn2_saveexec_b64 s[20:21], s[90:91]
; %bb.3047:                             ;   in Loop: Header=BB6_2379 Depth=2
	v_or_b32_e32 v4, 0x7e, v2
; %bb.3048:                             ;   in Loop: Header=BB6_2379 Depth=2
	s_or_b64 exec, exec, s[20:21]
                                        ; implicit-def: $vgpr3
.LBB6_3049:                             ;   in Loop: Header=BB6_2379 Depth=2
	s_andn2_saveexec_b64 s[20:21], s[88:89]
; %bb.3050:                             ;   in Loop: Header=BB6_2379 Depth=2
	v_or_b32_sdwa v4, v3, s53 dst_sel:DWORD dst_unused:UNUSED_PAD src0_sel:BYTE_3 src1_sel:DWORD
; %bb.3051:                             ;   in Loop: Header=BB6_2379 Depth=2
	s_or_b64 exec, exec, s[20:21]
	v_and_b32_e32 v14, 0xff, v59
	v_cmp_ne_u16_e32 vcc, 0, v14
	v_mov_b32_e32 v2, 0
	v_mov_b32_e32 v3, 0
	s_and_saveexec_b64 s[20:21], vcc
	s_cbranch_execz .LBB6_3057
; %bb.3052:                             ;   in Loop: Header=BB6_2379 Depth=2
	v_cmp_ne_u16_e32 vcc, s52, v14
	v_bfrev_b32_e32 v3, 1
	s_and_saveexec_b64 s[88:89], vcc
	s_cbranch_execz .LBB6_3056
; %bb.3053:                             ;   in Loop: Header=BB6_2379 Depth=2
	v_and_b32_e32 v15, 0x7f, v59
	v_cmp_ne_u32_e32 vcc, s53, v15
	v_mov_b32_e32 v3, 0x7f800001
	s_and_saveexec_b64 s[90:91], vcc
	s_cbranch_execz .LBB6_3055
; %bb.3054:                             ;   in Loop: Header=BB6_2379 Depth=2
	v_and_b32_e32 v3, 7, v14
	v_lshrrev_b32_e32 v16, 3, v15
	v_cmp_gt_u32_e32 vcc, 8, v15
	v_ffbh_u32_e32 v15, v3
	v_min_u32_e32 v17, 32, v15
	v_subrev_u32_e32 v15, 28, v17
	v_lshlrev_b64 v[14:15], v15, v[14:15]
	v_sub_u32_e32 v15, 29, v17
	v_and_b32_e32 v14, 7, v14
	v_cndmask_b32_e32 v15, v16, v15, vcc
	v_cndmask_b32_e32 v3, v3, v14, vcc
	v_lshlrev_b32_e32 v14, 24, v59
	v_lshlrev_b32_e32 v3, 20, v3
	v_and_b32_e32 v14, 0x80000000, v14
	v_lshl_add_u32 v15, v15, 23, v62
	v_or3_b32 v3, v14, v15, v3
.LBB6_3055:                             ;   in Loop: Header=BB6_2379 Depth=2
	s_or_b64 exec, exec, s[90:91]
.LBB6_3056:                             ;   in Loop: Header=BB6_2379 Depth=2
	s_or_b64 exec, exec, s[88:89]
.LBB6_3057:                             ;   in Loop: Header=BB6_2379 Depth=2
	s_or_b64 exec, exec, s[20:21]
	v_and_b32_e32 v14, 0xff, v58
	v_cmp_ne_u16_e32 vcc, 0, v14
	s_and_saveexec_b64 s[20:21], vcc
	s_cbranch_execz .LBB6_3063
; %bb.3058:                             ;   in Loop: Header=BB6_2379 Depth=2
	v_cmp_ne_u16_e32 vcc, s52, v14
	v_bfrev_b32_e32 v2, 1
	s_and_saveexec_b64 s[88:89], vcc
	s_cbranch_execz .LBB6_3062
; %bb.3059:                             ;   in Loop: Header=BB6_2379 Depth=2
	v_and_b32_e32 v15, 0x7f, v58
	v_cmp_ne_u32_e32 vcc, s53, v15
	v_mov_b32_e32 v2, 0x7f800001
	s_and_saveexec_b64 s[90:91], vcc
	s_cbranch_execz .LBB6_3061
; %bb.3060:                             ;   in Loop: Header=BB6_2379 Depth=2
	v_and_b32_e32 v2, 7, v14
	v_lshrrev_b32_e32 v16, 3, v15
	v_cmp_gt_u32_e32 vcc, 8, v15
	v_ffbh_u32_e32 v15, v2
	v_min_u32_e32 v17, 32, v15
	v_subrev_u32_e32 v15, 28, v17
	v_lshlrev_b64 v[14:15], v15, v[14:15]
	v_sub_u32_e32 v15, 29, v17
	v_and_b32_e32 v14, 7, v14
	v_cndmask_b32_e32 v15, v16, v15, vcc
	v_cndmask_b32_e32 v2, v2, v14, vcc
	v_lshlrev_b32_e32 v14, 24, v58
	v_lshlrev_b32_e32 v2, 20, v2
	v_and_b32_e32 v14, 0x80000000, v14
	v_lshl_add_u32 v15, v15, 23, v62
	v_or3_b32 v2, v14, v15, v2
.LBB6_3061:                             ;   in Loop: Header=BB6_2379 Depth=2
	s_or_b64 exec, exec, s[90:91]
.LBB6_3062:                             ;   in Loop: Header=BB6_2379 Depth=2
	s_or_b64 exec, exec, s[88:89]
.LBB6_3063:                             ;   in Loop: Header=BB6_2379 Depth=2
	s_or_b64 exec, exec, s[20:21]
	v_add_f32_e32 v3, v3, v2
	v_and_b32_e32 v60, 0x7f800000, v3
	v_cmp_ne_u64_e32 vcc, s[56:57], v[60:61]
                                        ; implicit-def: $vgpr17
	s_and_saveexec_b64 s[20:21], vcc
	s_xor_b64 s[88:89], exec, s[20:21]
	s_cbranch_execz .LBB6_3081
; %bb.3064:                             ;   in Loop: Header=BB6_2379 Depth=2
	v_and_b32_e32 v60, 0x7fffffff, v3
	v_cmp_gt_u64_e32 vcc, s[58:59], v[60:61]
	v_and_b32_sdwa v2, v3, s52 dst_sel:DWORD dst_unused:UNUSED_PAD src0_sel:BYTE_3 src1_sel:DWORD
                                        ; implicit-def: $vgpr17
	s_and_saveexec_b64 s[20:21], vcc
	s_xor_b64 s[90:91], exec, s[20:21]
	s_cbranch_execz .LBB6_3078
; %bb.3065:                             ;   in Loop: Header=BB6_2379 Depth=2
	v_cmp_ne_u32_e32 vcc, 0, v3
	v_mov_b32_e32 v17, 0
	s_and_saveexec_b64 s[92:93], vcc
	s_cbranch_execz .LBB6_3077
; %bb.3066:                             ;   in Loop: Header=BB6_2379 Depth=2
	v_and_b32_e32 v14, 0x7fffff, v3
	v_bfe_u32 v3, v3, 23, 8
	v_cmp_gt_u32_e64 s[20:21], s54, v3
	v_sub_u32_e32 v15, 0x79, v3
	v_cmp_eq_u32_e32 vcc, 0, v3
	v_cndmask_b32_e64 v15, 0, v15, s[20:21]
	v_mov_b32_e32 v17, 0x78
	v_or_b32_e32 v16, 0x800000, v14
	v_cndmask_b32_e32 v17, v15, v17, vcc
	v_cndmask_b32_e32 v60, v16, v14, vcc
	v_add_u32_e32 v14, 20, v17
	v_lshlrev_b64 v[14:15], v14, -1
	v_add_u32_e32 v16, 19, v17
	v_lshlrev_b64 v[20:21], v16, 1
	v_bfi_b32 v15, v15, 0, 0
	v_bfi_b32 v14, v14, 0, v60
	v_cmp_eq_u64_e64 s[20:21], v[14:15], v[20:21]
	v_lshrrev_b64 v[14:15], v17, v[60:61]
	v_mov_b32_e32 v16, v15
	v_mov_b32_e32 v15, v14
	s_and_saveexec_b64 s[94:95], s[20:21]
; %bb.3067:                             ;   in Loop: Header=BB6_2379 Depth=2
	v_bfe_u32 v15, v14, 20, 1
	v_add_co_u32_e64 v15, s[20:21], v14, v15
	v_add_co_u32_e64 v15, s[20:21], -1, v15
; %bb.3068:                             ;   in Loop: Header=BB6_2379 Depth=2
	s_or_b64 exec, exec, s[94:95]
	v_add_u32_e32 v3, 0xffffff81, v3
	v_mov_b32_e32 v16, 0xffffff82
	v_cndmask_b32_e32 v3, v3, v16, vcc
	v_lshrrev_b32_e32 v16, 23, v14
	v_add3_u32 v17, v17, v3, v16
	v_add_u32_e32 v16, 6, v17
	v_and_b32_e32 v3, 0xfffff, v15
	v_add_u32_e32 v60, v3, v14
	v_cmp_ne_u32_e32 vcc, 0, v16
                                        ; implicit-def: $vgpr14_vgpr15
                                        ; implicit-def: $vgpr3
	s_and_saveexec_b64 s[20:21], vcc
	s_xor_b64 s[20:21], exec, s[20:21]
; %bb.3069:                             ;   in Loop: Header=BB6_2379 Depth=2
	v_cmp_lt_u64_e32 vcc, s[60:61], v[60:61]
	v_add_u32_e32 v3, 7, v17
	v_cndmask_b32_e64 v14, 0, 1, vcc
	v_lshrrev_b64 v[14:15], v14, v[60:61]
	v_cndmask_b32_e32 v3, v16, v3, vcc
; %bb.3070:                             ;   in Loop: Header=BB6_2379 Depth=2
	s_andn2_saveexec_b64 s[20:21], s[20:21]
; %bb.3071:                             ;   in Loop: Header=BB6_2379 Depth=2
	v_mov_b32_e32 v14, v60
	v_bfe_u32 v3, v60, 23, 1
	v_mov_b32_e32 v15, v61
; %bb.3072:                             ;   in Loop: Header=BB6_2379 Depth=2
	s_or_b64 exec, exec, s[20:21]
	v_lshrrev_b64 v[14:15], 20, v[14:15]
	v_cmp_gt_i32_e32 vcc, 16, v3
	v_cndmask_b32_e32 v15, 0, v15, vcc
	v_cndmask_b32_e32 v14, 7, v14, vcc
	v_cmp_ne_u64_e32 vcc, 0, v[14:15]
	v_cmp_ne_u32_e64 s[20:21], 0, v3
	s_or_b64 s[20:21], s[20:21], vcc
                                        ; implicit-def: $vgpr17
	s_and_saveexec_b64 s[94:95], s[20:21]
	s_xor_b64 s[20:21], exec, s[94:95]
; %bb.3073:                             ;   in Loop: Header=BB6_2379 Depth=2
	v_min_i32_e32 v3, 15, v3
	v_lshl_or_b32 v2, v3, 3, v2
	v_and_or_b32 v17, v14, 7, v2
                                        ; implicit-def: $vgpr2
; %bb.3074:                             ;   in Loop: Header=BB6_2379 Depth=2
	s_andn2_saveexec_b64 s[20:21], s[20:21]
; %bb.3075:                             ;   in Loop: Header=BB6_2379 Depth=2
	v_mov_b32_e32 v17, v2
; %bb.3076:                             ;   in Loop: Header=BB6_2379 Depth=2
	s_or_b64 exec, exec, s[20:21]
.LBB6_3077:                             ;   in Loop: Header=BB6_2379 Depth=2
	s_or_b64 exec, exec, s[92:93]
                                        ; implicit-def: $vgpr2
.LBB6_3078:                             ;   in Loop: Header=BB6_2379 Depth=2
	s_andn2_saveexec_b64 s[20:21], s[90:91]
; %bb.3079:                             ;   in Loop: Header=BB6_2379 Depth=2
	v_or_b32_e32 v17, 0x7e, v2
; %bb.3080:                             ;   in Loop: Header=BB6_2379 Depth=2
	s_or_b64 exec, exec, s[20:21]
                                        ; implicit-def: $vgpr3
.LBB6_3081:                             ;   in Loop: Header=BB6_2379 Depth=2
	s_andn2_saveexec_b64 s[20:21], s[88:89]
; %bb.3082:                             ;   in Loop: Header=BB6_2379 Depth=2
	v_or_b32_sdwa v17, v3, s53 dst_sel:DWORD dst_unused:UNUSED_PAD src0_sel:BYTE_3 src1_sel:DWORD
; %bb.3083:                             ;   in Loop: Header=BB6_2379 Depth=2
	s_or_b64 exec, exec, s[20:21]
	buffer_load_dword v2, off, s[0:3], s33 offset:152 ; 4-byte Folded Reload
	v_mov_b32_e32 v3, 0
	s_waitcnt vmcnt(0)
	v_and_b32_e32 v14, 0xff, v2
	v_cmp_ne_u16_e32 vcc, 0, v14
	v_mov_b32_e32 v2, 0
	s_and_saveexec_b64 s[20:21], vcc
	s_cbranch_execz .LBB6_3089
; %bb.3084:                             ;   in Loop: Header=BB6_2379 Depth=2
	v_cmp_ne_u16_e32 vcc, s52, v14
	v_bfrev_b32_e32 v3, 1
	s_and_saveexec_b64 s[88:89], vcc
	s_cbranch_execz .LBB6_3088
; %bb.3085:                             ;   in Loop: Header=BB6_2379 Depth=2
	buffer_load_dword v21, off, s[0:3], s33 offset:152 ; 4-byte Folded Reload
	v_mov_b32_e32 v3, 0x7f800001
	s_waitcnt vmcnt(0)
	v_and_b32_e32 v15, 0x7f, v21
	v_cmp_ne_u32_e32 vcc, s53, v15
	s_and_saveexec_b64 s[90:91], vcc
	s_cbranch_execz .LBB6_3087
; %bb.3086:                             ;   in Loop: Header=BB6_2379 Depth=2
	v_and_b32_e32 v3, 7, v14
	v_lshrrev_b32_e32 v16, 3, v15
	v_cmp_gt_u32_e32 vcc, 8, v15
	v_ffbh_u32_e32 v15, v3
	v_min_u32_e32 v20, 32, v15
	v_subrev_u32_e32 v15, 28, v20
	v_lshlrev_b64 v[14:15], v15, v[14:15]
	v_sub_u32_e32 v15, 29, v20
	v_and_b32_e32 v14, 7, v14
	v_cndmask_b32_e32 v15, v16, v15, vcc
	v_cndmask_b32_e32 v3, v3, v14, vcc
	v_lshlrev_b32_e32 v14, 24, v21
	v_lshlrev_b32_e32 v3, 20, v3
	v_and_b32_e32 v14, 0x80000000, v14
	v_lshl_add_u32 v15, v15, 23, v62
	v_or3_b32 v3, v14, v15, v3
.LBB6_3087:                             ;   in Loop: Header=BB6_2379 Depth=2
	s_or_b64 exec, exec, s[90:91]
.LBB6_3088:                             ;   in Loop: Header=BB6_2379 Depth=2
	s_or_b64 exec, exec, s[88:89]
.LBB6_3089:                             ;   in Loop: Header=BB6_2379 Depth=2
	s_or_b64 exec, exec, s[20:21]
	v_and_b32_e32 v14, 0xff, v42
	v_cmp_ne_u16_e32 vcc, 0, v14
	s_and_saveexec_b64 s[20:21], vcc
	s_cbranch_execz .LBB6_3095
; %bb.3090:                             ;   in Loop: Header=BB6_2379 Depth=2
	v_cmp_ne_u16_e32 vcc, s52, v14
	v_bfrev_b32_e32 v2, 1
	s_and_saveexec_b64 s[88:89], vcc
	s_cbranch_execz .LBB6_3094
; %bb.3091:                             ;   in Loop: Header=BB6_2379 Depth=2
	v_and_b32_e32 v15, 0x7f, v42
	v_cmp_ne_u32_e32 vcc, s53, v15
	v_mov_b32_e32 v2, 0x7f800001
	s_and_saveexec_b64 s[90:91], vcc
	s_cbranch_execz .LBB6_3093
; %bb.3092:                             ;   in Loop: Header=BB6_2379 Depth=2
	v_and_b32_e32 v2, 7, v14
	v_lshrrev_b32_e32 v16, 3, v15
	v_cmp_gt_u32_e32 vcc, 8, v15
	v_ffbh_u32_e32 v15, v2
	v_min_u32_e32 v20, 32, v15
	v_subrev_u32_e32 v15, 28, v20
	v_lshlrev_b64 v[14:15], v15, v[14:15]
	v_sub_u32_e32 v15, 29, v20
	v_and_b32_e32 v14, 7, v14
	v_cndmask_b32_e32 v15, v16, v15, vcc
	v_cndmask_b32_e32 v2, v2, v14, vcc
	v_lshlrev_b32_e32 v14, 24, v42
	v_lshlrev_b32_e32 v2, 20, v2
	v_and_b32_e32 v14, 0x80000000, v14
	v_lshl_add_u32 v15, v15, 23, v62
	v_or3_b32 v2, v14, v15, v2
.LBB6_3093:                             ;   in Loop: Header=BB6_2379 Depth=2
	s_or_b64 exec, exec, s[90:91]
.LBB6_3094:                             ;   in Loop: Header=BB6_2379 Depth=2
	s_or_b64 exec, exec, s[88:89]
.LBB6_3095:                             ;   in Loop: Header=BB6_2379 Depth=2
	s_or_b64 exec, exec, s[20:21]
	v_add_f32_e32 v3, v3, v2
	v_and_b32_e32 v60, 0x7f800000, v3
	v_cmp_ne_u64_e32 vcc, s[56:57], v[60:61]
                                        ; implicit-def: $vgpr20
	s_and_saveexec_b64 s[20:21], vcc
	s_xor_b64 s[88:89], exec, s[20:21]
	s_cbranch_execz .LBB6_3113
; %bb.3096:                             ;   in Loop: Header=BB6_2379 Depth=2
	v_and_b32_e32 v60, 0x7fffffff, v3
	v_cmp_gt_u64_e32 vcc, s[58:59], v[60:61]
	v_and_b32_sdwa v2, v3, s52 dst_sel:DWORD dst_unused:UNUSED_PAD src0_sel:BYTE_3 src1_sel:DWORD
                                        ; implicit-def: $vgpr20
	s_and_saveexec_b64 s[20:21], vcc
	s_xor_b64 s[90:91], exec, s[20:21]
	s_cbranch_execz .LBB6_3110
; %bb.3097:                             ;   in Loop: Header=BB6_2379 Depth=2
	v_cmp_ne_u32_e32 vcc, 0, v3
	v_mov_b32_e32 v20, 0
	s_and_saveexec_b64 s[92:93], vcc
	s_cbranch_execz .LBB6_3109
; %bb.3098:                             ;   in Loop: Header=BB6_2379 Depth=2
	v_and_b32_e32 v14, 0x7fffff, v3
	v_bfe_u32 v3, v3, 23, 8
	v_cmp_gt_u32_e64 s[20:21], s54, v3
	v_sub_u32_e32 v15, 0x79, v3
	v_cmp_eq_u32_e32 vcc, 0, v3
	v_cndmask_b32_e64 v15, 0, v15, s[20:21]
	v_mov_b32_e32 v20, 0x78
	v_or_b32_e32 v16, 0x800000, v14
	v_cndmask_b32_e32 v20, v15, v20, vcc
	v_cndmask_b32_e32 v60, v16, v14, vcc
	v_add_u32_e32 v14, 20, v20
	v_lshlrev_b64 v[14:15], v14, -1
	v_add_u32_e32 v16, 19, v20
	v_lshlrev_b64 v[21:22], v16, 1
	v_bfi_b32 v15, v15, 0, 0
	v_bfi_b32 v14, v14, 0, v60
	v_cmp_eq_u64_e64 s[20:21], v[14:15], v[21:22]
	v_lshrrev_b64 v[14:15], v20, v[60:61]
	v_mov_b32_e32 v16, v15
	v_mov_b32_e32 v15, v14
	s_and_saveexec_b64 s[94:95], s[20:21]
; %bb.3099:                             ;   in Loop: Header=BB6_2379 Depth=2
	v_bfe_u32 v15, v14, 20, 1
	v_add_co_u32_e64 v15, s[20:21], v14, v15
	v_add_co_u32_e64 v15, s[20:21], -1, v15
; %bb.3100:                             ;   in Loop: Header=BB6_2379 Depth=2
	s_or_b64 exec, exec, s[94:95]
	v_add_u32_e32 v3, 0xffffff81, v3
	v_mov_b32_e32 v16, 0xffffff82
	v_cndmask_b32_e32 v3, v3, v16, vcc
	v_lshrrev_b32_e32 v16, 23, v14
	v_add3_u32 v20, v20, v3, v16
	v_add_u32_e32 v16, 6, v20
	v_and_b32_e32 v3, 0xfffff, v15
	v_add_u32_e32 v60, v3, v14
	v_cmp_ne_u32_e32 vcc, 0, v16
                                        ; implicit-def: $vgpr14_vgpr15
                                        ; implicit-def: $vgpr3
	s_and_saveexec_b64 s[20:21], vcc
	s_xor_b64 s[20:21], exec, s[20:21]
; %bb.3101:                             ;   in Loop: Header=BB6_2379 Depth=2
	v_cmp_lt_u64_e32 vcc, s[60:61], v[60:61]
	v_add_u32_e32 v3, 7, v20
	v_cndmask_b32_e64 v14, 0, 1, vcc
	v_lshrrev_b64 v[14:15], v14, v[60:61]
	v_cndmask_b32_e32 v3, v16, v3, vcc
; %bb.3102:                             ;   in Loop: Header=BB6_2379 Depth=2
	s_andn2_saveexec_b64 s[20:21], s[20:21]
; %bb.3103:                             ;   in Loop: Header=BB6_2379 Depth=2
	v_mov_b32_e32 v14, v60
	v_bfe_u32 v3, v60, 23, 1
	v_mov_b32_e32 v15, v61
; %bb.3104:                             ;   in Loop: Header=BB6_2379 Depth=2
	s_or_b64 exec, exec, s[20:21]
	v_lshrrev_b64 v[14:15], 20, v[14:15]
	v_cmp_gt_i32_e32 vcc, 16, v3
	v_cndmask_b32_e32 v15, 0, v15, vcc
	v_cndmask_b32_e32 v14, 7, v14, vcc
	v_cmp_ne_u64_e32 vcc, 0, v[14:15]
	v_cmp_ne_u32_e64 s[20:21], 0, v3
	s_or_b64 s[20:21], s[20:21], vcc
                                        ; implicit-def: $vgpr20
	s_and_saveexec_b64 s[94:95], s[20:21]
	s_xor_b64 s[20:21], exec, s[94:95]
; %bb.3105:                             ;   in Loop: Header=BB6_2379 Depth=2
	v_min_i32_e32 v3, 15, v3
	v_lshl_or_b32 v2, v3, 3, v2
	v_and_or_b32 v20, v14, 7, v2
                                        ; implicit-def: $vgpr2
; %bb.3106:                             ;   in Loop: Header=BB6_2379 Depth=2
	s_andn2_saveexec_b64 s[20:21], s[20:21]
; %bb.3107:                             ;   in Loop: Header=BB6_2379 Depth=2
	v_mov_b32_e32 v20, v2
; %bb.3108:                             ;   in Loop: Header=BB6_2379 Depth=2
	s_or_b64 exec, exec, s[20:21]
.LBB6_3109:                             ;   in Loop: Header=BB6_2379 Depth=2
	s_or_b64 exec, exec, s[92:93]
                                        ; implicit-def: $vgpr2
.LBB6_3110:                             ;   in Loop: Header=BB6_2379 Depth=2
	s_andn2_saveexec_b64 s[20:21], s[90:91]
; %bb.3111:                             ;   in Loop: Header=BB6_2379 Depth=2
	v_or_b32_e32 v20, 0x7e, v2
; %bb.3112:                             ;   in Loop: Header=BB6_2379 Depth=2
	s_or_b64 exec, exec, s[20:21]
                                        ; implicit-def: $vgpr3
.LBB6_3113:                             ;   in Loop: Header=BB6_2379 Depth=2
	s_andn2_saveexec_b64 s[20:21], s[88:89]
; %bb.3114:                             ;   in Loop: Header=BB6_2379 Depth=2
	v_or_b32_sdwa v20, v3, s53 dst_sel:DWORD dst_unused:UNUSED_PAD src0_sel:BYTE_3 src1_sel:DWORD
; %bb.3115:                             ;   in Loop: Header=BB6_2379 Depth=2
	s_or_b64 exec, exec, s[20:21]
	buffer_load_dword v2, off, s[0:3], s33 offset:148 ; 4-byte Folded Reload
	v_mov_b32_e32 v3, 0
	s_waitcnt vmcnt(0)
	v_and_b32_e32 v14, 0xff, v2
	v_cmp_ne_u16_e32 vcc, 0, v14
	v_mov_b32_e32 v2, 0
	s_and_saveexec_b64 s[20:21], vcc
	s_cbranch_execz .LBB6_3121
; %bb.3116:                             ;   in Loop: Header=BB6_2379 Depth=2
	v_cmp_ne_u16_e32 vcc, s52, v14
	v_bfrev_b32_e32 v3, 1
	s_and_saveexec_b64 s[88:89], vcc
	s_cbranch_execz .LBB6_3120
; %bb.3117:                             ;   in Loop: Header=BB6_2379 Depth=2
	buffer_load_dword v22, off, s[0:3], s33 offset:148 ; 4-byte Folded Reload
	v_mov_b32_e32 v3, 0x7f800001
	s_waitcnt vmcnt(0)
	v_and_b32_e32 v15, 0x7f, v22
	v_cmp_ne_u32_e32 vcc, s53, v15
	s_and_saveexec_b64 s[90:91], vcc
	s_cbranch_execz .LBB6_3119
; %bb.3118:                             ;   in Loop: Header=BB6_2379 Depth=2
	v_and_b32_e32 v3, 7, v14
	v_lshrrev_b32_e32 v16, 3, v15
	v_cmp_gt_u32_e32 vcc, 8, v15
	v_ffbh_u32_e32 v15, v3
	v_min_u32_e32 v21, 32, v15
	v_subrev_u32_e32 v15, 28, v21
	v_lshlrev_b64 v[14:15], v15, v[14:15]
	v_sub_u32_e32 v15, 29, v21
	v_and_b32_e32 v14, 7, v14
	v_cndmask_b32_e32 v15, v16, v15, vcc
	v_cndmask_b32_e32 v3, v3, v14, vcc
	v_lshlrev_b32_e32 v14, 24, v22
	v_lshlrev_b32_e32 v3, 20, v3
	v_and_b32_e32 v14, 0x80000000, v14
	v_lshl_add_u32 v15, v15, 23, v62
	v_or3_b32 v3, v14, v15, v3
.LBB6_3119:                             ;   in Loop: Header=BB6_2379 Depth=2
	s_or_b64 exec, exec, s[90:91]
.LBB6_3120:                             ;   in Loop: Header=BB6_2379 Depth=2
	s_or_b64 exec, exec, s[88:89]
.LBB6_3121:                             ;   in Loop: Header=BB6_2379 Depth=2
	s_or_b64 exec, exec, s[20:21]
	buffer_load_dword v14, off, s[0:3], s33 offset:144 ; 4-byte Folded Reload
	s_waitcnt vmcnt(0)
	v_and_b32_e32 v14, 0xff, v14
	v_cmp_ne_u16_e32 vcc, 0, v14
	s_and_saveexec_b64 s[20:21], vcc
	s_cbranch_execz .LBB6_3127
; %bb.3122:                             ;   in Loop: Header=BB6_2379 Depth=2
	v_cmp_ne_u16_e32 vcc, s52, v14
	v_bfrev_b32_e32 v2, 1
	s_and_saveexec_b64 s[88:89], vcc
	s_cbranch_execz .LBB6_3126
; %bb.3123:                             ;   in Loop: Header=BB6_2379 Depth=2
	buffer_load_dword v22, off, s[0:3], s33 offset:144 ; 4-byte Folded Reload
	v_mov_b32_e32 v2, 0x7f800001
	s_waitcnt vmcnt(0)
	v_and_b32_e32 v15, 0x7f, v22
	v_cmp_ne_u32_e32 vcc, s53, v15
	s_and_saveexec_b64 s[90:91], vcc
	s_cbranch_execz .LBB6_3125
; %bb.3124:                             ;   in Loop: Header=BB6_2379 Depth=2
	v_and_b32_e32 v2, 7, v14
	v_lshrrev_b32_e32 v16, 3, v15
	v_cmp_gt_u32_e32 vcc, 8, v15
	v_ffbh_u32_e32 v15, v2
	v_min_u32_e32 v21, 32, v15
	v_subrev_u32_e32 v15, 28, v21
	v_lshlrev_b64 v[14:15], v15, v[14:15]
	v_sub_u32_e32 v15, 29, v21
	v_and_b32_e32 v14, 7, v14
	v_cndmask_b32_e32 v15, v16, v15, vcc
	v_cndmask_b32_e32 v2, v2, v14, vcc
	v_lshlrev_b32_e32 v14, 24, v22
	v_lshlrev_b32_e32 v2, 20, v2
	v_and_b32_e32 v14, 0x80000000, v14
	v_lshl_add_u32 v15, v15, 23, v62
	v_or3_b32 v2, v14, v15, v2
.LBB6_3125:                             ;   in Loop: Header=BB6_2379 Depth=2
	s_or_b64 exec, exec, s[90:91]
.LBB6_3126:                             ;   in Loop: Header=BB6_2379 Depth=2
	s_or_b64 exec, exec, s[88:89]
.LBB6_3127:                             ;   in Loop: Header=BB6_2379 Depth=2
	s_or_b64 exec, exec, s[20:21]
	v_add_f32_e32 v3, v3, v2
	v_and_b32_e32 v60, 0x7f800000, v3
	v_cmp_ne_u64_e32 vcc, s[56:57], v[60:61]
                                        ; implicit-def: $vgpr21
	s_and_saveexec_b64 s[20:21], vcc
	s_xor_b64 s[88:89], exec, s[20:21]
	s_cbranch_execz .LBB6_3145
; %bb.3128:                             ;   in Loop: Header=BB6_2379 Depth=2
	v_and_b32_e32 v60, 0x7fffffff, v3
	v_cmp_gt_u64_e32 vcc, s[58:59], v[60:61]
	v_and_b32_sdwa v2, v3, s52 dst_sel:DWORD dst_unused:UNUSED_PAD src0_sel:BYTE_3 src1_sel:DWORD
                                        ; implicit-def: $vgpr21
	s_and_saveexec_b64 s[20:21], vcc
	s_xor_b64 s[90:91], exec, s[20:21]
	s_cbranch_execz .LBB6_3142
; %bb.3129:                             ;   in Loop: Header=BB6_2379 Depth=2
	v_cmp_ne_u32_e32 vcc, 0, v3
	v_mov_b32_e32 v21, 0
	s_and_saveexec_b64 s[92:93], vcc
	s_cbranch_execz .LBB6_3141
; %bb.3130:                             ;   in Loop: Header=BB6_2379 Depth=2
	v_and_b32_e32 v14, 0x7fffff, v3
	v_bfe_u32 v3, v3, 23, 8
	v_cmp_gt_u32_e64 s[20:21], s54, v3
	v_sub_u32_e32 v15, 0x79, v3
	v_cmp_eq_u32_e32 vcc, 0, v3
	v_cndmask_b32_e64 v15, 0, v15, s[20:21]
	v_mov_b32_e32 v21, 0x78
	v_or_b32_e32 v16, 0x800000, v14
	v_cndmask_b32_e32 v21, v15, v21, vcc
	v_cndmask_b32_e32 v60, v16, v14, vcc
	v_add_u32_e32 v14, 20, v21
	v_lshlrev_b64 v[14:15], v14, -1
	v_add_u32_e32 v16, 19, v21
	v_lshlrev_b64 v[22:23], v16, 1
	v_bfi_b32 v15, v15, 0, 0
	v_bfi_b32 v14, v14, 0, v60
	v_cmp_eq_u64_e64 s[20:21], v[14:15], v[22:23]
	v_lshrrev_b64 v[14:15], v21, v[60:61]
	v_mov_b32_e32 v16, v15
	v_mov_b32_e32 v15, v14
	s_and_saveexec_b64 s[94:95], s[20:21]
; %bb.3131:                             ;   in Loop: Header=BB6_2379 Depth=2
	v_bfe_u32 v15, v14, 20, 1
	v_add_co_u32_e64 v15, s[20:21], v14, v15
	v_add_co_u32_e64 v15, s[20:21], -1, v15
; %bb.3132:                             ;   in Loop: Header=BB6_2379 Depth=2
	s_or_b64 exec, exec, s[94:95]
	v_add_u32_e32 v3, 0xffffff81, v3
	v_mov_b32_e32 v16, 0xffffff82
	v_cndmask_b32_e32 v3, v3, v16, vcc
	v_lshrrev_b32_e32 v16, 23, v14
	v_add3_u32 v21, v21, v3, v16
	v_add_u32_e32 v16, 6, v21
	v_and_b32_e32 v3, 0xfffff, v15
	v_add_u32_e32 v60, v3, v14
	v_cmp_ne_u32_e32 vcc, 0, v16
                                        ; implicit-def: $vgpr14_vgpr15
                                        ; implicit-def: $vgpr3
	s_and_saveexec_b64 s[20:21], vcc
	s_xor_b64 s[20:21], exec, s[20:21]
; %bb.3133:                             ;   in Loop: Header=BB6_2379 Depth=2
	v_cmp_lt_u64_e32 vcc, s[60:61], v[60:61]
	v_add_u32_e32 v3, 7, v21
	v_cndmask_b32_e64 v14, 0, 1, vcc
	v_lshrrev_b64 v[14:15], v14, v[60:61]
	v_cndmask_b32_e32 v3, v16, v3, vcc
; %bb.3134:                             ;   in Loop: Header=BB6_2379 Depth=2
	s_andn2_saveexec_b64 s[20:21], s[20:21]
; %bb.3135:                             ;   in Loop: Header=BB6_2379 Depth=2
	v_mov_b32_e32 v14, v60
	v_bfe_u32 v3, v60, 23, 1
	v_mov_b32_e32 v15, v61
; %bb.3136:                             ;   in Loop: Header=BB6_2379 Depth=2
	s_or_b64 exec, exec, s[20:21]
	v_lshrrev_b64 v[14:15], 20, v[14:15]
	v_cmp_gt_i32_e32 vcc, 16, v3
	v_cndmask_b32_e32 v15, 0, v15, vcc
	v_cndmask_b32_e32 v14, 7, v14, vcc
	v_cmp_ne_u64_e32 vcc, 0, v[14:15]
	v_cmp_ne_u32_e64 s[20:21], 0, v3
	s_or_b64 s[20:21], s[20:21], vcc
                                        ; implicit-def: $vgpr21
	s_and_saveexec_b64 s[94:95], s[20:21]
	s_xor_b64 s[20:21], exec, s[94:95]
; %bb.3137:                             ;   in Loop: Header=BB6_2379 Depth=2
	v_min_i32_e32 v3, 15, v3
	v_lshl_or_b32 v2, v3, 3, v2
	v_and_or_b32 v21, v14, 7, v2
                                        ; implicit-def: $vgpr2
; %bb.3138:                             ;   in Loop: Header=BB6_2379 Depth=2
	s_andn2_saveexec_b64 s[20:21], s[20:21]
; %bb.3139:                             ;   in Loop: Header=BB6_2379 Depth=2
	v_mov_b32_e32 v21, v2
; %bb.3140:                             ;   in Loop: Header=BB6_2379 Depth=2
	s_or_b64 exec, exec, s[20:21]
.LBB6_3141:                             ;   in Loop: Header=BB6_2379 Depth=2
	s_or_b64 exec, exec, s[92:93]
                                        ; implicit-def: $vgpr2
.LBB6_3142:                             ;   in Loop: Header=BB6_2379 Depth=2
	s_andn2_saveexec_b64 s[20:21], s[90:91]
; %bb.3143:                             ;   in Loop: Header=BB6_2379 Depth=2
	v_or_b32_e32 v21, 0x7e, v2
; %bb.3144:                             ;   in Loop: Header=BB6_2379 Depth=2
	s_or_b64 exec, exec, s[20:21]
                                        ; implicit-def: $vgpr3
.LBB6_3145:                             ;   in Loop: Header=BB6_2379 Depth=2
	s_andn2_saveexec_b64 s[20:21], s[88:89]
; %bb.3146:                             ;   in Loop: Header=BB6_2379 Depth=2
	v_or_b32_sdwa v21, v3, s53 dst_sel:DWORD dst_unused:UNUSED_PAD src0_sel:BYTE_3 src1_sel:DWORD
; %bb.3147:                             ;   in Loop: Header=BB6_2379 Depth=2
	s_or_b64 exec, exec, s[20:21]
	buffer_load_dword v2, off, s[0:3], s33 offset:140 ; 4-byte Folded Reload
	v_mov_b32_e32 v3, 0
	s_waitcnt vmcnt(0)
	v_and_b32_e32 v14, 0xff, v2
	v_cmp_ne_u16_e32 vcc, 0, v14
	v_mov_b32_e32 v2, 0
	s_and_saveexec_b64 s[20:21], vcc
	s_cbranch_execz .LBB6_3153
; %bb.3148:                             ;   in Loop: Header=BB6_2379 Depth=2
	v_cmp_ne_u16_e32 vcc, s52, v14
	v_bfrev_b32_e32 v3, 1
	s_and_saveexec_b64 s[88:89], vcc
	s_cbranch_execz .LBB6_3152
; %bb.3149:                             ;   in Loop: Header=BB6_2379 Depth=2
	buffer_load_dword v23, off, s[0:3], s33 offset:140 ; 4-byte Folded Reload
	v_mov_b32_e32 v3, 0x7f800001
	s_waitcnt vmcnt(0)
	v_and_b32_e32 v15, 0x7f, v23
	v_cmp_ne_u32_e32 vcc, s53, v15
	s_and_saveexec_b64 s[90:91], vcc
	s_cbranch_execz .LBB6_3151
; %bb.3150:                             ;   in Loop: Header=BB6_2379 Depth=2
	v_and_b32_e32 v3, 7, v14
	v_lshrrev_b32_e32 v16, 3, v15
	v_cmp_gt_u32_e32 vcc, 8, v15
	v_ffbh_u32_e32 v15, v3
	v_min_u32_e32 v22, 32, v15
	v_subrev_u32_e32 v15, 28, v22
	v_lshlrev_b64 v[14:15], v15, v[14:15]
	v_sub_u32_e32 v15, 29, v22
	v_and_b32_e32 v14, 7, v14
	v_cndmask_b32_e32 v15, v16, v15, vcc
	v_cndmask_b32_e32 v3, v3, v14, vcc
	v_lshlrev_b32_e32 v14, 24, v23
	v_lshlrev_b32_e32 v3, 20, v3
	v_and_b32_e32 v14, 0x80000000, v14
	v_lshl_add_u32 v15, v15, 23, v62
	v_or3_b32 v3, v14, v15, v3
.LBB6_3151:                             ;   in Loop: Header=BB6_2379 Depth=2
	s_or_b64 exec, exec, s[90:91]
.LBB6_3152:                             ;   in Loop: Header=BB6_2379 Depth=2
	s_or_b64 exec, exec, s[88:89]
.LBB6_3153:                             ;   in Loop: Header=BB6_2379 Depth=2
	s_or_b64 exec, exec, s[20:21]
	buffer_load_dword v14, off, s[0:3], s33 offset:136 ; 4-byte Folded Reload
	s_waitcnt vmcnt(0)
	v_and_b32_e32 v14, 0xff, v14
	v_cmp_ne_u16_e32 vcc, 0, v14
	s_and_saveexec_b64 s[20:21], vcc
	s_cbranch_execz .LBB6_3159
; %bb.3154:                             ;   in Loop: Header=BB6_2379 Depth=2
	v_cmp_ne_u16_e32 vcc, s52, v14
	v_bfrev_b32_e32 v2, 1
	s_and_saveexec_b64 s[88:89], vcc
	s_cbranch_execz .LBB6_3158
; %bb.3155:                             ;   in Loop: Header=BB6_2379 Depth=2
	buffer_load_dword v23, off, s[0:3], s33 offset:136 ; 4-byte Folded Reload
	v_mov_b32_e32 v2, 0x7f800001
	s_waitcnt vmcnt(0)
	v_and_b32_e32 v15, 0x7f, v23
	v_cmp_ne_u32_e32 vcc, s53, v15
	s_and_saveexec_b64 s[90:91], vcc
	s_cbranch_execz .LBB6_3157
; %bb.3156:                             ;   in Loop: Header=BB6_2379 Depth=2
	v_and_b32_e32 v2, 7, v14
	v_lshrrev_b32_e32 v16, 3, v15
	v_cmp_gt_u32_e32 vcc, 8, v15
	v_ffbh_u32_e32 v15, v2
	v_min_u32_e32 v22, 32, v15
	v_subrev_u32_e32 v15, 28, v22
	v_lshlrev_b64 v[14:15], v15, v[14:15]
	v_sub_u32_e32 v15, 29, v22
	v_and_b32_e32 v14, 7, v14
	v_cndmask_b32_e32 v15, v16, v15, vcc
	v_cndmask_b32_e32 v2, v2, v14, vcc
	v_lshlrev_b32_e32 v14, 24, v23
	v_lshlrev_b32_e32 v2, 20, v2
	v_and_b32_e32 v14, 0x80000000, v14
	v_lshl_add_u32 v15, v15, 23, v62
	v_or3_b32 v2, v14, v15, v2
.LBB6_3157:                             ;   in Loop: Header=BB6_2379 Depth=2
	s_or_b64 exec, exec, s[90:91]
.LBB6_3158:                             ;   in Loop: Header=BB6_2379 Depth=2
	s_or_b64 exec, exec, s[88:89]
.LBB6_3159:                             ;   in Loop: Header=BB6_2379 Depth=2
	s_or_b64 exec, exec, s[20:21]
	v_add_f32_e32 v3, v3, v2
	v_and_b32_e32 v60, 0x7f800000, v3
	v_cmp_ne_u64_e32 vcc, s[56:57], v[60:61]
                                        ; implicit-def: $vgpr22
	s_and_saveexec_b64 s[20:21], vcc
	s_xor_b64 s[88:89], exec, s[20:21]
	s_cbranch_execz .LBB6_3177
; %bb.3160:                             ;   in Loop: Header=BB6_2379 Depth=2
	v_and_b32_e32 v60, 0x7fffffff, v3
	v_cmp_gt_u64_e32 vcc, s[58:59], v[60:61]
	v_and_b32_sdwa v2, v3, s52 dst_sel:DWORD dst_unused:UNUSED_PAD src0_sel:BYTE_3 src1_sel:DWORD
                                        ; implicit-def: $vgpr22
	s_and_saveexec_b64 s[20:21], vcc
	s_xor_b64 s[90:91], exec, s[20:21]
	s_cbranch_execz .LBB6_3174
; %bb.3161:                             ;   in Loop: Header=BB6_2379 Depth=2
	v_cmp_ne_u32_e32 vcc, 0, v3
	v_mov_b32_e32 v22, 0
	s_and_saveexec_b64 s[92:93], vcc
	s_cbranch_execz .LBB6_3173
; %bb.3162:                             ;   in Loop: Header=BB6_2379 Depth=2
	v_and_b32_e32 v14, 0x7fffff, v3
	v_bfe_u32 v3, v3, 23, 8
	v_cmp_gt_u32_e64 s[20:21], s54, v3
	v_sub_u32_e32 v15, 0x79, v3
	v_cmp_eq_u32_e32 vcc, 0, v3
	v_cndmask_b32_e64 v15, 0, v15, s[20:21]
	v_mov_b32_e32 v22, 0x78
	v_or_b32_e32 v16, 0x800000, v14
	v_cndmask_b32_e32 v22, v15, v22, vcc
	v_cndmask_b32_e32 v60, v16, v14, vcc
	v_add_u32_e32 v14, 20, v22
	v_lshlrev_b64 v[14:15], v14, -1
	v_add_u32_e32 v16, 19, v22
	v_lshlrev_b64 v[23:24], v16, 1
	v_bfi_b32 v15, v15, 0, 0
	v_bfi_b32 v14, v14, 0, v60
	v_cmp_eq_u64_e64 s[20:21], v[14:15], v[23:24]
	v_lshrrev_b64 v[14:15], v22, v[60:61]
	v_mov_b32_e32 v16, v15
	v_mov_b32_e32 v15, v14
	s_and_saveexec_b64 s[94:95], s[20:21]
; %bb.3163:                             ;   in Loop: Header=BB6_2379 Depth=2
	v_bfe_u32 v15, v14, 20, 1
	v_add_co_u32_e64 v15, s[20:21], v14, v15
	v_add_co_u32_e64 v15, s[20:21], -1, v15
; %bb.3164:                             ;   in Loop: Header=BB6_2379 Depth=2
	s_or_b64 exec, exec, s[94:95]
	v_add_u32_e32 v3, 0xffffff81, v3
	v_mov_b32_e32 v16, 0xffffff82
	v_cndmask_b32_e32 v3, v3, v16, vcc
	v_lshrrev_b32_e32 v16, 23, v14
	v_add3_u32 v22, v22, v3, v16
	v_add_u32_e32 v16, 6, v22
	v_and_b32_e32 v3, 0xfffff, v15
	v_add_u32_e32 v60, v3, v14
	v_cmp_ne_u32_e32 vcc, 0, v16
                                        ; implicit-def: $vgpr14_vgpr15
                                        ; implicit-def: $vgpr3
	s_and_saveexec_b64 s[20:21], vcc
	s_xor_b64 s[20:21], exec, s[20:21]
; %bb.3165:                             ;   in Loop: Header=BB6_2379 Depth=2
	v_cmp_lt_u64_e32 vcc, s[60:61], v[60:61]
	v_add_u32_e32 v3, 7, v22
	v_cndmask_b32_e64 v14, 0, 1, vcc
	v_lshrrev_b64 v[14:15], v14, v[60:61]
	v_cndmask_b32_e32 v3, v16, v3, vcc
; %bb.3166:                             ;   in Loop: Header=BB6_2379 Depth=2
	s_andn2_saveexec_b64 s[20:21], s[20:21]
; %bb.3167:                             ;   in Loop: Header=BB6_2379 Depth=2
	v_mov_b32_e32 v14, v60
	v_bfe_u32 v3, v60, 23, 1
	v_mov_b32_e32 v15, v61
; %bb.3168:                             ;   in Loop: Header=BB6_2379 Depth=2
	s_or_b64 exec, exec, s[20:21]
	v_lshrrev_b64 v[14:15], 20, v[14:15]
	v_cmp_gt_i32_e32 vcc, 16, v3
	v_cndmask_b32_e32 v15, 0, v15, vcc
	v_cndmask_b32_e32 v14, 7, v14, vcc
	v_cmp_ne_u64_e32 vcc, 0, v[14:15]
	v_cmp_ne_u32_e64 s[20:21], 0, v3
	s_or_b64 s[20:21], s[20:21], vcc
                                        ; implicit-def: $vgpr22
	s_and_saveexec_b64 s[94:95], s[20:21]
	s_xor_b64 s[20:21], exec, s[94:95]
; %bb.3169:                             ;   in Loop: Header=BB6_2379 Depth=2
	v_min_i32_e32 v3, 15, v3
	v_lshl_or_b32 v2, v3, 3, v2
	v_and_or_b32 v22, v14, 7, v2
                                        ; implicit-def: $vgpr2
; %bb.3170:                             ;   in Loop: Header=BB6_2379 Depth=2
	s_andn2_saveexec_b64 s[20:21], s[20:21]
; %bb.3171:                             ;   in Loop: Header=BB6_2379 Depth=2
	v_mov_b32_e32 v22, v2
; %bb.3172:                             ;   in Loop: Header=BB6_2379 Depth=2
	s_or_b64 exec, exec, s[20:21]
.LBB6_3173:                             ;   in Loop: Header=BB6_2379 Depth=2
	s_or_b64 exec, exec, s[92:93]
                                        ; implicit-def: $vgpr2
.LBB6_3174:                             ;   in Loop: Header=BB6_2379 Depth=2
	s_andn2_saveexec_b64 s[20:21], s[90:91]
; %bb.3175:                             ;   in Loop: Header=BB6_2379 Depth=2
	v_or_b32_e32 v22, 0x7e, v2
; %bb.3176:                             ;   in Loop: Header=BB6_2379 Depth=2
	s_or_b64 exec, exec, s[20:21]
                                        ; implicit-def: $vgpr3
.LBB6_3177:                             ;   in Loop: Header=BB6_2379 Depth=2
	s_andn2_saveexec_b64 s[20:21], s[88:89]
; %bb.3178:                             ;   in Loop: Header=BB6_2379 Depth=2
	v_or_b32_sdwa v22, v3, s53 dst_sel:DWORD dst_unused:UNUSED_PAD src0_sel:BYTE_3 src1_sel:DWORD
; %bb.3179:                             ;   in Loop: Header=BB6_2379 Depth=2
	s_or_b64 exec, exec, s[20:21]
	buffer_load_dword v2, off, s[0:3], s33 offset:132 ; 4-byte Folded Reload
	v_mov_b32_e32 v3, 0
	s_waitcnt vmcnt(0)
	v_and_b32_e32 v14, 0xff, v2
	v_cmp_ne_u16_e32 vcc, 0, v14
	v_mov_b32_e32 v2, 0
	s_and_saveexec_b64 s[20:21], vcc
	s_cbranch_execz .LBB6_3185
; %bb.3180:                             ;   in Loop: Header=BB6_2379 Depth=2
	v_cmp_ne_u16_e32 vcc, s52, v14
	v_bfrev_b32_e32 v3, 1
	s_and_saveexec_b64 s[88:89], vcc
	s_cbranch_execz .LBB6_3184
; %bb.3181:                             ;   in Loop: Header=BB6_2379 Depth=2
	buffer_load_dword v24, off, s[0:3], s33 offset:132 ; 4-byte Folded Reload
	v_mov_b32_e32 v3, 0x7f800001
	s_waitcnt vmcnt(0)
	v_and_b32_e32 v15, 0x7f, v24
	v_cmp_ne_u32_e32 vcc, s53, v15
	s_and_saveexec_b64 s[90:91], vcc
	s_cbranch_execz .LBB6_3183
; %bb.3182:                             ;   in Loop: Header=BB6_2379 Depth=2
	v_and_b32_e32 v3, 7, v14
	v_lshrrev_b32_e32 v16, 3, v15
	v_cmp_gt_u32_e32 vcc, 8, v15
	v_ffbh_u32_e32 v15, v3
	v_min_u32_e32 v23, 32, v15
	v_subrev_u32_e32 v15, 28, v23
	v_lshlrev_b64 v[14:15], v15, v[14:15]
	v_sub_u32_e32 v15, 29, v23
	v_and_b32_e32 v14, 7, v14
	v_cndmask_b32_e32 v15, v16, v15, vcc
	v_cndmask_b32_e32 v3, v3, v14, vcc
	v_lshlrev_b32_e32 v14, 24, v24
	v_lshlrev_b32_e32 v3, 20, v3
	v_and_b32_e32 v14, 0x80000000, v14
	v_lshl_add_u32 v15, v15, 23, v62
	v_or3_b32 v3, v14, v15, v3
.LBB6_3183:                             ;   in Loop: Header=BB6_2379 Depth=2
	s_or_b64 exec, exec, s[90:91]
.LBB6_3184:                             ;   in Loop: Header=BB6_2379 Depth=2
	s_or_b64 exec, exec, s[88:89]
.LBB6_3185:                             ;   in Loop: Header=BB6_2379 Depth=2
	s_or_b64 exec, exec, s[20:21]
	buffer_load_dword v14, off, s[0:3], s33 offset:128 ; 4-byte Folded Reload
	s_waitcnt vmcnt(0)
	v_and_b32_e32 v14, 0xff, v14
	v_cmp_ne_u16_e32 vcc, 0, v14
	s_and_saveexec_b64 s[20:21], vcc
	s_cbranch_execz .LBB6_3191
; %bb.3186:                             ;   in Loop: Header=BB6_2379 Depth=2
	v_cmp_ne_u16_e32 vcc, s52, v14
	v_bfrev_b32_e32 v2, 1
	s_and_saveexec_b64 s[88:89], vcc
	s_cbranch_execz .LBB6_3190
; %bb.3187:                             ;   in Loop: Header=BB6_2379 Depth=2
	buffer_load_dword v24, off, s[0:3], s33 offset:128 ; 4-byte Folded Reload
	v_mov_b32_e32 v2, 0x7f800001
	s_waitcnt vmcnt(0)
	v_and_b32_e32 v15, 0x7f, v24
	v_cmp_ne_u32_e32 vcc, s53, v15
	s_and_saveexec_b64 s[90:91], vcc
	s_cbranch_execz .LBB6_3189
; %bb.3188:                             ;   in Loop: Header=BB6_2379 Depth=2
	v_and_b32_e32 v2, 7, v14
	v_lshrrev_b32_e32 v16, 3, v15
	v_cmp_gt_u32_e32 vcc, 8, v15
	v_ffbh_u32_e32 v15, v2
	v_min_u32_e32 v23, 32, v15
	v_subrev_u32_e32 v15, 28, v23
	v_lshlrev_b64 v[14:15], v15, v[14:15]
	v_sub_u32_e32 v15, 29, v23
	v_and_b32_e32 v14, 7, v14
	v_cndmask_b32_e32 v15, v16, v15, vcc
	v_cndmask_b32_e32 v2, v2, v14, vcc
	v_lshlrev_b32_e32 v14, 24, v24
	v_lshlrev_b32_e32 v2, 20, v2
	v_and_b32_e32 v14, 0x80000000, v14
	v_lshl_add_u32 v15, v15, 23, v62
	v_or3_b32 v2, v14, v15, v2
.LBB6_3189:                             ;   in Loop: Header=BB6_2379 Depth=2
	s_or_b64 exec, exec, s[90:91]
.LBB6_3190:                             ;   in Loop: Header=BB6_2379 Depth=2
	s_or_b64 exec, exec, s[88:89]
.LBB6_3191:                             ;   in Loop: Header=BB6_2379 Depth=2
	s_or_b64 exec, exec, s[20:21]
	v_add_f32_e32 v3, v3, v2
	v_and_b32_e32 v60, 0x7f800000, v3
	v_cmp_ne_u64_e32 vcc, s[56:57], v[60:61]
                                        ; implicit-def: $vgpr23
	s_and_saveexec_b64 s[20:21], vcc
	s_xor_b64 s[88:89], exec, s[20:21]
	s_cbranch_execz .LBB6_3209
; %bb.3192:                             ;   in Loop: Header=BB6_2379 Depth=2
	v_and_b32_e32 v60, 0x7fffffff, v3
	v_cmp_gt_u64_e32 vcc, s[58:59], v[60:61]
	v_and_b32_sdwa v2, v3, s52 dst_sel:DWORD dst_unused:UNUSED_PAD src0_sel:BYTE_3 src1_sel:DWORD
                                        ; implicit-def: $vgpr23
	s_and_saveexec_b64 s[20:21], vcc
	s_xor_b64 s[90:91], exec, s[20:21]
	s_cbranch_execz .LBB6_3206
; %bb.3193:                             ;   in Loop: Header=BB6_2379 Depth=2
	v_cmp_ne_u32_e32 vcc, 0, v3
	v_mov_b32_e32 v23, 0
	s_and_saveexec_b64 s[92:93], vcc
	s_cbranch_execz .LBB6_3205
; %bb.3194:                             ;   in Loop: Header=BB6_2379 Depth=2
	v_and_b32_e32 v14, 0x7fffff, v3
	v_bfe_u32 v3, v3, 23, 8
	v_cmp_gt_u32_e64 s[20:21], s54, v3
	v_sub_u32_e32 v15, 0x79, v3
	v_cmp_eq_u32_e32 vcc, 0, v3
	v_cndmask_b32_e64 v15, 0, v15, s[20:21]
	v_mov_b32_e32 v23, 0x78
	v_or_b32_e32 v16, 0x800000, v14
	v_cndmask_b32_e32 v23, v15, v23, vcc
	v_cndmask_b32_e32 v60, v16, v14, vcc
	v_add_u32_e32 v14, 20, v23
	v_lshlrev_b64 v[14:15], v14, -1
	v_add_u32_e32 v16, 19, v23
	v_lshlrev_b64 v[27:28], v16, 1
	v_bfi_b32 v15, v15, 0, 0
	v_bfi_b32 v14, v14, 0, v60
	v_cmp_eq_u64_e64 s[20:21], v[14:15], v[27:28]
	v_lshrrev_b64 v[14:15], v23, v[60:61]
	v_mov_b32_e32 v16, v15
	v_mov_b32_e32 v15, v14
	s_and_saveexec_b64 s[94:95], s[20:21]
; %bb.3195:                             ;   in Loop: Header=BB6_2379 Depth=2
	v_bfe_u32 v15, v14, 20, 1
	v_add_co_u32_e64 v15, s[20:21], v14, v15
	v_add_co_u32_e64 v15, s[20:21], -1, v15
; %bb.3196:                             ;   in Loop: Header=BB6_2379 Depth=2
	s_or_b64 exec, exec, s[94:95]
	v_add_u32_e32 v3, 0xffffff81, v3
	v_mov_b32_e32 v16, 0xffffff82
	v_cndmask_b32_e32 v3, v3, v16, vcc
	v_lshrrev_b32_e32 v16, 23, v14
	v_add3_u32 v23, v23, v3, v16
	v_add_u32_e32 v16, 6, v23
	v_and_b32_e32 v3, 0xfffff, v15
	v_add_u32_e32 v60, v3, v14
	v_cmp_ne_u32_e32 vcc, 0, v16
                                        ; implicit-def: $vgpr14_vgpr15
                                        ; implicit-def: $vgpr3
	s_and_saveexec_b64 s[20:21], vcc
	s_xor_b64 s[20:21], exec, s[20:21]
; %bb.3197:                             ;   in Loop: Header=BB6_2379 Depth=2
	v_cmp_lt_u64_e32 vcc, s[60:61], v[60:61]
	v_add_u32_e32 v3, 7, v23
	v_cndmask_b32_e64 v14, 0, 1, vcc
	v_lshrrev_b64 v[14:15], v14, v[60:61]
	v_cndmask_b32_e32 v3, v16, v3, vcc
; %bb.3198:                             ;   in Loop: Header=BB6_2379 Depth=2
	s_andn2_saveexec_b64 s[20:21], s[20:21]
; %bb.3199:                             ;   in Loop: Header=BB6_2379 Depth=2
	v_mov_b32_e32 v14, v60
	v_bfe_u32 v3, v60, 23, 1
	v_mov_b32_e32 v15, v61
; %bb.3200:                             ;   in Loop: Header=BB6_2379 Depth=2
	s_or_b64 exec, exec, s[20:21]
	v_lshrrev_b64 v[14:15], 20, v[14:15]
	v_cmp_gt_i32_e32 vcc, 16, v3
	v_cndmask_b32_e32 v15, 0, v15, vcc
	v_cndmask_b32_e32 v14, 7, v14, vcc
	v_cmp_ne_u64_e32 vcc, 0, v[14:15]
	v_cmp_ne_u32_e64 s[20:21], 0, v3
	s_or_b64 s[20:21], s[20:21], vcc
                                        ; implicit-def: $vgpr23
	s_and_saveexec_b64 s[94:95], s[20:21]
	s_xor_b64 s[20:21], exec, s[94:95]
; %bb.3201:                             ;   in Loop: Header=BB6_2379 Depth=2
	v_min_i32_e32 v3, 15, v3
	v_lshl_or_b32 v2, v3, 3, v2
	v_and_or_b32 v23, v14, 7, v2
                                        ; implicit-def: $vgpr2
; %bb.3202:                             ;   in Loop: Header=BB6_2379 Depth=2
	s_andn2_saveexec_b64 s[20:21], s[20:21]
; %bb.3203:                             ;   in Loop: Header=BB6_2379 Depth=2
	v_mov_b32_e32 v23, v2
; %bb.3204:                             ;   in Loop: Header=BB6_2379 Depth=2
	s_or_b64 exec, exec, s[20:21]
.LBB6_3205:                             ;   in Loop: Header=BB6_2379 Depth=2
	s_or_b64 exec, exec, s[92:93]
                                        ; implicit-def: $vgpr2
.LBB6_3206:                             ;   in Loop: Header=BB6_2379 Depth=2
	s_andn2_saveexec_b64 s[20:21], s[90:91]
; %bb.3207:                             ;   in Loop: Header=BB6_2379 Depth=2
	v_or_b32_e32 v23, 0x7e, v2
; %bb.3208:                             ;   in Loop: Header=BB6_2379 Depth=2
	s_or_b64 exec, exec, s[20:21]
                                        ; implicit-def: $vgpr3
.LBB6_3209:                             ;   in Loop: Header=BB6_2379 Depth=2
	s_andn2_saveexec_b64 s[20:21], s[88:89]
; %bb.3210:                             ;   in Loop: Header=BB6_2379 Depth=2
	v_or_b32_sdwa v23, v3, s53 dst_sel:DWORD dst_unused:UNUSED_PAD src0_sel:BYTE_3 src1_sel:DWORD
; %bb.3211:                             ;   in Loop: Header=BB6_2379 Depth=2
	s_or_b64 exec, exec, s[20:21]
	buffer_load_dword v2, off, s[0:3], s33 offset:124 ; 4-byte Folded Reload
	v_mov_b32_e32 v3, 0
	s_waitcnt vmcnt(0)
	v_and_b32_e32 v14, 0xff, v2
	v_cmp_ne_u16_e32 vcc, 0, v14
	v_mov_b32_e32 v2, 0
	s_and_saveexec_b64 s[20:21], vcc
	s_cbranch_execz .LBB6_3217
; %bb.3212:                             ;   in Loop: Header=BB6_2379 Depth=2
	v_cmp_ne_u16_e32 vcc, s52, v14
	v_bfrev_b32_e32 v3, 1
	s_and_saveexec_b64 s[88:89], vcc
	s_cbranch_execz .LBB6_3216
; %bb.3213:                             ;   in Loop: Header=BB6_2379 Depth=2
	buffer_load_dword v27, off, s[0:3], s33 offset:124 ; 4-byte Folded Reload
	v_mov_b32_e32 v3, 0x7f800001
	s_waitcnt vmcnt(0)
	v_and_b32_e32 v15, 0x7f, v27
	v_cmp_ne_u32_e32 vcc, s53, v15
	s_and_saveexec_b64 s[90:91], vcc
	s_cbranch_execz .LBB6_3215
; %bb.3214:                             ;   in Loop: Header=BB6_2379 Depth=2
	v_and_b32_e32 v3, 7, v14
	v_lshrrev_b32_e32 v16, 3, v15
	v_cmp_gt_u32_e32 vcc, 8, v15
	v_ffbh_u32_e32 v15, v3
	v_min_u32_e32 v24, 32, v15
	v_subrev_u32_e32 v15, 28, v24
	v_lshlrev_b64 v[14:15], v15, v[14:15]
	v_sub_u32_e32 v15, 29, v24
	v_and_b32_e32 v14, 7, v14
	v_cndmask_b32_e32 v15, v16, v15, vcc
	v_cndmask_b32_e32 v3, v3, v14, vcc
	v_lshlrev_b32_e32 v14, 24, v27
	v_lshlrev_b32_e32 v3, 20, v3
	v_and_b32_e32 v14, 0x80000000, v14
	v_lshl_add_u32 v15, v15, 23, v62
	v_or3_b32 v3, v14, v15, v3
.LBB6_3215:                             ;   in Loop: Header=BB6_2379 Depth=2
	s_or_b64 exec, exec, s[90:91]
.LBB6_3216:                             ;   in Loop: Header=BB6_2379 Depth=2
	s_or_b64 exec, exec, s[88:89]
.LBB6_3217:                             ;   in Loop: Header=BB6_2379 Depth=2
	s_or_b64 exec, exec, s[20:21]
	buffer_load_dword v14, off, s[0:3], s33 offset:120 ; 4-byte Folded Reload
	s_waitcnt vmcnt(0)
	v_and_b32_e32 v14, 0xff, v14
	v_cmp_ne_u16_e32 vcc, 0, v14
	s_and_saveexec_b64 s[20:21], vcc
	s_cbranch_execz .LBB6_3223
; %bb.3218:                             ;   in Loop: Header=BB6_2379 Depth=2
	v_cmp_ne_u16_e32 vcc, s52, v14
	v_bfrev_b32_e32 v2, 1
	s_and_saveexec_b64 s[88:89], vcc
	s_cbranch_execz .LBB6_3222
; %bb.3219:                             ;   in Loop: Header=BB6_2379 Depth=2
	buffer_load_dword v27, off, s[0:3], s33 offset:120 ; 4-byte Folded Reload
	v_mov_b32_e32 v2, 0x7f800001
	s_waitcnt vmcnt(0)
	v_and_b32_e32 v15, 0x7f, v27
	v_cmp_ne_u32_e32 vcc, s53, v15
	s_and_saveexec_b64 s[90:91], vcc
	s_cbranch_execz .LBB6_3221
; %bb.3220:                             ;   in Loop: Header=BB6_2379 Depth=2
	v_and_b32_e32 v2, 7, v14
	v_lshrrev_b32_e32 v16, 3, v15
	v_cmp_gt_u32_e32 vcc, 8, v15
	v_ffbh_u32_e32 v15, v2
	v_min_u32_e32 v24, 32, v15
	v_subrev_u32_e32 v15, 28, v24
	v_lshlrev_b64 v[14:15], v15, v[14:15]
	v_sub_u32_e32 v15, 29, v24
	v_and_b32_e32 v14, 7, v14
	v_cndmask_b32_e32 v15, v16, v15, vcc
	v_cndmask_b32_e32 v2, v2, v14, vcc
	v_lshlrev_b32_e32 v14, 24, v27
	v_lshlrev_b32_e32 v2, 20, v2
	v_and_b32_e32 v14, 0x80000000, v14
	v_lshl_add_u32 v15, v15, 23, v62
	v_or3_b32 v2, v14, v15, v2
.LBB6_3221:                             ;   in Loop: Header=BB6_2379 Depth=2
	s_or_b64 exec, exec, s[90:91]
.LBB6_3222:                             ;   in Loop: Header=BB6_2379 Depth=2
	s_or_b64 exec, exec, s[88:89]
.LBB6_3223:                             ;   in Loop: Header=BB6_2379 Depth=2
	s_or_b64 exec, exec, s[20:21]
	v_add_f32_e32 v3, v3, v2
	v_and_b32_e32 v60, 0x7f800000, v3
	v_cmp_ne_u64_e32 vcc, s[56:57], v[60:61]
                                        ; implicit-def: $vgpr24
	s_and_saveexec_b64 s[20:21], vcc
	s_xor_b64 s[88:89], exec, s[20:21]
	s_cbranch_execz .LBB6_3241
; %bb.3224:                             ;   in Loop: Header=BB6_2379 Depth=2
	v_and_b32_e32 v60, 0x7fffffff, v3
	v_cmp_gt_u64_e32 vcc, s[58:59], v[60:61]
	v_and_b32_sdwa v2, v3, s52 dst_sel:DWORD dst_unused:UNUSED_PAD src0_sel:BYTE_3 src1_sel:DWORD
                                        ; implicit-def: $vgpr24
	s_and_saveexec_b64 s[20:21], vcc
	s_xor_b64 s[90:91], exec, s[20:21]
	s_cbranch_execz .LBB6_3238
; %bb.3225:                             ;   in Loop: Header=BB6_2379 Depth=2
	v_cmp_ne_u32_e32 vcc, 0, v3
	v_mov_b32_e32 v24, 0
	s_and_saveexec_b64 s[92:93], vcc
	s_cbranch_execz .LBB6_3237
; %bb.3226:                             ;   in Loop: Header=BB6_2379 Depth=2
	v_and_b32_e32 v14, 0x7fffff, v3
	v_bfe_u32 v3, v3, 23, 8
	v_cmp_gt_u32_e64 s[20:21], s54, v3
	v_sub_u32_e32 v15, 0x79, v3
	v_cmp_eq_u32_e32 vcc, 0, v3
	v_cndmask_b32_e64 v15, 0, v15, s[20:21]
	v_mov_b32_e32 v24, 0x78
	v_or_b32_e32 v16, 0x800000, v14
	v_cndmask_b32_e32 v24, v15, v24, vcc
	v_cndmask_b32_e32 v60, v16, v14, vcc
	v_add_u32_e32 v14, 20, v24
	v_lshlrev_b64 v[14:15], v14, -1
	v_add_u32_e32 v16, 19, v24
	v_lshlrev_b64 v[27:28], v16, 1
	v_bfi_b32 v15, v15, 0, 0
	v_bfi_b32 v14, v14, 0, v60
	v_cmp_eq_u64_e64 s[20:21], v[14:15], v[27:28]
	v_lshrrev_b64 v[14:15], v24, v[60:61]
	v_mov_b32_e32 v16, v15
	v_mov_b32_e32 v15, v14
	s_and_saveexec_b64 s[94:95], s[20:21]
; %bb.3227:                             ;   in Loop: Header=BB6_2379 Depth=2
	v_bfe_u32 v15, v14, 20, 1
	v_add_co_u32_e64 v15, s[20:21], v14, v15
	v_add_co_u32_e64 v15, s[20:21], -1, v15
; %bb.3228:                             ;   in Loop: Header=BB6_2379 Depth=2
	s_or_b64 exec, exec, s[94:95]
	v_add_u32_e32 v3, 0xffffff81, v3
	v_mov_b32_e32 v16, 0xffffff82
	v_cndmask_b32_e32 v3, v3, v16, vcc
	v_lshrrev_b32_e32 v16, 23, v14
	v_add3_u32 v24, v24, v3, v16
	v_add_u32_e32 v16, 6, v24
	v_and_b32_e32 v3, 0xfffff, v15
	v_add_u32_e32 v60, v3, v14
	v_cmp_ne_u32_e32 vcc, 0, v16
                                        ; implicit-def: $vgpr14_vgpr15
                                        ; implicit-def: $vgpr3
	s_and_saveexec_b64 s[20:21], vcc
	s_xor_b64 s[20:21], exec, s[20:21]
; %bb.3229:                             ;   in Loop: Header=BB6_2379 Depth=2
	v_cmp_lt_u64_e32 vcc, s[60:61], v[60:61]
	v_add_u32_e32 v3, 7, v24
	v_cndmask_b32_e64 v14, 0, 1, vcc
	v_lshrrev_b64 v[14:15], v14, v[60:61]
	v_cndmask_b32_e32 v3, v16, v3, vcc
; %bb.3230:                             ;   in Loop: Header=BB6_2379 Depth=2
	s_andn2_saveexec_b64 s[20:21], s[20:21]
; %bb.3231:                             ;   in Loop: Header=BB6_2379 Depth=2
	v_mov_b32_e32 v14, v60
	v_bfe_u32 v3, v60, 23, 1
	v_mov_b32_e32 v15, v61
; %bb.3232:                             ;   in Loop: Header=BB6_2379 Depth=2
	s_or_b64 exec, exec, s[20:21]
	v_lshrrev_b64 v[14:15], 20, v[14:15]
	v_cmp_gt_i32_e32 vcc, 16, v3
	v_cndmask_b32_e32 v15, 0, v15, vcc
	v_cndmask_b32_e32 v14, 7, v14, vcc
	v_cmp_ne_u64_e32 vcc, 0, v[14:15]
	v_cmp_ne_u32_e64 s[20:21], 0, v3
	s_or_b64 s[20:21], s[20:21], vcc
                                        ; implicit-def: $vgpr24
	s_and_saveexec_b64 s[94:95], s[20:21]
	s_xor_b64 s[20:21], exec, s[94:95]
; %bb.3233:                             ;   in Loop: Header=BB6_2379 Depth=2
	v_min_i32_e32 v3, 15, v3
	v_lshl_or_b32 v2, v3, 3, v2
	v_and_or_b32 v24, v14, 7, v2
                                        ; implicit-def: $vgpr2
; %bb.3234:                             ;   in Loop: Header=BB6_2379 Depth=2
	s_andn2_saveexec_b64 s[20:21], s[20:21]
; %bb.3235:                             ;   in Loop: Header=BB6_2379 Depth=2
	v_mov_b32_e32 v24, v2
; %bb.3236:                             ;   in Loop: Header=BB6_2379 Depth=2
	s_or_b64 exec, exec, s[20:21]
.LBB6_3237:                             ;   in Loop: Header=BB6_2379 Depth=2
	s_or_b64 exec, exec, s[92:93]
                                        ; implicit-def: $vgpr2
.LBB6_3238:                             ;   in Loop: Header=BB6_2379 Depth=2
	s_andn2_saveexec_b64 s[20:21], s[90:91]
; %bb.3239:                             ;   in Loop: Header=BB6_2379 Depth=2
	v_or_b32_e32 v24, 0x7e, v2
; %bb.3240:                             ;   in Loop: Header=BB6_2379 Depth=2
	s_or_b64 exec, exec, s[20:21]
                                        ; implicit-def: $vgpr3
.LBB6_3241:                             ;   in Loop: Header=BB6_2379 Depth=2
	s_andn2_saveexec_b64 s[20:21], s[88:89]
; %bb.3242:                             ;   in Loop: Header=BB6_2379 Depth=2
	v_or_b32_sdwa v24, v3, s53 dst_sel:DWORD dst_unused:UNUSED_PAD src0_sel:BYTE_3 src1_sel:DWORD
; %bb.3243:                             ;   in Loop: Header=BB6_2379 Depth=2
	s_or_b64 exec, exec, s[20:21]
	buffer_load_dword v2, off, s[0:3], s33 offset:116 ; 4-byte Folded Reload
	v_mov_b32_e32 v3, 0
	s_waitcnt vmcnt(0)
	v_and_b32_e32 v14, 0xff, v2
	v_cmp_ne_u16_e32 vcc, 0, v14
	v_mov_b32_e32 v2, 0
	s_and_saveexec_b64 s[20:21], vcc
	s_cbranch_execz .LBB6_3249
; %bb.3244:                             ;   in Loop: Header=BB6_2379 Depth=2
	v_cmp_ne_u16_e32 vcc, s52, v14
	v_bfrev_b32_e32 v3, 1
	s_and_saveexec_b64 s[88:89], vcc
	s_cbranch_execz .LBB6_3248
; %bb.3245:                             ;   in Loop: Header=BB6_2379 Depth=2
	buffer_load_dword v28, off, s[0:3], s33 offset:116 ; 4-byte Folded Reload
	v_mov_b32_e32 v3, 0x7f800001
	s_waitcnt vmcnt(0)
	v_and_b32_e32 v15, 0x7f, v28
	v_cmp_ne_u32_e32 vcc, s53, v15
	s_and_saveexec_b64 s[90:91], vcc
	s_cbranch_execz .LBB6_3247
; %bb.3246:                             ;   in Loop: Header=BB6_2379 Depth=2
	v_and_b32_e32 v3, 7, v14
	v_lshrrev_b32_e32 v16, 3, v15
	v_cmp_gt_u32_e32 vcc, 8, v15
	v_ffbh_u32_e32 v15, v3
	v_min_u32_e32 v27, 32, v15
	v_subrev_u32_e32 v15, 28, v27
	v_lshlrev_b64 v[14:15], v15, v[14:15]
	v_sub_u32_e32 v15, 29, v27
	v_and_b32_e32 v14, 7, v14
	v_cndmask_b32_e32 v15, v16, v15, vcc
	v_cndmask_b32_e32 v3, v3, v14, vcc
	v_lshlrev_b32_e32 v14, 24, v28
	v_lshlrev_b32_e32 v3, 20, v3
	v_and_b32_e32 v14, 0x80000000, v14
	v_lshl_add_u32 v15, v15, 23, v62
	v_or3_b32 v3, v14, v15, v3
.LBB6_3247:                             ;   in Loop: Header=BB6_2379 Depth=2
	s_or_b64 exec, exec, s[90:91]
.LBB6_3248:                             ;   in Loop: Header=BB6_2379 Depth=2
	s_or_b64 exec, exec, s[88:89]
.LBB6_3249:                             ;   in Loop: Header=BB6_2379 Depth=2
	s_or_b64 exec, exec, s[20:21]
	buffer_load_dword v14, off, s[0:3], s33 offset:112 ; 4-byte Folded Reload
	s_waitcnt vmcnt(0)
	v_and_b32_e32 v14, 0xff, v14
	v_cmp_ne_u16_e32 vcc, 0, v14
	s_and_saveexec_b64 s[20:21], vcc
	s_cbranch_execz .LBB6_3255
; %bb.3250:                             ;   in Loop: Header=BB6_2379 Depth=2
	v_cmp_ne_u16_e32 vcc, s52, v14
	v_bfrev_b32_e32 v2, 1
	s_and_saveexec_b64 s[88:89], vcc
	s_cbranch_execz .LBB6_3254
; %bb.3251:                             ;   in Loop: Header=BB6_2379 Depth=2
	buffer_load_dword v28, off, s[0:3], s33 offset:112 ; 4-byte Folded Reload
	v_mov_b32_e32 v2, 0x7f800001
	s_waitcnt vmcnt(0)
	v_and_b32_e32 v15, 0x7f, v28
	v_cmp_ne_u32_e32 vcc, s53, v15
	s_and_saveexec_b64 s[90:91], vcc
	s_cbranch_execz .LBB6_3253
; %bb.3252:                             ;   in Loop: Header=BB6_2379 Depth=2
	v_and_b32_e32 v2, 7, v14
	v_lshrrev_b32_e32 v16, 3, v15
	v_cmp_gt_u32_e32 vcc, 8, v15
	v_ffbh_u32_e32 v15, v2
	v_min_u32_e32 v27, 32, v15
	v_subrev_u32_e32 v15, 28, v27
	v_lshlrev_b64 v[14:15], v15, v[14:15]
	v_sub_u32_e32 v15, 29, v27
	v_and_b32_e32 v14, 7, v14
	v_cndmask_b32_e32 v15, v16, v15, vcc
	v_cndmask_b32_e32 v2, v2, v14, vcc
	v_lshlrev_b32_e32 v14, 24, v28
	v_lshlrev_b32_e32 v2, 20, v2
	v_and_b32_e32 v14, 0x80000000, v14
	v_lshl_add_u32 v15, v15, 23, v62
	v_or3_b32 v2, v14, v15, v2
.LBB6_3253:                             ;   in Loop: Header=BB6_2379 Depth=2
	s_or_b64 exec, exec, s[90:91]
.LBB6_3254:                             ;   in Loop: Header=BB6_2379 Depth=2
	s_or_b64 exec, exec, s[88:89]
.LBB6_3255:                             ;   in Loop: Header=BB6_2379 Depth=2
	s_or_b64 exec, exec, s[20:21]
	v_add_f32_e32 v14, v3, v2
	v_and_b32_e32 v60, 0x7f800000, v14
	v_cmp_ne_u64_e32 vcc, s[56:57], v[60:61]
                                        ; implicit-def: $vgpr2
	s_and_saveexec_b64 s[20:21], vcc
	s_xor_b64 s[88:89], exec, s[20:21]
	s_cbranch_execz .LBB6_3273
; %bb.3256:                             ;   in Loop: Header=BB6_2379 Depth=2
	v_and_b32_e32 v60, 0x7fffffff, v14
	v_cmp_gt_u64_e32 vcc, s[58:59], v[60:61]
	v_and_b32_sdwa v3, v14, s52 dst_sel:DWORD dst_unused:UNUSED_PAD src0_sel:BYTE_3 src1_sel:DWORD
                                        ; implicit-def: $vgpr2
	s_and_saveexec_b64 s[20:21], vcc
	s_xor_b64 s[90:91], exec, s[20:21]
	s_cbranch_execz .LBB6_3270
; %bb.3257:                             ;   in Loop: Header=BB6_2379 Depth=2
	v_cmp_ne_u32_e32 vcc, 0, v14
	v_mov_b32_e32 v2, 0
	s_and_saveexec_b64 s[92:93], vcc
	s_cbranch_execz .LBB6_3269
; %bb.3258:                             ;   in Loop: Header=BB6_2379 Depth=2
	v_bfe_u32 v2, v14, 23, 8
	v_and_b32_e32 v15, 0x7fffff, v14
	v_cmp_gt_u32_e64 s[20:21], s54, v2
	v_sub_u32_e32 v14, 0x79, v2
	v_cmp_eq_u32_e32 vcc, 0, v2
	v_cndmask_b32_e64 v14, 0, v14, s[20:21]
	v_mov_b32_e32 v27, 0x78
	v_cndmask_b32_e32 v27, v14, v27, vcc
	v_or_b32_e32 v16, 0x800000, v15
	v_add_u32_e32 v14, 20, v27
	v_cndmask_b32_e32 v60, v16, v15, vcc
	v_lshlrev_b64 v[14:15], v14, -1
	v_add_u32_e32 v16, 19, v27
	v_lshlrev_b64 v[28:29], v16, 1
	v_bfi_b32 v15, v15, 0, 0
	v_bfi_b32 v14, v14, 0, v60
	v_cmp_eq_u64_e64 s[20:21], v[14:15], v[28:29]
	v_lshrrev_b64 v[14:15], v27, v[60:61]
	v_mov_b32_e32 v16, v15
	v_mov_b32_e32 v15, v14
	s_and_saveexec_b64 s[94:95], s[20:21]
; %bb.3259:                             ;   in Loop: Header=BB6_2379 Depth=2
	v_bfe_u32 v15, v14, 20, 1
	v_add_co_u32_e64 v15, s[20:21], v14, v15
	v_add_co_u32_e64 v15, s[20:21], -1, v15
; %bb.3260:                             ;   in Loop: Header=BB6_2379 Depth=2
	s_or_b64 exec, exec, s[94:95]
	v_add_u32_e32 v2, 0xffffff81, v2
	v_mov_b32_e32 v16, 0xffffff82
	v_cndmask_b32_e32 v2, v2, v16, vcc
	v_lshrrev_b32_e32 v16, 23, v14
	v_add3_u32 v27, v27, v2, v16
	v_add_u32_e32 v2, 6, v27
	v_and_b32_e32 v15, 0xfffff, v15
	v_add_u32_e32 v60, v15, v14
	v_cmp_ne_u32_e32 vcc, 0, v2
                                        ; implicit-def: $vgpr14_vgpr15
                                        ; implicit-def: $vgpr16
	s_and_saveexec_b64 s[20:21], vcc
	s_xor_b64 s[20:21], exec, s[20:21]
; %bb.3261:                             ;   in Loop: Header=BB6_2379 Depth=2
	v_cmp_lt_u64_e32 vcc, s[60:61], v[60:61]
	v_add_u32_e32 v14, 7, v27
	v_cndmask_b32_e32 v16, v2, v14, vcc
	v_cndmask_b32_e64 v2, 0, 1, vcc
	v_lshrrev_b64 v[14:15], v2, v[60:61]
; %bb.3262:                             ;   in Loop: Header=BB6_2379 Depth=2
	s_andn2_saveexec_b64 s[20:21], s[20:21]
; %bb.3263:                             ;   in Loop: Header=BB6_2379 Depth=2
	v_mov_b32_e32 v14, v60
	v_bfe_u32 v16, v60, 23, 1
	v_mov_b32_e32 v15, v61
; %bb.3264:                             ;   in Loop: Header=BB6_2379 Depth=2
	s_or_b64 exec, exec, s[20:21]
	v_lshrrev_b64 v[14:15], 20, v[14:15]
	v_cmp_gt_i32_e32 vcc, 16, v16
	v_cndmask_b32_e32 v15, 0, v15, vcc
	v_cndmask_b32_e32 v14, 7, v14, vcc
	v_cmp_ne_u64_e32 vcc, 0, v[14:15]
	v_cmp_ne_u32_e64 s[20:21], 0, v16
	s_or_b64 s[20:21], s[20:21], vcc
                                        ; implicit-def: $vgpr2
	s_and_saveexec_b64 s[94:95], s[20:21]
	s_xor_b64 s[20:21], exec, s[94:95]
; %bb.3265:                             ;   in Loop: Header=BB6_2379 Depth=2
	v_min_i32_e32 v2, 15, v16
	v_lshl_or_b32 v2, v2, 3, v3
	v_and_or_b32 v2, v14, 7, v2
                                        ; implicit-def: $vgpr3
; %bb.3266:                             ;   in Loop: Header=BB6_2379 Depth=2
	s_andn2_saveexec_b64 s[20:21], s[20:21]
; %bb.3267:                             ;   in Loop: Header=BB6_2379 Depth=2
	v_mov_b32_e32 v2, v3
; %bb.3268:                             ;   in Loop: Header=BB6_2379 Depth=2
	s_or_b64 exec, exec, s[20:21]
.LBB6_3269:                             ;   in Loop: Header=BB6_2379 Depth=2
	s_or_b64 exec, exec, s[92:93]
                                        ; implicit-def: $vgpr3
.LBB6_3270:                             ;   in Loop: Header=BB6_2379 Depth=2
	s_andn2_saveexec_b64 s[20:21], s[90:91]
; %bb.3271:                             ;   in Loop: Header=BB6_2379 Depth=2
	v_or_b32_e32 v2, 0x7e, v3
; %bb.3272:                             ;   in Loop: Header=BB6_2379 Depth=2
	s_or_b64 exec, exec, s[20:21]
                                        ; implicit-def: $vgpr14
.LBB6_3273:                             ;   in Loop: Header=BB6_2379 Depth=2
	s_andn2_saveexec_b64 s[20:21], s[88:89]
; %bb.3274:                             ;   in Loop: Header=BB6_2379 Depth=2
	v_or_b32_sdwa v2, v14, s53 dst_sel:DWORD dst_unused:UNUSED_PAD src0_sel:BYTE_3 src1_sel:DWORD
; %bb.3275:                             ;   in Loop: Header=BB6_2379 Depth=2
	s_or_b64 exec, exec, s[20:21]
	buffer_load_dword v3, off, s[0:3], s33 offset:108 ; 4-byte Folded Reload
	v_mov_b32_e32 v15, 0
	s_waitcnt vmcnt(0)
	v_and_b32_e32 v14, 0xff, v3
	v_cmp_ne_u16_e32 vcc, 0, v14
	v_mov_b32_e32 v3, 0
	s_and_saveexec_b64 s[20:21], vcc
	s_cbranch_execz .LBB6_3281
; %bb.3276:                             ;   in Loop: Header=BB6_2379 Depth=2
	v_cmp_ne_u16_e32 vcc, s52, v14
	v_bfrev_b32_e32 v15, 1
	s_and_saveexec_b64 s[88:89], vcc
	s_cbranch_execz .LBB6_3280
; %bb.3277:                             ;   in Loop: Header=BB6_2379 Depth=2
	buffer_load_dword v29, off, s[0:3], s33 offset:108 ; 4-byte Folded Reload
	v_mov_b32_e32 v15, 0x7f800001
	s_waitcnt vmcnt(0)
	v_and_b32_e32 v16, 0x7f, v29
	v_cmp_ne_u32_e32 vcc, s53, v16
	s_and_saveexec_b64 s[90:91], vcc
	s_cbranch_execz .LBB6_3279
; %bb.3278:                             ;   in Loop: Header=BB6_2379 Depth=2
	v_and_b32_e32 v27, 7, v14
	v_ffbh_u32_e32 v15, v27
	v_lshrrev_b32_e32 v28, 3, v16
	v_cmp_gt_u32_e32 vcc, 8, v16
	v_min_u32_e32 v16, 32, v15
	v_subrev_u32_e32 v15, 28, v16
	v_lshlrev_b64 v[14:15], v15, v[14:15]
	v_sub_u32_e32 v15, 29, v16
	v_and_b32_e32 v14, 7, v14
	v_cndmask_b32_e32 v15, v28, v15, vcc
	v_cndmask_b32_e32 v14, v27, v14, vcc
	v_lshlrev_b32_e32 v16, 24, v29
	v_lshlrev_b32_e32 v14, 20, v14
	v_and_b32_e32 v16, 0x80000000, v16
	v_lshl_add_u32 v15, v15, 23, v62
	v_or3_b32 v15, v16, v15, v14
.LBB6_3279:                             ;   in Loop: Header=BB6_2379 Depth=2
	s_or_b64 exec, exec, s[90:91]
.LBB6_3280:                             ;   in Loop: Header=BB6_2379 Depth=2
	s_or_b64 exec, exec, s[88:89]
.LBB6_3281:                             ;   in Loop: Header=BB6_2379 Depth=2
	s_or_b64 exec, exec, s[20:21]
	buffer_load_dword v14, off, s[0:3], s33 offset:104 ; 4-byte Folded Reload
	s_waitcnt vmcnt(0)
	v_and_b32_e32 v14, 0xff, v14
	v_cmp_ne_u16_e32 vcc, 0, v14
	s_and_saveexec_b64 s[20:21], vcc
	s_cbranch_execz .LBB6_3287
; %bb.3282:                             ;   in Loop: Header=BB6_2379 Depth=2
	v_cmp_ne_u16_e32 vcc, s52, v14
	v_bfrev_b32_e32 v3, 1
	s_and_saveexec_b64 s[88:89], vcc
	s_cbranch_execz .LBB6_3286
; %bb.3283:                             ;   in Loop: Header=BB6_2379 Depth=2
	buffer_load_dword v30, off, s[0:3], s33 offset:104 ; 4-byte Folded Reload
	v_mov_b32_e32 v3, 0x7f800001
	s_waitcnt vmcnt(0)
	v_and_b32_e32 v16, 0x7f, v30
	v_cmp_ne_u32_e32 vcc, s53, v16
	s_and_saveexec_b64 s[90:91], vcc
	s_cbranch_execz .LBB6_3285
; %bb.3284:                             ;   in Loop: Header=BB6_2379 Depth=2
	v_and_b32_e32 v3, 7, v14
	v_lshrrev_b32_e32 v29, 3, v16
	v_cmp_gt_u32_e32 vcc, 8, v16
	v_ffbh_u32_e32 v16, v3
	v_min_u32_e32 v16, 32, v16
	v_subrev_u32_e32 v27, 28, v16
	v_lshlrev_b64 v[27:28], v27, v[14:15]
	v_sub_u32_e32 v14, 29, v16
	v_and_b32_e32 v16, 7, v27
	v_cndmask_b32_e32 v14, v29, v14, vcc
	v_cndmask_b32_e32 v3, v3, v16, vcc
	v_lshlrev_b32_e32 v16, 24, v30
	v_lshlrev_b32_e32 v3, 20, v3
	v_and_b32_e32 v16, 0x80000000, v16
	v_lshl_add_u32 v14, v14, 23, v62
	v_or3_b32 v3, v16, v14, v3
.LBB6_3285:                             ;   in Loop: Header=BB6_2379 Depth=2
	s_or_b64 exec, exec, s[90:91]
.LBB6_3286:                             ;   in Loop: Header=BB6_2379 Depth=2
	s_or_b64 exec, exec, s[88:89]
.LBB6_3287:                             ;   in Loop: Header=BB6_2379 Depth=2
	s_or_b64 exec, exec, s[20:21]
	v_add_f32_e32 v14, v15, v3
	v_and_b32_e32 v60, 0x7f800000, v14
	v_cmp_ne_u64_e32 vcc, s[56:57], v[60:61]
                                        ; implicit-def: $vgpr3
	s_and_saveexec_b64 s[20:21], vcc
	s_xor_b64 s[88:89], exec, s[20:21]
	s_cbranch_execz .LBB6_3305
; %bb.3288:                             ;   in Loop: Header=BB6_2379 Depth=2
	v_and_b32_e32 v60, 0x7fffffff, v14
	v_cmp_gt_u64_e32 vcc, s[58:59], v[60:61]
	v_and_b32_sdwa v27, v14, s52 dst_sel:DWORD dst_unused:UNUSED_PAD src0_sel:BYTE_3 src1_sel:DWORD
                                        ; implicit-def: $vgpr3
	s_and_saveexec_b64 s[20:21], vcc
	s_xor_b64 s[90:91], exec, s[20:21]
	s_cbranch_execz .LBB6_3302
; %bb.3289:                             ;   in Loop: Header=BB6_2379 Depth=2
	v_cmp_ne_u32_e32 vcc, 0, v14
	v_mov_b32_e32 v3, 0
	s_and_saveexec_b64 s[92:93], vcc
	s_cbranch_execz .LBB6_3301
; %bb.3290:                             ;   in Loop: Header=BB6_2379 Depth=2
	v_bfe_u32 v3, v14, 23, 8
	v_and_b32_e32 v15, 0x7fffff, v14
	v_cmp_gt_u32_e64 s[20:21], s54, v3
	v_sub_u32_e32 v14, 0x79, v3
	v_cmp_eq_u32_e32 vcc, 0, v3
	v_cndmask_b32_e64 v14, 0, v14, s[20:21]
	v_mov_b32_e32 v28, 0x78
	v_cndmask_b32_e32 v28, v14, v28, vcc
	v_or_b32_e32 v16, 0x800000, v15
	v_add_u32_e32 v14, 20, v28
	v_cndmask_b32_e32 v60, v16, v15, vcc
	v_lshlrev_b64 v[14:15], v14, -1
	v_add_u32_e32 v16, 19, v28
	v_lshlrev_b64 v[29:30], v16, 1
	v_bfi_b32 v15, v15, 0, 0
	v_bfi_b32 v14, v14, 0, v60
	v_cmp_eq_u64_e64 s[20:21], v[14:15], v[29:30]
	v_lshrrev_b64 v[14:15], v28, v[60:61]
	v_mov_b32_e32 v16, v15
	v_mov_b32_e32 v15, v14
	s_and_saveexec_b64 s[94:95], s[20:21]
; %bb.3291:                             ;   in Loop: Header=BB6_2379 Depth=2
	v_bfe_u32 v15, v14, 20, 1
	v_add_co_u32_e64 v15, s[20:21], v14, v15
	v_add_co_u32_e64 v15, s[20:21], -1, v15
; %bb.3292:                             ;   in Loop: Header=BB6_2379 Depth=2
	s_or_b64 exec, exec, s[94:95]
	v_add_u32_e32 v3, 0xffffff81, v3
	v_mov_b32_e32 v16, 0xffffff82
	v_cndmask_b32_e32 v3, v3, v16, vcc
	v_lshrrev_b32_e32 v16, 23, v14
	v_add3_u32 v28, v28, v3, v16
	v_add_u32_e32 v3, 6, v28
	v_and_b32_e32 v15, 0xfffff, v15
	v_add_u32_e32 v60, v15, v14
	v_cmp_ne_u32_e32 vcc, 0, v3
                                        ; implicit-def: $vgpr14_vgpr15
                                        ; implicit-def: $vgpr16
	s_and_saveexec_b64 s[20:21], vcc
	s_xor_b64 s[20:21], exec, s[20:21]
; %bb.3293:                             ;   in Loop: Header=BB6_2379 Depth=2
	v_cmp_lt_u64_e32 vcc, s[60:61], v[60:61]
	v_add_u32_e32 v14, 7, v28
	v_cndmask_b32_e32 v16, v3, v14, vcc
	v_cndmask_b32_e64 v3, 0, 1, vcc
	v_lshrrev_b64 v[14:15], v3, v[60:61]
; %bb.3294:                             ;   in Loop: Header=BB6_2379 Depth=2
	s_andn2_saveexec_b64 s[20:21], s[20:21]
; %bb.3295:                             ;   in Loop: Header=BB6_2379 Depth=2
	v_mov_b32_e32 v14, v60
	v_bfe_u32 v16, v60, 23, 1
	v_mov_b32_e32 v15, v61
; %bb.3296:                             ;   in Loop: Header=BB6_2379 Depth=2
	s_or_b64 exec, exec, s[20:21]
	v_lshrrev_b64 v[14:15], 20, v[14:15]
	v_cmp_gt_i32_e32 vcc, 16, v16
	v_cndmask_b32_e32 v15, 0, v15, vcc
	v_cndmask_b32_e32 v14, 7, v14, vcc
	v_cmp_ne_u64_e32 vcc, 0, v[14:15]
	v_cmp_ne_u32_e64 s[20:21], 0, v16
	s_or_b64 s[20:21], s[20:21], vcc
                                        ; implicit-def: $vgpr3
	s_and_saveexec_b64 s[94:95], s[20:21]
	s_xor_b64 s[20:21], exec, s[94:95]
; %bb.3297:                             ;   in Loop: Header=BB6_2379 Depth=2
	v_min_i32_e32 v3, 15, v16
	v_lshl_or_b32 v3, v3, 3, v27
	v_and_or_b32 v3, v14, 7, v3
                                        ; implicit-def: $vgpr27
; %bb.3298:                             ;   in Loop: Header=BB6_2379 Depth=2
	s_andn2_saveexec_b64 s[20:21], s[20:21]
; %bb.3299:                             ;   in Loop: Header=BB6_2379 Depth=2
	v_mov_b32_e32 v3, v27
; %bb.3300:                             ;   in Loop: Header=BB6_2379 Depth=2
	s_or_b64 exec, exec, s[20:21]
.LBB6_3301:                             ;   in Loop: Header=BB6_2379 Depth=2
	s_or_b64 exec, exec, s[92:93]
                                        ; implicit-def: $vgpr27
.LBB6_3302:                             ;   in Loop: Header=BB6_2379 Depth=2
	s_andn2_saveexec_b64 s[20:21], s[90:91]
; %bb.3303:                             ;   in Loop: Header=BB6_2379 Depth=2
	v_or_b32_e32 v3, 0x7e, v27
; %bb.3304:                             ;   in Loop: Header=BB6_2379 Depth=2
	s_or_b64 exec, exec, s[20:21]
                                        ; implicit-def: $vgpr14
.LBB6_3305:                             ;   in Loop: Header=BB6_2379 Depth=2
	s_andn2_saveexec_b64 s[20:21], s[88:89]
; %bb.3306:                             ;   in Loop: Header=BB6_2379 Depth=2
	v_or_b32_sdwa v3, v14, s53 dst_sel:DWORD dst_unused:UNUSED_PAD src0_sel:BYTE_3 src1_sel:DWORD
; %bb.3307:                             ;   in Loop: Header=BB6_2379 Depth=2
	s_or_b64 exec, exec, s[20:21]
	buffer_load_dword v14, off, s[0:3], s33 offset:100 ; 4-byte Folded Reload
	v_mov_b32_e32 v15, 0
	v_mov_b32_e32 v16, 0
	s_waitcnt vmcnt(0)
	v_and_b32_e32 v14, 0xff, v14
	v_cmp_ne_u16_e32 vcc, 0, v14
	s_and_saveexec_b64 s[20:21], vcc
	s_cbranch_execz .LBB6_3313
; %bb.3308:                             ;   in Loop: Header=BB6_2379 Depth=2
	v_cmp_ne_u16_e32 vcc, s52, v14
	v_bfrev_b32_e32 v16, 1
	s_and_saveexec_b64 s[88:89], vcc
	s_cbranch_execz .LBB6_3312
; %bb.3309:                             ;   in Loop: Header=BB6_2379 Depth=2
	buffer_load_dword v31, off, s[0:3], s33 offset:100 ; 4-byte Folded Reload
	v_mov_b32_e32 v16, 0x7f800001
	s_waitcnt vmcnt(0)
	v_and_b32_e32 v27, 0x7f, v31
	v_cmp_ne_u32_e32 vcc, s53, v27
	s_and_saveexec_b64 s[90:91], vcc
	s_cbranch_execz .LBB6_3311
; %bb.3310:                             ;   in Loop: Header=BB6_2379 Depth=2
	v_and_b32_e32 v16, 7, v14
	v_lshrrev_b32_e32 v29, 3, v27
	v_cmp_gt_u32_e32 vcc, 8, v27
	v_ffbh_u32_e32 v27, v16
	v_min_u32_e32 v30, 32, v27
	v_subrev_u32_e32 v27, 28, v30
	v_lshlrev_b64 v[27:28], v27, v[14:15]
	v_sub_u32_e32 v14, 29, v30
	v_and_b32_e32 v27, 7, v27
	v_cndmask_b32_e32 v14, v29, v14, vcc
	v_cndmask_b32_e32 v16, v16, v27, vcc
	v_lshlrev_b32_e32 v27, 24, v31
	v_lshlrev_b32_e32 v16, 20, v16
	v_and_b32_e32 v27, 0x80000000, v27
	v_lshl_add_u32 v14, v14, 23, v62
	v_or3_b32 v16, v27, v14, v16
.LBB6_3311:                             ;   in Loop: Header=BB6_2379 Depth=2
	s_or_b64 exec, exec, s[90:91]
.LBB6_3312:                             ;   in Loop: Header=BB6_2379 Depth=2
	s_or_b64 exec, exec, s[88:89]
.LBB6_3313:                             ;   in Loop: Header=BB6_2379 Depth=2
	s_or_b64 exec, exec, s[20:21]
	buffer_load_dword v14, off, s[0:3], s33 offset:96 ; 4-byte Folded Reload
	s_waitcnt vmcnt(0)
	v_and_b32_e32 v14, 0xff, v14
	v_cmp_ne_u16_e32 vcc, 0, v14
	s_and_saveexec_b64 s[20:21], vcc
	s_cbranch_execz .LBB6_3319
; %bb.3314:                             ;   in Loop: Header=BB6_2379 Depth=2
	v_cmp_ne_u16_e32 vcc, s52, v14
	v_bfrev_b32_e32 v15, 1
	s_and_saveexec_b64 s[88:89], vcc
	s_cbranch_execz .LBB6_3318
; %bb.3315:                             ;   in Loop: Header=BB6_2379 Depth=2
	buffer_load_dword v30, off, s[0:3], s33 offset:96 ; 4-byte Folded Reload
	v_mov_b32_e32 v15, 0x7f800001
	s_waitcnt vmcnt(0)
	v_and_b32_e32 v27, 0x7f, v30
	v_cmp_ne_u32_e32 vcc, s53, v27
	s_and_saveexec_b64 s[90:91], vcc
	s_cbranch_execz .LBB6_3317
; %bb.3316:                             ;   in Loop: Header=BB6_2379 Depth=2
	v_and_b32_e32 v28, 7, v14
	v_ffbh_u32_e32 v15, v28
	v_lshrrev_b32_e32 v29, 3, v27
	v_cmp_gt_u32_e32 vcc, 8, v27
	v_min_u32_e32 v27, 32, v15
	v_subrev_u32_e32 v15, 28, v27
	v_lshlrev_b64 v[14:15], v15, v[14:15]
	v_sub_u32_e32 v15, 29, v27
	v_and_b32_e32 v14, 7, v14
	v_cndmask_b32_e32 v15, v29, v15, vcc
	v_cndmask_b32_e32 v14, v28, v14, vcc
	v_lshlrev_b32_e32 v27, 24, v30
	v_lshlrev_b32_e32 v14, 20, v14
	v_and_b32_e32 v27, 0x80000000, v27
	v_lshl_add_u32 v15, v15, 23, v62
	v_or3_b32 v15, v27, v15, v14
.LBB6_3317:                             ;   in Loop: Header=BB6_2379 Depth=2
	s_or_b64 exec, exec, s[90:91]
.LBB6_3318:                             ;   in Loop: Header=BB6_2379 Depth=2
	s_or_b64 exec, exec, s[88:89]
.LBB6_3319:                             ;   in Loop: Header=BB6_2379 Depth=2
	s_or_b64 exec, exec, s[20:21]
	v_add_f32_e32 v14, v16, v15
	v_and_b32_e32 v60, 0x7f800000, v14
	v_cmp_ne_u64_e32 vcc, s[56:57], v[60:61]
                                        ; implicit-def: $vgpr27
	s_and_saveexec_b64 s[20:21], vcc
	s_xor_b64 s[88:89], exec, s[20:21]
	s_cbranch_execz .LBB6_3337
; %bb.3320:                             ;   in Loop: Header=BB6_2379 Depth=2
	v_and_b32_e32 v60, 0x7fffffff, v14
	v_cmp_gt_u64_e32 vcc, s[58:59], v[60:61]
	v_and_b32_sdwa v28, v14, s52 dst_sel:DWORD dst_unused:UNUSED_PAD src0_sel:BYTE_3 src1_sel:DWORD
                                        ; implicit-def: $vgpr27
	s_and_saveexec_b64 s[20:21], vcc
	s_xor_b64 s[90:91], exec, s[20:21]
	s_cbranch_execz .LBB6_3334
; %bb.3321:                             ;   in Loop: Header=BB6_2379 Depth=2
	v_cmp_ne_u32_e32 vcc, 0, v14
	v_mov_b32_e32 v27, 0
	s_and_saveexec_b64 s[92:93], vcc
	s_cbranch_execz .LBB6_3333
; %bb.3322:                             ;   in Loop: Header=BB6_2379 Depth=2
	v_bfe_u32 v27, v14, 23, 8
	v_and_b32_e32 v15, 0x7fffff, v14
	v_cmp_gt_u32_e64 s[20:21], s54, v27
	v_sub_u32_e32 v14, 0x79, v27
	v_cmp_eq_u32_e32 vcc, 0, v27
	v_cndmask_b32_e64 v14, 0, v14, s[20:21]
	v_mov_b32_e32 v29, 0x78
	v_cndmask_b32_e32 v29, v14, v29, vcc
	v_or_b32_e32 v16, 0x800000, v15
	v_add_u32_e32 v14, 20, v29
	v_cndmask_b32_e32 v60, v16, v15, vcc
	v_lshlrev_b64 v[14:15], v14, -1
	v_add_u32_e32 v16, 19, v29
	v_lshlrev_b64 v[30:31], v16, 1
	v_bfi_b32 v15, v15, 0, 0
	v_bfi_b32 v14, v14, 0, v60
	v_cmp_eq_u64_e64 s[20:21], v[14:15], v[30:31]
	v_lshrrev_b64 v[14:15], v29, v[60:61]
	v_mov_b32_e32 v16, v15
	v_mov_b32_e32 v15, v14
	s_and_saveexec_b64 s[94:95], s[20:21]
; %bb.3323:                             ;   in Loop: Header=BB6_2379 Depth=2
	v_bfe_u32 v15, v14, 20, 1
	v_add_co_u32_e64 v15, s[20:21], v14, v15
	v_add_co_u32_e64 v15, s[20:21], -1, v15
; %bb.3324:                             ;   in Loop: Header=BB6_2379 Depth=2
	s_or_b64 exec, exec, s[94:95]
	v_add_u32_e32 v16, 0xffffff81, v27
	v_mov_b32_e32 v27, 0xffffff82
	v_cndmask_b32_e32 v16, v16, v27, vcc
	v_lshrrev_b32_e32 v27, 23, v14
	v_add3_u32 v29, v29, v16, v27
	v_add_u32_e32 v27, 6, v29
	v_and_b32_e32 v15, 0xfffff, v15
	v_add_u32_e32 v60, v15, v14
	v_cmp_ne_u32_e32 vcc, 0, v27
                                        ; implicit-def: $vgpr14_vgpr15
                                        ; implicit-def: $vgpr16
	s_and_saveexec_b64 s[20:21], vcc
	s_xor_b64 s[20:21], exec, s[20:21]
; %bb.3325:                             ;   in Loop: Header=BB6_2379 Depth=2
	v_cmp_lt_u64_e32 vcc, s[60:61], v[60:61]
	v_add_u32_e32 v14, 7, v29
	v_cndmask_b32_e32 v16, v27, v14, vcc
	v_cndmask_b32_e64 v14, 0, 1, vcc
	v_lshrrev_b64 v[14:15], v14, v[60:61]
; %bb.3326:                             ;   in Loop: Header=BB6_2379 Depth=2
	s_andn2_saveexec_b64 s[20:21], s[20:21]
; %bb.3327:                             ;   in Loop: Header=BB6_2379 Depth=2
	v_mov_b32_e32 v14, v60
	v_bfe_u32 v16, v60, 23, 1
	v_mov_b32_e32 v15, v61
; %bb.3328:                             ;   in Loop: Header=BB6_2379 Depth=2
	s_or_b64 exec, exec, s[20:21]
	v_lshrrev_b64 v[14:15], 20, v[14:15]
	v_cmp_gt_i32_e32 vcc, 16, v16
	v_cndmask_b32_e32 v15, 0, v15, vcc
	v_cndmask_b32_e32 v14, 7, v14, vcc
	v_cmp_ne_u64_e32 vcc, 0, v[14:15]
	v_cmp_ne_u32_e64 s[20:21], 0, v16
	s_or_b64 s[20:21], s[20:21], vcc
                                        ; implicit-def: $vgpr27
	s_and_saveexec_b64 s[94:95], s[20:21]
	s_xor_b64 s[20:21], exec, s[94:95]
; %bb.3329:                             ;   in Loop: Header=BB6_2379 Depth=2
	v_min_i32_e32 v15, 15, v16
	v_lshl_or_b32 v15, v15, 3, v28
	v_and_or_b32 v27, v14, 7, v15
                                        ; implicit-def: $vgpr28
; %bb.3330:                             ;   in Loop: Header=BB6_2379 Depth=2
	s_andn2_saveexec_b64 s[20:21], s[20:21]
; %bb.3331:                             ;   in Loop: Header=BB6_2379 Depth=2
	v_mov_b32_e32 v27, v28
; %bb.3332:                             ;   in Loop: Header=BB6_2379 Depth=2
	s_or_b64 exec, exec, s[20:21]
.LBB6_3333:                             ;   in Loop: Header=BB6_2379 Depth=2
	s_or_b64 exec, exec, s[92:93]
                                        ; implicit-def: $vgpr28
.LBB6_3334:                             ;   in Loop: Header=BB6_2379 Depth=2
	s_andn2_saveexec_b64 s[20:21], s[90:91]
; %bb.3335:                             ;   in Loop: Header=BB6_2379 Depth=2
	v_or_b32_e32 v27, 0x7e, v28
; %bb.3336:                             ;   in Loop: Header=BB6_2379 Depth=2
	s_or_b64 exec, exec, s[20:21]
                                        ; implicit-def: $vgpr14
.LBB6_3337:                             ;   in Loop: Header=BB6_2379 Depth=2
	s_andn2_saveexec_b64 s[20:21], s[88:89]
; %bb.3338:                             ;   in Loop: Header=BB6_2379 Depth=2
	v_or_b32_sdwa v27, v14, s53 dst_sel:DWORD dst_unused:UNUSED_PAD src0_sel:BYTE_3 src1_sel:DWORD
; %bb.3339:                             ;   in Loop: Header=BB6_2379 Depth=2
	s_or_b64 exec, exec, s[20:21]
	buffer_load_dword v14, off, s[0:3], s33 offset:92 ; 4-byte Folded Reload
	v_mov_b32_e32 v15, 0
	v_mov_b32_e32 v16, 0
	s_waitcnt vmcnt(0)
	v_and_b32_e32 v14, 0xff, v14
	v_cmp_ne_u16_e32 vcc, 0, v14
	s_and_saveexec_b64 s[20:21], vcc
	s_cbranch_execz .LBB6_3345
; %bb.3340:                             ;   in Loop: Header=BB6_2379 Depth=2
	v_cmp_ne_u16_e32 vcc, s52, v14
	v_bfrev_b32_e32 v16, 1
	s_and_saveexec_b64 s[88:89], vcc
	s_cbranch_execz .LBB6_3344
; %bb.3341:                             ;   in Loop: Header=BB6_2379 Depth=2
	buffer_load_dword v32, off, s[0:3], s33 offset:92 ; 4-byte Folded Reload
	v_mov_b32_e32 v16, 0x7f800001
	s_waitcnt vmcnt(0)
	v_and_b32_e32 v28, 0x7f, v32
	v_cmp_ne_u32_e32 vcc, s53, v28
	s_and_saveexec_b64 s[90:91], vcc
	s_cbranch_execz .LBB6_3343
; %bb.3342:                             ;   in Loop: Header=BB6_2379 Depth=2
	v_and_b32_e32 v16, 7, v14
	v_lshrrev_b32_e32 v30, 3, v28
	v_cmp_gt_u32_e32 vcc, 8, v28
	v_ffbh_u32_e32 v28, v16
	v_min_u32_e32 v31, 32, v28
	v_subrev_u32_e32 v28, 28, v31
	v_lshlrev_b64 v[28:29], v28, v[14:15]
	v_sub_u32_e32 v14, 29, v31
	v_and_b32_e32 v28, 7, v28
	v_cndmask_b32_e32 v14, v30, v14, vcc
	v_cndmask_b32_e32 v16, v16, v28, vcc
	v_lshlrev_b32_e32 v28, 24, v32
	v_lshlrev_b32_e32 v16, 20, v16
	v_and_b32_e32 v28, 0x80000000, v28
	v_lshl_add_u32 v14, v14, 23, v62
	v_or3_b32 v16, v28, v14, v16
.LBB6_3343:                             ;   in Loop: Header=BB6_2379 Depth=2
	s_or_b64 exec, exec, s[90:91]
.LBB6_3344:                             ;   in Loop: Header=BB6_2379 Depth=2
	s_or_b64 exec, exec, s[88:89]
.LBB6_3345:                             ;   in Loop: Header=BB6_2379 Depth=2
	s_or_b64 exec, exec, s[20:21]
	buffer_load_dword v14, off, s[0:3], s33 offset:88 ; 4-byte Folded Reload
	s_waitcnt vmcnt(0)
	v_and_b32_e32 v14, 0xff, v14
	v_cmp_ne_u16_e32 vcc, 0, v14
	s_and_saveexec_b64 s[20:21], vcc
	s_cbranch_execz .LBB6_3351
; %bb.3346:                             ;   in Loop: Header=BB6_2379 Depth=2
	v_cmp_ne_u16_e32 vcc, s52, v14
	v_bfrev_b32_e32 v15, 1
	s_and_saveexec_b64 s[88:89], vcc
	s_cbranch_execz .LBB6_3350
; %bb.3347:                             ;   in Loop: Header=BB6_2379 Depth=2
	buffer_load_dword v31, off, s[0:3], s33 offset:88 ; 4-byte Folded Reload
	v_mov_b32_e32 v15, 0x7f800001
	s_waitcnt vmcnt(0)
	v_and_b32_e32 v28, 0x7f, v31
	v_cmp_ne_u32_e32 vcc, s53, v28
	s_and_saveexec_b64 s[90:91], vcc
	s_cbranch_execz .LBB6_3349
; %bb.3348:                             ;   in Loop: Header=BB6_2379 Depth=2
	v_and_b32_e32 v29, 7, v14
	v_ffbh_u32_e32 v15, v29
	v_lshrrev_b32_e32 v30, 3, v28
	v_cmp_gt_u32_e32 vcc, 8, v28
	v_min_u32_e32 v28, 32, v15
	v_subrev_u32_e32 v15, 28, v28
	v_lshlrev_b64 v[14:15], v15, v[14:15]
	v_sub_u32_e32 v15, 29, v28
	v_and_b32_e32 v14, 7, v14
	v_cndmask_b32_e32 v15, v30, v15, vcc
	v_cndmask_b32_e32 v14, v29, v14, vcc
	v_lshlrev_b32_e32 v28, 24, v31
	v_lshlrev_b32_e32 v14, 20, v14
	v_and_b32_e32 v28, 0x80000000, v28
	v_lshl_add_u32 v15, v15, 23, v62
	v_or3_b32 v15, v28, v15, v14
.LBB6_3349:                             ;   in Loop: Header=BB6_2379 Depth=2
	s_or_b64 exec, exec, s[90:91]
.LBB6_3350:                             ;   in Loop: Header=BB6_2379 Depth=2
	s_or_b64 exec, exec, s[88:89]
.LBB6_3351:                             ;   in Loop: Header=BB6_2379 Depth=2
	s_or_b64 exec, exec, s[20:21]
	v_add_f32_e32 v14, v16, v15
	v_and_b32_e32 v60, 0x7f800000, v14
	v_cmp_ne_u64_e32 vcc, s[56:57], v[60:61]
                                        ; implicit-def: $vgpr28
	s_and_saveexec_b64 s[20:21], vcc
	s_xor_b64 s[88:89], exec, s[20:21]
	s_cbranch_execz .LBB6_3369
; %bb.3352:                             ;   in Loop: Header=BB6_2379 Depth=2
	v_and_b32_e32 v60, 0x7fffffff, v14
	v_cmp_gt_u64_e32 vcc, s[58:59], v[60:61]
	v_and_b32_sdwa v29, v14, s52 dst_sel:DWORD dst_unused:UNUSED_PAD src0_sel:BYTE_3 src1_sel:DWORD
                                        ; implicit-def: $vgpr28
	s_and_saveexec_b64 s[20:21], vcc
	s_xor_b64 s[90:91], exec, s[20:21]
	s_cbranch_execz .LBB6_3366
; %bb.3353:                             ;   in Loop: Header=BB6_2379 Depth=2
	v_cmp_ne_u32_e32 vcc, 0, v14
	v_mov_b32_e32 v28, 0
	s_and_saveexec_b64 s[92:93], vcc
	s_cbranch_execz .LBB6_3365
; %bb.3354:                             ;   in Loop: Header=BB6_2379 Depth=2
	v_bfe_u32 v28, v14, 23, 8
	v_and_b32_e32 v15, 0x7fffff, v14
	v_cmp_gt_u32_e64 s[20:21], s54, v28
	v_sub_u32_e32 v14, 0x79, v28
	v_cmp_eq_u32_e32 vcc, 0, v28
	v_cndmask_b32_e64 v14, 0, v14, s[20:21]
	v_mov_b32_e32 v30, 0x78
	v_cndmask_b32_e32 v30, v14, v30, vcc
	v_or_b32_e32 v16, 0x800000, v15
	v_add_u32_e32 v14, 20, v30
	v_cndmask_b32_e32 v60, v16, v15, vcc
	v_lshlrev_b64 v[14:15], v14, -1
	v_add_u32_e32 v16, 19, v30
	v_lshlrev_b64 v[31:32], v16, 1
	v_bfi_b32 v15, v15, 0, 0
	v_bfi_b32 v14, v14, 0, v60
	v_cmp_eq_u64_e64 s[20:21], v[14:15], v[31:32]
	v_lshrrev_b64 v[14:15], v30, v[60:61]
	v_mov_b32_e32 v16, v15
	v_mov_b32_e32 v15, v14
	s_and_saveexec_b64 s[94:95], s[20:21]
; %bb.3355:                             ;   in Loop: Header=BB6_2379 Depth=2
	v_bfe_u32 v15, v14, 20, 1
	v_add_co_u32_e64 v15, s[20:21], v14, v15
	v_add_co_u32_e64 v15, s[20:21], -1, v15
; %bb.3356:                             ;   in Loop: Header=BB6_2379 Depth=2
	s_or_b64 exec, exec, s[94:95]
	v_add_u32_e32 v16, 0xffffff81, v28
	v_mov_b32_e32 v28, 0xffffff82
	v_cndmask_b32_e32 v16, v16, v28, vcc
	v_lshrrev_b32_e32 v28, 23, v14
	v_add3_u32 v30, v30, v16, v28
	v_add_u32_e32 v28, 6, v30
	v_and_b32_e32 v15, 0xfffff, v15
	v_add_u32_e32 v60, v15, v14
	v_cmp_ne_u32_e32 vcc, 0, v28
                                        ; implicit-def: $vgpr14_vgpr15
                                        ; implicit-def: $vgpr16
	s_and_saveexec_b64 s[20:21], vcc
	s_xor_b64 s[20:21], exec, s[20:21]
; %bb.3357:                             ;   in Loop: Header=BB6_2379 Depth=2
	v_cmp_lt_u64_e32 vcc, s[60:61], v[60:61]
	v_add_u32_e32 v14, 7, v30
	v_cndmask_b32_e32 v16, v28, v14, vcc
	v_cndmask_b32_e64 v14, 0, 1, vcc
	v_lshrrev_b64 v[14:15], v14, v[60:61]
; %bb.3358:                             ;   in Loop: Header=BB6_2379 Depth=2
	s_andn2_saveexec_b64 s[20:21], s[20:21]
; %bb.3359:                             ;   in Loop: Header=BB6_2379 Depth=2
	v_mov_b32_e32 v14, v60
	v_bfe_u32 v16, v60, 23, 1
	v_mov_b32_e32 v15, v61
; %bb.3360:                             ;   in Loop: Header=BB6_2379 Depth=2
	s_or_b64 exec, exec, s[20:21]
	v_lshrrev_b64 v[14:15], 20, v[14:15]
	v_cmp_gt_i32_e32 vcc, 16, v16
	v_cndmask_b32_e32 v15, 0, v15, vcc
	v_cndmask_b32_e32 v14, 7, v14, vcc
	v_cmp_ne_u64_e32 vcc, 0, v[14:15]
	v_cmp_ne_u32_e64 s[20:21], 0, v16
	s_or_b64 s[20:21], s[20:21], vcc
                                        ; implicit-def: $vgpr28
	s_and_saveexec_b64 s[94:95], s[20:21]
	s_xor_b64 s[20:21], exec, s[94:95]
; %bb.3361:                             ;   in Loop: Header=BB6_2379 Depth=2
	v_min_i32_e32 v15, 15, v16
	v_lshl_or_b32 v15, v15, 3, v29
	v_and_or_b32 v28, v14, 7, v15
                                        ; implicit-def: $vgpr29
; %bb.3362:                             ;   in Loop: Header=BB6_2379 Depth=2
	s_andn2_saveexec_b64 s[20:21], s[20:21]
; %bb.3363:                             ;   in Loop: Header=BB6_2379 Depth=2
	v_mov_b32_e32 v28, v29
; %bb.3364:                             ;   in Loop: Header=BB6_2379 Depth=2
	s_or_b64 exec, exec, s[20:21]
.LBB6_3365:                             ;   in Loop: Header=BB6_2379 Depth=2
	s_or_b64 exec, exec, s[92:93]
                                        ; implicit-def: $vgpr29
.LBB6_3366:                             ;   in Loop: Header=BB6_2379 Depth=2
	s_andn2_saveexec_b64 s[20:21], s[90:91]
; %bb.3367:                             ;   in Loop: Header=BB6_2379 Depth=2
	v_or_b32_e32 v28, 0x7e, v29
; %bb.3368:                             ;   in Loop: Header=BB6_2379 Depth=2
	s_or_b64 exec, exec, s[20:21]
                                        ; implicit-def: $vgpr14
.LBB6_3369:                             ;   in Loop: Header=BB6_2379 Depth=2
	s_andn2_saveexec_b64 s[20:21], s[88:89]
; %bb.3370:                             ;   in Loop: Header=BB6_2379 Depth=2
	v_or_b32_sdwa v28, v14, s53 dst_sel:DWORD dst_unused:UNUSED_PAD src0_sel:BYTE_3 src1_sel:DWORD
; %bb.3371:                             ;   in Loop: Header=BB6_2379 Depth=2
	s_or_b64 exec, exec, s[20:21]
	v_and_b32_e32 v14, 0xff, v46
	v_cmp_ne_u16_e32 vcc, 0, v14
	v_mov_b32_e32 v15, 0
	v_mov_b32_e32 v16, 0
	s_and_saveexec_b64 s[20:21], vcc
	s_cbranch_execz .LBB6_3377
; %bb.3372:                             ;   in Loop: Header=BB6_2379 Depth=2
	v_cmp_ne_u16_e32 vcc, s52, v14
	v_bfrev_b32_e32 v16, 1
	s_and_saveexec_b64 s[88:89], vcc
	s_cbranch_execz .LBB6_3376
; %bb.3373:                             ;   in Loop: Header=BB6_2379 Depth=2
	v_and_b32_e32 v29, 0x7f, v46
	v_cmp_ne_u32_e32 vcc, s53, v29
	v_mov_b32_e32 v16, 0x7f800001
	s_and_saveexec_b64 s[90:91], vcc
	s_cbranch_execz .LBB6_3375
; %bb.3374:                             ;   in Loop: Header=BB6_2379 Depth=2
	v_and_b32_e32 v16, 7, v14
	v_lshrrev_b32_e32 v31, 3, v29
	v_cmp_gt_u32_e32 vcc, 8, v29
	v_ffbh_u32_e32 v29, v16
	v_min_u32_e32 v32, 32, v29
	v_subrev_u32_e32 v29, 28, v32
	v_lshlrev_b64 v[29:30], v29, v[14:15]
	v_sub_u32_e32 v14, 29, v32
	v_and_b32_e32 v29, 7, v29
	v_cndmask_b32_e32 v14, v31, v14, vcc
	v_cndmask_b32_e32 v16, v16, v29, vcc
	v_lshlrev_b32_e32 v29, 24, v46
	v_lshlrev_b32_e32 v16, 20, v16
	v_and_b32_e32 v29, 0x80000000, v29
	v_lshl_add_u32 v14, v14, 23, v62
	v_or3_b32 v16, v29, v14, v16
.LBB6_3375:                             ;   in Loop: Header=BB6_2379 Depth=2
	s_or_b64 exec, exec, s[90:91]
.LBB6_3376:                             ;   in Loop: Header=BB6_2379 Depth=2
	s_or_b64 exec, exec, s[88:89]
.LBB6_3377:                             ;   in Loop: Header=BB6_2379 Depth=2
	s_or_b64 exec, exec, s[20:21]
	v_and_b32_e32 v14, 0xff, v45
	v_cmp_ne_u16_e32 vcc, 0, v14
	s_and_saveexec_b64 s[20:21], vcc
	s_cbranch_execz .LBB6_3383
; %bb.3378:                             ;   in Loop: Header=BB6_2379 Depth=2
	v_cmp_ne_u16_e32 vcc, s52, v14
	v_bfrev_b32_e32 v15, 1
	s_and_saveexec_b64 s[88:89], vcc
	s_cbranch_execz .LBB6_3382
; %bb.3379:                             ;   in Loop: Header=BB6_2379 Depth=2
	v_and_b32_e32 v29, 0x7f, v45
	v_cmp_ne_u32_e32 vcc, s53, v29
	v_mov_b32_e32 v15, 0x7f800001
	s_and_saveexec_b64 s[90:91], vcc
	s_cbranch_execz .LBB6_3381
; %bb.3380:                             ;   in Loop: Header=BB6_2379 Depth=2
	v_and_b32_e32 v30, 7, v14
	v_ffbh_u32_e32 v15, v30
	v_lshrrev_b32_e32 v31, 3, v29
	v_cmp_gt_u32_e32 vcc, 8, v29
	v_min_u32_e32 v29, 32, v15
	v_subrev_u32_e32 v15, 28, v29
	v_lshlrev_b64 v[14:15], v15, v[14:15]
	v_sub_u32_e32 v15, 29, v29
	v_and_b32_e32 v14, 7, v14
	v_cndmask_b32_e32 v15, v31, v15, vcc
	v_cndmask_b32_e32 v14, v30, v14, vcc
	v_lshlrev_b32_e32 v29, 24, v45
	v_lshlrev_b32_e32 v14, 20, v14
	v_and_b32_e32 v29, 0x80000000, v29
	v_lshl_add_u32 v15, v15, 23, v62
	v_or3_b32 v15, v29, v15, v14
.LBB6_3381:                             ;   in Loop: Header=BB6_2379 Depth=2
	s_or_b64 exec, exec, s[90:91]
.LBB6_3382:                             ;   in Loop: Header=BB6_2379 Depth=2
	s_or_b64 exec, exec, s[88:89]
.LBB6_3383:                             ;   in Loop: Header=BB6_2379 Depth=2
	s_or_b64 exec, exec, s[20:21]
	v_add_f32_e32 v14, v16, v15
	v_and_b32_e32 v60, 0x7f800000, v14
	v_cmp_ne_u64_e32 vcc, s[56:57], v[60:61]
                                        ; implicit-def: $vgpr15
	s_and_saveexec_b64 s[20:21], vcc
	s_xor_b64 s[88:89], exec, s[20:21]
	s_cbranch_execz .LBB6_3401
; %bb.3384:                             ;   in Loop: Header=BB6_2379 Depth=2
	v_and_b32_e32 v60, 0x7fffffff, v14
	v_cmp_gt_u64_e32 vcc, s[58:59], v[60:61]
	v_and_b32_sdwa v29, v14, s52 dst_sel:DWORD dst_unused:UNUSED_PAD src0_sel:BYTE_3 src1_sel:DWORD
                                        ; implicit-def: $vgpr15
	s_and_saveexec_b64 s[20:21], vcc
	s_xor_b64 s[90:91], exec, s[20:21]
	s_cbranch_execz .LBB6_3398
; %bb.3385:                             ;   in Loop: Header=BB6_2379 Depth=2
	v_cmp_ne_u32_e32 vcc, 0, v14
	v_mov_b32_e32 v15, 0
	s_and_saveexec_b64 s[92:93], vcc
	s_cbranch_execz .LBB6_3397
; %bb.3386:                             ;   in Loop: Header=BB6_2379 Depth=2
	v_bfe_u32 v30, v14, 23, 8
	v_and_b32_e32 v15, 0x7fffff, v14
	v_cmp_gt_u32_e64 s[20:21], s54, v30
	v_sub_u32_e32 v14, 0x79, v30
	v_cmp_eq_u32_e32 vcc, 0, v30
	v_cndmask_b32_e64 v14, 0, v14, s[20:21]
	v_mov_b32_e32 v31, 0x78
	v_cndmask_b32_e32 v31, v14, v31, vcc
	v_or_b32_e32 v16, 0x800000, v15
	v_add_u32_e32 v14, 20, v31
	v_cndmask_b32_e32 v60, v16, v15, vcc
	v_lshlrev_b64 v[14:15], v14, -1
	v_add_u32_e32 v16, 19, v31
	v_lshlrev_b64 v[32:33], v16, 1
	v_bfi_b32 v15, v15, 0, 0
	v_bfi_b32 v14, v14, 0, v60
	v_cmp_eq_u64_e64 s[20:21], v[14:15], v[32:33]
	v_lshrrev_b64 v[14:15], v31, v[60:61]
	v_mov_b32_e32 v16, v15
	v_mov_b32_e32 v15, v14
	s_and_saveexec_b64 s[94:95], s[20:21]
; %bb.3387:                             ;   in Loop: Header=BB6_2379 Depth=2
	v_bfe_u32 v15, v14, 20, 1
	v_add_co_u32_e64 v15, s[20:21], v14, v15
	v_add_co_u32_e64 v15, s[20:21], -1, v15
; %bb.3388:                             ;   in Loop: Header=BB6_2379 Depth=2
	s_or_b64 exec, exec, s[94:95]
	v_add_u32_e32 v16, 0xffffff81, v30
	v_mov_b32_e32 v30, 0xffffff82
	v_cndmask_b32_e32 v16, v16, v30, vcc
	v_lshrrev_b32_e32 v30, 23, v14
	v_add3_u32 v31, v31, v16, v30
	v_add_u32_e32 v30, 6, v31
	v_and_b32_e32 v15, 0xfffff, v15
	v_add_u32_e32 v60, v15, v14
	v_cmp_ne_u32_e32 vcc, 0, v30
                                        ; implicit-def: $vgpr14_vgpr15
                                        ; implicit-def: $vgpr16
	s_and_saveexec_b64 s[20:21], vcc
	s_xor_b64 s[20:21], exec, s[20:21]
; %bb.3389:                             ;   in Loop: Header=BB6_2379 Depth=2
	v_cmp_lt_u64_e32 vcc, s[60:61], v[60:61]
	v_add_u32_e32 v14, 7, v31
	v_cndmask_b32_e32 v16, v30, v14, vcc
	v_cndmask_b32_e64 v14, 0, 1, vcc
	v_lshrrev_b64 v[14:15], v14, v[60:61]
; %bb.3390:                             ;   in Loop: Header=BB6_2379 Depth=2
	s_andn2_saveexec_b64 s[20:21], s[20:21]
; %bb.3391:                             ;   in Loop: Header=BB6_2379 Depth=2
	v_mov_b32_e32 v14, v60
	v_bfe_u32 v16, v60, 23, 1
	v_mov_b32_e32 v15, v61
; %bb.3392:                             ;   in Loop: Header=BB6_2379 Depth=2
	s_or_b64 exec, exec, s[20:21]
	v_lshrrev_b64 v[14:15], 20, v[14:15]
	v_cmp_gt_i32_e32 vcc, 16, v16
	v_cndmask_b32_e32 v15, 0, v15, vcc
	v_cndmask_b32_e32 v14, 7, v14, vcc
	v_cmp_ne_u64_e32 vcc, 0, v[14:15]
	v_cmp_ne_u32_e64 s[20:21], 0, v16
	s_or_b64 s[20:21], s[20:21], vcc
                                        ; implicit-def: $vgpr15
	s_and_saveexec_b64 s[94:95], s[20:21]
	s_xor_b64 s[20:21], exec, s[94:95]
; %bb.3393:                             ;   in Loop: Header=BB6_2379 Depth=2
	v_min_i32_e32 v15, 15, v16
	v_lshl_or_b32 v15, v15, 3, v29
	v_and_or_b32 v15, v14, 7, v15
                                        ; implicit-def: $vgpr29
; %bb.3394:                             ;   in Loop: Header=BB6_2379 Depth=2
	s_andn2_saveexec_b64 s[20:21], s[20:21]
; %bb.3395:                             ;   in Loop: Header=BB6_2379 Depth=2
	v_mov_b32_e32 v15, v29
; %bb.3396:                             ;   in Loop: Header=BB6_2379 Depth=2
	s_or_b64 exec, exec, s[20:21]
.LBB6_3397:                             ;   in Loop: Header=BB6_2379 Depth=2
	s_or_b64 exec, exec, s[92:93]
                                        ; implicit-def: $vgpr29
.LBB6_3398:                             ;   in Loop: Header=BB6_2379 Depth=2
	s_andn2_saveexec_b64 s[20:21], s[90:91]
; %bb.3399:                             ;   in Loop: Header=BB6_2379 Depth=2
	v_or_b32_e32 v15, 0x7e, v29
; %bb.3400:                             ;   in Loop: Header=BB6_2379 Depth=2
	s_or_b64 exec, exec, s[20:21]
                                        ; implicit-def: $vgpr14
.LBB6_3401:                             ;   in Loop: Header=BB6_2379 Depth=2
	s_andn2_saveexec_b64 s[20:21], s[88:89]
	s_cbranch_execz .LBB6_2378
; %bb.3402:                             ;   in Loop: Header=BB6_2379 Depth=2
	v_or_b32_sdwa v15, v14, s53 dst_sel:DWORD dst_unused:UNUSED_PAD src0_sel:BYTE_3 src1_sel:DWORD
	s_branch .LBB6_2378
.LBB6_3403:                             ;   in Loop: Header=BB6_49 Depth=1
	s_or_b64 exec, exec, s[78:79]
	buffer_load_dword v36, off, s[0:3], s33 offset:268 ; 4-byte Folded Reload
	buffer_load_dword v37, off, s[0:3], s33 offset:272 ; 4-byte Folded Reload
	;; [unrolled: 1-line block ×17, first 2 shown]
	v_mov_b32_e32 v54, 1
	v_mov_b32_e32 v55, 0xc8
	;; [unrolled: 1-line block ×4, first 2 shown]
	v_bfrev_b32_e32 v42, 1
.LBB6_3404:                             ;   in Loop: Header=BB6_49 Depth=1
	s_or_b64 exec, exec, s[76:77]
	s_waitcnt vmcnt(0)
	v_and_b32_e32 v0, 0xfffff800, v3
	v_cmp_ne_u32_e32 vcc, v3, v0
	s_and_b64 exec, exec, vcc
	s_cbranch_execz .LBB6_3440
; %bb.3405:                             ;   in Loop: Header=BB6_49 Depth=1
	v_add_u32_e32 v1, v2, v1
	v_and_b32_e32 v1, 0xffffffc0, v1
	v_sub_u32_e32 v1, v2, v1
	v_lshlrev_b32_e32 v2, 6, v18
	v_sub_u32_e32 v1, v1, v2
	v_and_b32_e32 v2, 0x7ff, v3
	v_sub_u32_e32 v2, v2, v1
	v_cmp_lt_i32_e32 vcc, 0, v2
	s_and_b64 exec, exec, vcc
	s_cbranch_execz .LBB6_3440
; %bb.3406:                             ;   in Loop: Header=BB6_49 Depth=1
	s_trap 2
	ds_read_b128 v[3:6], v0
	v_add3_u32 v9, v0, v7, v1
	ds_read_b64 v[7:8], v0
	v_ashrrev_i32_e32 v13, 31, v9
	s_mov_b64 s[76:77], 0
	s_waitcnt lgkmcnt(0)
	v_add_co_u32_e32 v0, vcc, v3, v9
	v_addc_co_u32_e32 v1, vcc, v4, v13, vcc
	v_add_co_u32_e32 v10, vcc, v5, v9
	v_addc_co_u32_e32 v11, vcc, v6, v13, vcc
	;; [unrolled: 2-line block ×3, first 2 shown]
	s_branch .LBB6_3408
.LBB6_3407:                             ;   in Loop: Header=BB6_3408 Depth=2
	s_or_b64 exec, exec, s[20:21]
	v_add_co_u32_e32 v0, vcc, v0, v48
	v_addc_co_u32_e32 v1, vcc, 0, v1, vcc
	v_add_co_u32_e32 v10, vcc, v10, v48
	v_addc_co_u32_e32 v11, vcc, 0, v11, vcc
	v_sub_u32_e32 v2, v2, v48
	v_cmp_gt_i32_e32 vcc, 1, v2
	flat_store_byte v[12:13], v4 glc slc
	s_or_b64 s[76:77], vcc, s[76:77]
	v_add_co_u32_e32 v12, vcc, v12, v48
	v_addc_co_u32_e32 v13, vcc, 0, v13, vcc
	s_andn2_b64 exec, exec, s[76:77]
	s_cbranch_execz .LBB6_3440
.LBB6_3408:                             ;   Parent Loop BB6_49 Depth=1
                                        ; =>  This Inner Loop Header: Depth=2
	flat_load_ubyte v6, v[0:1] glc slc
	flat_load_ubyte v4, v[10:11] glc slc
	v_mov_b32_e32 v3, 0
	v_mov_b32_e32 v5, 0
	s_waitcnt vmcnt(0) lgkmcnt(0)
	v_cmp_ne_u16_e32 vcc, 0, v6
	s_and_saveexec_b64 s[20:21], vcc
	s_cbranch_execz .LBB6_3414
; %bb.3409:                             ;   in Loop: Header=BB6_3408 Depth=2
	v_cmp_ne_u16_e32 vcc, s52, v6
	v_bfrev_b32_e32 v5, 1
	s_and_saveexec_b64 s[78:79], vcc
	s_cbranch_execz .LBB6_3413
; %bb.3410:                             ;   in Loop: Header=BB6_3408 Depth=2
	v_and_b32_e32 v14, 0xffff, v6
	v_and_b32_e32 v7, 0x7f, v14
	v_cmp_ne_u32_e32 vcc, s53, v7
	v_mov_b32_e32 v5, 0x7f800001
	s_and_saveexec_b64 s[88:89], vcc
	s_cbranch_execz .LBB6_3412
; %bb.3411:                             ;   in Loop: Header=BB6_3408 Depth=2
	v_and_b32_e32 v5, 7, v14
	v_lshrrev_b32_e32 v9, 3, v7
	v_cmp_gt_u32_e32 vcc, 8, v7
	v_ffbh_u32_e32 v7, v5
	v_min_u32_e32 v15, 32, v7
	v_subrev_u32_e32 v7, 28, v15
	v_lshlrev_b64 v[7:8], v7, v[14:15]
	v_sub_u32_e32 v8, 29, v15
	v_and_b32_e32 v7, 7, v7
	v_cndmask_b32_e32 v8, v9, v8, vcc
	v_cndmask_b32_e32 v5, v5, v7, vcc
	v_lshlrev_b32_e32 v6, 24, v6
	v_lshlrev_b32_e32 v5, 20, v5
	v_and_b32_e32 v6, 0x80000000, v6
	v_lshl_add_u32 v7, v8, 23, v62
	v_or3_b32 v5, v6, v7, v5
.LBB6_3412:                             ;   in Loop: Header=BB6_3408 Depth=2
	s_or_b64 exec, exec, s[88:89]
.LBB6_3413:                             ;   in Loop: Header=BB6_3408 Depth=2
	s_or_b64 exec, exec, s[78:79]
.LBB6_3414:                             ;   in Loop: Header=BB6_3408 Depth=2
	s_or_b64 exec, exec, s[20:21]
	v_and_b32_e32 v14, 0xff, v4
	v_cmp_ne_u16_e32 vcc, 0, v14
	s_and_saveexec_b64 s[20:21], vcc
	s_cbranch_execz .LBB6_3420
; %bb.3415:                             ;   in Loop: Header=BB6_3408 Depth=2
	v_cmp_ne_u16_e32 vcc, s52, v14
	v_bfrev_b32_e32 v3, 1
	s_and_saveexec_b64 s[78:79], vcc
	s_cbranch_execz .LBB6_3419
; %bb.3416:                             ;   in Loop: Header=BB6_3408 Depth=2
	v_and_b32_e32 v6, 0x7f, v4
	v_cmp_ne_u32_e32 vcc, s53, v6
	v_mov_b32_e32 v3, 0x7f800001
	s_and_saveexec_b64 s[88:89], vcc
	s_cbranch_execz .LBB6_3418
; %bb.3417:                             ;   in Loop: Header=BB6_3408 Depth=2
	v_and_b32_e32 v7, 7, v14
	v_lshlrev_b32_e32 v3, 24, v4
	v_and_b32_e32 v9, 0x80000000, v3
	v_ffbh_u32_e32 v3, v7
	v_lshrrev_b32_e32 v8, 3, v6
	v_cmp_gt_u32_e32 vcc, 8, v6
	v_min_u32_e32 v6, 32, v3
	v_subrev_u32_e32 v3, 28, v6
	v_lshlrev_b64 v[3:4], v3, v[14:15]
	v_sub_u32_e32 v4, 29, v6
	v_and_b32_e32 v3, 7, v3
	v_cndmask_b32_e32 v4, v8, v4, vcc
	v_cndmask_b32_e32 v3, v7, v3, vcc
	v_lshlrev_b32_e32 v3, 20, v3
	v_lshl_add_u32 v4, v4, 23, v62
	v_or3_b32 v3, v9, v4, v3
.LBB6_3418:                             ;   in Loop: Header=BB6_3408 Depth=2
	s_or_b64 exec, exec, s[88:89]
.LBB6_3419:                             ;   in Loop: Header=BB6_3408 Depth=2
	s_or_b64 exec, exec, s[78:79]
.LBB6_3420:                             ;   in Loop: Header=BB6_3408 Depth=2
	s_or_b64 exec, exec, s[20:21]
	v_add_f32_e32 v5, v5, v3
	v_and_b32_e32 v60, 0x7f800000, v5
	v_cmp_ne_u64_e32 vcc, s[56:57], v[60:61]
                                        ; implicit-def: $vgpr4
	s_and_saveexec_b64 s[20:21], vcc
	s_xor_b64 s[78:79], exec, s[20:21]
	s_cbranch_execz .LBB6_3438
; %bb.3421:                             ;   in Loop: Header=BB6_3408 Depth=2
	v_and_b32_e32 v60, 0x7fffffff, v5
	v_cmp_gt_u64_e32 vcc, s[58:59], v[60:61]
	v_and_b32_sdwa v3, v5, s52 dst_sel:DWORD dst_unused:UNUSED_PAD src0_sel:BYTE_3 src1_sel:DWORD
                                        ; implicit-def: $vgpr4
	s_and_saveexec_b64 s[20:21], vcc
	s_xor_b64 s[88:89], exec, s[20:21]
	s_cbranch_execz .LBB6_3435
; %bb.3422:                             ;   in Loop: Header=BB6_3408 Depth=2
	v_cmp_ne_u32_e32 vcc, 0, v5
	v_mov_b32_e32 v4, 0
	s_and_saveexec_b64 s[90:91], vcc
	s_cbranch_execz .LBB6_3434
; %bb.3423:                             ;   in Loop: Header=BB6_3408 Depth=2
	v_bfe_u32 v4, v5, 23, 8
	v_and_b32_e32 v6, 0x7fffff, v5
	v_cmp_gt_u32_e64 s[20:21], s54, v4
	v_sub_u32_e32 v5, 0x79, v4
	v_cmp_eq_u32_e32 vcc, 0, v4
	v_cndmask_b32_e64 v5, 0, v5, s[20:21]
	v_mov_b32_e32 v8, 0x78
	v_or_b32_e32 v7, 0x800000, v6
	v_cndmask_b32_e32 v5, v5, v8, vcc
	v_cndmask_b32_e32 v60, v7, v6, vcc
	v_add_u32_e32 v6, 20, v5
	v_lshlrev_b64 v[6:7], v6, -1
	v_add_u32_e32 v8, 19, v5
	v_lshlrev_b64 v[8:9], v8, 1
	v_lshrrev_b64 v[14:15], v5, v[60:61]
	v_bfi_b32 v7, v7, 0, 0
	v_bfi_b32 v6, v6, 0, v60
	v_cmp_eq_u64_e64 s[20:21], v[6:7], v[8:9]
	v_mov_b32_e32 v16, v15
	v_mov_b32_e32 v15, v14
	s_and_saveexec_b64 s[92:93], s[20:21]
; %bb.3424:                             ;   in Loop: Header=BB6_3408 Depth=2
	v_bfe_u32 v6, v14, 20, 1
	v_add_co_u32_e64 v6, s[20:21], v14, v6
	v_add_co_u32_e64 v15, s[20:21], -1, v6
; %bb.3425:                             ;   in Loop: Header=BB6_3408 Depth=2
	s_or_b64 exec, exec, s[92:93]
	v_add_u32_e32 v4, 0xffffff81, v4
	v_mov_b32_e32 v6, 0xffffff82
	v_cndmask_b32_e32 v4, v4, v6, vcc
	v_lshrrev_b32_e32 v6, 23, v14
	v_add3_u32 v6, v5, v4, v6
	v_add_u32_e32 v4, 6, v6
	v_and_b32_e32 v5, 0xfffff, v15
	v_add_u32_e32 v60, v5, v14
	v_cmp_ne_u32_e32 vcc, 0, v4
                                        ; implicit-def: $vgpr14_vgpr15
                                        ; implicit-def: $vgpr5
	s_and_saveexec_b64 s[20:21], vcc
	s_xor_b64 s[20:21], exec, s[20:21]
; %bb.3426:                             ;   in Loop: Header=BB6_3408 Depth=2
	v_cmp_lt_u64_e32 vcc, s[60:61], v[60:61]
	v_add_u32_e32 v5, 7, v6
	v_cndmask_b32_e32 v5, v4, v5, vcc
	v_cndmask_b32_e64 v4, 0, 1, vcc
	v_lshrrev_b64 v[14:15], v4, v[60:61]
; %bb.3427:                             ;   in Loop: Header=BB6_3408 Depth=2
	s_andn2_saveexec_b64 s[20:21], s[20:21]
; %bb.3428:                             ;   in Loop: Header=BB6_3408 Depth=2
	v_mov_b32_e32 v14, v60
	v_bfe_u32 v5, v60, 23, 1
	v_mov_b32_e32 v15, v61
; %bb.3429:                             ;   in Loop: Header=BB6_3408 Depth=2
	s_or_b64 exec, exec, s[20:21]
	v_lshrrev_b64 v[6:7], 20, v[14:15]
	v_cmp_gt_i32_e32 vcc, 16, v5
	v_cndmask_b32_e32 v15, 0, v7, vcc
	v_cndmask_b32_e32 v14, 7, v6, vcc
	v_cmp_ne_u64_e32 vcc, 0, v[14:15]
	v_cmp_ne_u32_e64 s[20:21], 0, v5
	s_or_b64 s[20:21], s[20:21], vcc
                                        ; implicit-def: $vgpr4
	s_and_saveexec_b64 s[92:93], s[20:21]
	s_xor_b64 s[20:21], exec, s[92:93]
; %bb.3430:                             ;   in Loop: Header=BB6_3408 Depth=2
	v_min_i32_e32 v4, 15, v5
	v_lshl_or_b32 v3, v4, 3, v3
	v_and_or_b32 v4, v14, 7, v3
                                        ; implicit-def: $vgpr3
; %bb.3431:                             ;   in Loop: Header=BB6_3408 Depth=2
	s_andn2_saveexec_b64 s[20:21], s[20:21]
; %bb.3432:                             ;   in Loop: Header=BB6_3408 Depth=2
	v_mov_b32_e32 v4, v3
; %bb.3433:                             ;   in Loop: Header=BB6_3408 Depth=2
	s_or_b64 exec, exec, s[20:21]
.LBB6_3434:                             ;   in Loop: Header=BB6_3408 Depth=2
	s_or_b64 exec, exec, s[90:91]
                                        ; implicit-def: $vgpr3
.LBB6_3435:                             ;   in Loop: Header=BB6_3408 Depth=2
	s_andn2_saveexec_b64 s[20:21], s[88:89]
; %bb.3436:                             ;   in Loop: Header=BB6_3408 Depth=2
	v_or_b32_e32 v4, 0x7e, v3
; %bb.3437:                             ;   in Loop: Header=BB6_3408 Depth=2
	s_or_b64 exec, exec, s[20:21]
                                        ; implicit-def: $vgpr5
.LBB6_3438:                             ;   in Loop: Header=BB6_3408 Depth=2
	s_andn2_saveexec_b64 s[20:21], s[78:79]
	s_cbranch_execz .LBB6_3407
; %bb.3439:                             ;   in Loop: Header=BB6_3408 Depth=2
	v_or_b32_sdwa v4, v5, s53 dst_sel:DWORD dst_unused:UNUSED_PAD src0_sel:BYTE_3 src1_sel:DWORD
	s_branch .LBB6_3407
.LBB6_3440:                             ;   in Loop: Header=BB6_49 Depth=1
	s_or_b64 exec, exec, s[22:23]
	buffer_load_dword v16, off, s[0:3], s33 offset:220 ; 4-byte Folded Reload
	buffer_load_dword v0, off, s[0:3], s33 offset:156 ; 4-byte Folded Reload
	;; [unrolled: 1-line block ×9, first 2 shown]
	v_cmp_ne_u32_e64 s[20:21], 0, v50
	s_waitcnt vmcnt(0)
	v_mov_b32_e32 v15, v1
	v_mov_b32_e32 v14, v0
	s_and_saveexec_b64 s[22:23], s[10:11]
	s_cbranch_execz .LBB6_3459
.LBB6_3441:                             ;   in Loop: Header=BB6_49 Depth=1
	s_and_saveexec_b64 s[76:77], s[42:43]
	s_xor_b64 s[76:77], exec, s[76:77]
	s_cbranch_execz .LBB6_3456
; %bb.3442:                             ;   in Loop: Header=BB6_49 Depth=1
	s_and_saveexec_b64 s[78:79], s[12:13]
	s_cbranch_execz .LBB6_3455
; %bb.3443:                             ;   in Loop: Header=BB6_49 Depth=1
	s_mov_b64 s[90:91], exec
	v_mbcnt_lo_u32_b32 v0, s90, 0
	v_mbcnt_hi_u32_b32 v0, s91, v0
	v_cmp_eq_u32_e32 vcc, 0, v0
	s_waitcnt vmcnt(0) lgkmcnt(0)
	buffer_wbinvl1_vol
	s_and_saveexec_b64 s[88:89], vcc
	s_cbranch_execz .LBB6_3445
; %bb.3444:                             ;   in Loop: Header=BB6_49 Depth=1
	s_bcnt1_i32_b64 s90, s[90:91]
	v_mov_b32_e32 v60, s90
	ds_add_u64 v0, v[60:61]
	s_trap 2
.LBB6_3445:                             ;   in Loop: Header=BB6_49 Depth=1
	s_or_b64 exec, exec, s[88:89]
	s_trap 2
	ds_read_b64 v[0:1], v0
	s_waitcnt lgkmcnt(0)
	buffer_load_dword v2, off, s[0:3], s33 offset:76 ; 4-byte Folded Reload
	buffer_load_dword v3, off, s[0:3], s33 offset:80 ; 4-byte Folded Reload
	;; [unrolled: 1-line block ×3, first 2 shown]
	s_waitcnt vmcnt(0)
	v_add_co_u32_e32 v2, vcc, v2, v4
	v_addc_co_u32_e32 v3, vcc, 0, v3, vcc
	buffer_store_dword v2, off, s[0:3], s33 offset:76 ; 4-byte Folded Spill
	s_nop 0
	buffer_store_dword v3, off, s[0:3], s33 offset:80 ; 4-byte Folded Spill
	v_cmp_lt_u64_e32 vcc, v[0:1], v[2:3]
	s_and_saveexec_b64 s[88:89], vcc
	s_cbranch_execz .LBB6_3454
; %bb.3446:                             ;   in Loop: Header=BB6_49 Depth=1
	s_mov_b32 s36, 0
	s_mov_b64 s[90:91], 0
                                        ; implicit-def: $sgpr92_sgpr93
                                        ; implicit-def: $sgpr94_sgpr95
	s_branch .LBB6_3448
.LBB6_3447:                             ;   in Loop: Header=BB6_3448 Depth=2
	s_or_b64 exec, exec, s[34:35]
	s_and_b64 vcc, exec, vcc
	s_or_b64 s[90:91], vcc, s[90:91]
	s_andn2_b64 s[92:93], s[92:93], exec
	s_and_b64 vcc, s[94:95], exec
	s_or_b64 s[92:93], s[92:93], vcc
	s_andn2_b64 exec, exec, s[90:91]
	s_cbranch_execz .LBB6_3452
.LBB6_3448:                             ;   Parent Loop BB6_49 Depth=1
                                        ; =>  This Inner Loop Header: Depth=2
	s_add_i32 s36, s36, 1
	s_cmpk_lg_i32 s36, 0x2710
	s_cselect_b64 s[30:31], -1, 0
	s_and_b64 vcc, exec, s[30:31]
	s_cbranch_vccz .LBB6_3450
; %bb.3449:                             ;   in Loop: Header=BB6_3448 Depth=2
	s_mov_b64 vcc, -1
	s_or_b64 s[94:95], s[94:95], exec
	s_and_saveexec_b64 s[34:35], s[30:31]
	s_cbranch_execz .LBB6_3447
	s_branch .LBB6_3451
.LBB6_3450:                             ;   in Loop: Header=BB6_3448 Depth=2
	s_trap 2
	ds_read_b64 v[0:1], v0
	s_andn2_b64 s[30:31], s[30:31], exec
	s_mov_b32 s36, 0
	s_waitcnt vmcnt(0) lgkmcnt(0)
	flat_load_dword v0, v[0:1] glc
	s_waitcnt vmcnt(0) lgkmcnt(0)
	buffer_wbinvl1_vol
	v_cmp_eq_u32_e32 vcc, 0, v0
	s_and_b64 vcc, vcc, exec
	s_or_b64 s[30:31], s[30:31], vcc
	s_mov_b64 vcc, -1
	s_or_b64 s[94:95], s[94:95], exec
	s_and_saveexec_b64 s[34:35], s[30:31]
	s_cbranch_execz .LBB6_3447
.LBB6_3451:                             ;   in Loop: Header=BB6_3448 Depth=2
	s_sleep 1
	s_trap 2
	ds_read_b64 v[0:1], v0
	s_waitcnt lgkmcnt(0)
	buffer_load_dword v2, off, s[0:3], s33 offset:76 ; 4-byte Folded Reload
	buffer_load_dword v3, off, s[0:3], s33 offset:80 ; 4-byte Folded Reload
	s_andn2_b64 s[94:95], s[94:95], exec
	s_waitcnt vmcnt(0)
	v_cmp_ge_u64_e32 vcc, v[0:1], v[2:3]
	s_orn2_b64 vcc, vcc, exec
	s_branch .LBB6_3447
.LBB6_3452:                             ;   in Loop: Header=BB6_49 Depth=1
	s_or_b64 exec, exec, s[90:91]
	s_and_saveexec_b64 s[90:91], s[92:93]
	s_xor_b64 s[90:91], exec, s[90:91]
	s_cbranch_execz .LBB6_3454
; %bb.3453:                             ;   in Loop: Header=BB6_49 Depth=1
	ds_write_b32 v0, v54
	s_trap 2
.LBB6_3454:                             ;   in Loop: Header=BB6_49 Depth=1
	s_or_b64 exec, exec, s[88:89]
	;;#ASMSTART
	s_wakeup
	;;#ASMEND
.LBB6_3455:                             ;   in Loop: Header=BB6_49 Depth=1
	s_or_b64 exec, exec, s[78:79]
.LBB6_3456:                             ;   in Loop: Header=BB6_49 Depth=1
	s_andn2_saveexec_b64 s[76:77], s[76:77]
	s_cbranch_execz .LBB6_3458
; %bb.3457:                             ;   in Loop: Header=BB6_49 Depth=1
	s_waitcnt vmcnt(0) lgkmcnt(0)
	buffer_wbinvl1_vol
	s_barrier
.LBB6_3458:                             ;   in Loop: Header=BB6_49 Depth=1
	s_or_b64 exec, exec, s[76:77]
.LBB6_3459:                             ;   in Loop: Header=BB6_49 Depth=1
	s_or_b64 exec, exec, s[22:23]
	v_and_b32_e32 v0, 16, v16
	v_cmp_ne_u32_e32 vcc, 0, v0
	s_and_b64 s[22:23], vcc, s[20:21]
	s_and_saveexec_b64 s[20:21], s[22:23]
	s_cbranch_execz .LBB6_3461
; %bb.3460:                             ;   in Loop: Header=BB6_49 Depth=1
	s_waitcnt vmcnt(0) lgkmcnt(0)
	buffer_wbinvl1_vol
.LBB6_3461:                             ;   in Loop: Header=BB6_49 Depth=1
	s_or_b64 exec, exec, s[20:21]
	v_cmp_ne_u32_e32 vcc, 0, v0
	s_xor_b64 s[20:21], s[18:19], -1
	s_and_b64 s[22:23], vcc, s[20:21]
	s_and_saveexec_b64 s[20:21], s[22:23]
	s_cbranch_execz .LBB6_3463
; %bb.3462:                             ;   in Loop: Header=BB6_49 Depth=1
	flat_store_dword v[36:37], v54
.LBB6_3463:                             ;   in Loop: Header=BB6_49 Depth=1
	s_or_b64 exec, exec, s[20:21]
	v_and_b32_e32 v0, 48, v16
	v_cmp_ne_u32_e32 vcc, 0, v0
	s_and_saveexec_b64 s[20:21], vcc
	s_cbranch_execz .LBB6_3465
; %bb.3464:                             ;   in Loop: Header=BB6_49 Depth=1
	buffer_load_dword v0, off, s[0:3], s33 offset:60 ; 4-byte Folded Reload
	buffer_load_dword v1, off, s[0:3], s33 offset:64 ; 4-byte Folded Reload
	v_add_co_u32_e32 v23, vcc, 1, v23
	v_addc_co_u32_e32 v24, vcc, 0, v24, vcc
	s_waitcnt vmcnt(0)
	flat_store_dwordx2 v[0:1], v[23:24]
.LBB6_3465:                             ;   in Loop: Header=BB6_49 Depth=1
	s_or_b64 exec, exec, s[20:21]
	v_mov_b32_e32 v0, v49
.LBB6_3466:                             ;   in Loop: Header=BB6_49 Depth=1
	s_or_b64 exec, exec, s[74:75]
	s_and_saveexec_b64 s[22:23], s[72:73]
	s_cbranch_execz .LBB6_48
; %bb.3467:                             ;   in Loop: Header=BB6_49 Depth=1
	v_sub_u32_e32 v0, v43, v0
	v_and_b32_e32 v1, 12, v16
	v_min_i32_e32 v0, v49, v0
	v_cmp_ne_u32_e32 vcc, 0, v1
	s_and_saveexec_b64 s[72:73], vcc
	s_cbranch_execz .LBB6_3491
; %bb.3468:                             ;   in Loop: Header=BB6_49 Depth=1
	buffer_load_dword v3, off, s[0:3], s33 offset:68 ; 4-byte Folded Reload
	buffer_load_dword v4, off, s[0:3], s33 offset:72 ; 4-byte Folded Reload
	v_and_b32_e32 v2, 8, v16
	s_waitcnt vmcnt(0)
	v_add_co_u32_e32 v3, vcc, v3, v2
	v_addc_co_u32_e32 v4, vcc, 0, v4, vcc
	s_waitcnt lgkmcnt(0)
	v_add_co_u32_e32 v10, vcc, 1, v23
	v_addc_co_u32_e32 v11, vcc, 0, v24, vcc
	v_cmp_lt_u64_e32 vcc, v[3:4], v[10:11]
	s_and_saveexec_b64 s[74:75], vcc
	s_cbranch_execz .LBB6_3480
; %bb.3469:                             ;   in Loop: Header=BB6_49 Depth=1
	v_and_b32_e32 v1, 64, v16
	s_mov_b32 s38, 0
	v_cmp_eq_u32_e32 vcc, 0, v1
	s_mov_b64 s[76:77], 0
                                        ; implicit-def: $sgpr78_sgpr79
                                        ; implicit-def: $sgpr88_sgpr89
                                        ; implicit-def: $sgpr90_sgpr91
	s_branch .LBB6_3473
.LBB6_3470:                             ;   in Loop: Header=BB6_3473 Depth=2
	buffer_load_dword v3, off, s[0:3], s33 offset:68 ; 4-byte Folded Reload
	buffer_load_dword v4, off, s[0:3], s33 offset:72 ; 4-byte Folded Reload
	s_or_b64 s[30:31], s[30:31], exec
	s_waitcnt vmcnt(1)
	v_add_co_u32_e64 v3, s[20:21], v3, v2
	s_waitcnt vmcnt(0)
	v_addc_co_u32_e64 v4, s[20:21], 0, v4, s[20:21]
	v_cmp_ge_u64_e64 s[20:21], v[3:4], v[10:11]
	s_orn2_b64 s[94:95], s[20:21], exec
.LBB6_3471:                             ;   in Loop: Header=BB6_3473 Depth=2
	s_or_b64 exec, exec, s[36:37]
	s_andn2_b64 s[20:21], s[90:91], exec
	s_and_b64 s[90:91], s[30:31], exec
	s_or_b64 s[90:91], s[20:21], s[90:91]
	s_andn2_b64 s[20:21], s[88:89], exec
	s_and_b64 s[88:89], s[94:95], exec
	s_or_b64 s[88:89], s[20:21], s[88:89]
.LBB6_3472:                             ;   in Loop: Header=BB6_3473 Depth=2
	s_or_b64 exec, exec, s[92:93]
	s_and_b64 s[20:21], exec, s[88:89]
	s_or_b64 s[76:77], s[20:21], s[76:77]
	s_andn2_b64 s[20:21], s[78:79], exec
	s_and_b64 s[78:79], s[90:91], exec
	s_or_b64 s[78:79], s[20:21], s[78:79]
	s_andn2_b64 exec, exec, s[76:77]
	s_cbranch_execz .LBB6_3477
.LBB6_3473:                             ;   Parent Loop BB6_49 Depth=1
                                        ; =>  This Inner Loop Header: Depth=2
	s_sleep 1
	buffer_load_dword v3, off, s[0:3], s33 offset:60 ; 4-byte Folded Reload
	buffer_load_dword v4, off, s[0:3], s33 offset:64 ; 4-byte Folded Reload
	s_or_b64 s[90:91], s[90:91], exec
	s_or_b64 s[88:89], s[88:89], exec
                                        ; implicit-def: $vgpr1
	s_waitcnt vmcnt(0)
	flat_load_dwordx2 v[3:4], v[3:4] glc
	s_waitcnt vmcnt(0) lgkmcnt(0)
	buffer_store_dword v3, off, s[0:3], s33 offset:68 ; 4-byte Folded Spill
	s_nop 0
	buffer_store_dword v4, off, s[0:3], s33 offset:72 ; 4-byte Folded Spill
	s_and_saveexec_b64 s[92:93], vcc
	s_cbranch_execz .LBB6_3472
; %bb.3474:                             ;   in Loop: Header=BB6_3473 Depth=2
	s_cmpk_lt_i32 s38, 0x270f
	s_cselect_b64 s[34:35], -1, 0
	s_cmpk_gt_i32 s38, 0x270e
	s_mov_b64 s[94:95], -1
	s_cbranch_scc0 .LBB6_3476
; %bb.3475:                             ;   in Loop: Header=BB6_3473 Depth=2
	s_trap 2
	ds_read_b64 v[3:4], v0
	s_andn2_b64 s[34:35], s[34:35], exec
	s_mov_b32 s38, 0
	s_mov_b64 s[30:31], 0
	s_waitcnt vmcnt(0) lgkmcnt(0)
	flat_load_dword v1, v[3:4] glc
	s_waitcnt vmcnt(0) lgkmcnt(0)
	buffer_wbinvl1_vol
	v_cmp_eq_u32_e64 s[20:21], 0, v1
	s_and_b64 s[20:21], s[20:21], exec
	s_or_b64 s[34:35], s[34:35], s[20:21]
	s_and_saveexec_b64 s[36:37], s[34:35]
	s_cbranch_execz .LBB6_3471
	s_branch .LBB6_3470
.LBB6_3476:                             ;   in Loop: Header=BB6_3473 Depth=2
	s_add_i32 s38, s38, 1
	s_mov_b64 s[30:31], -1
                                        ; implicit-def: $vgpr1
	s_and_saveexec_b64 s[36:37], s[34:35]
	s_cbranch_execz .LBB6_3471
	s_branch .LBB6_3470
.LBB6_3477:                             ;   in Loop: Header=BB6_49 Depth=1
	s_or_b64 exec, exec, s[76:77]
	s_xor_b64 s[20:21], s[78:79], -1
	s_and_saveexec_b64 s[76:77], s[20:21]
	s_xor_b64 s[20:21], exec, s[76:77]
	s_cbranch_execz .LBB6_3479
; %bb.3478:                             ;   in Loop: Header=BB6_49 Depth=1
	v_or_b32_e32 v16, 64, v16
	ds_write_b32 v0, v1
	s_trap 2
.LBB6_3479:                             ;   in Loop: Header=BB6_49 Depth=1
	s_or_b64 exec, exec, s[20:21]
.LBB6_3480:                             ;   in Loop: Header=BB6_49 Depth=1
	s_or_b64 exec, exec, s[74:75]
	v_and_b32_e32 v1, 0x108, v16
	v_cmp_ne_u32_e32 vcc, s51, v1
	v_and_b32_e32 v3, 7, v23
	;;#ASMSTART
	s_wakeup
	;;#ASMEND
	s_and_saveexec_b64 s[20:21], vcc
	s_xor_b64 s[20:21], exec, s[20:21]
	s_andn2_saveexec_b64 s[20:21], s[20:21]
	s_cbranch_execz .LBB6_3482
; %bb.3481:                             ;   in Loop: Header=BB6_49 Depth=1
	v_mad_u64_u32 v[4:5], s[74:75], v3, 24, v[21:22]
	v_ashrrev_i32_e32 v1, 31, v0
	flat_store_dwordx2 v[4:5], v[0:1] offset:8
.LBB6_3482:                             ;   in Loop: Header=BB6_49 Depth=1
	s_or_b64 exec, exec, s[20:21]
	v_and_b32_e32 v1, 0x100, v16
	v_cmp_ne_u32_e32 vcc, 0, v1
	s_mov_b64 s[20:21], -1
                                        ; implicit-def: $vgpr8_vgpr9
	s_and_saveexec_b64 s[74:75], vcc
	s_cbranch_execz .LBB6_3486
; %bb.3483:                             ;   in Loop: Header=BB6_49 Depth=1
	v_mad_u64_u32 v[12:13], s[20:21], v3, 24, v[21:22]
                                        ; implicit-def: $vgpr8_vgpr9
	v_mov_b32_e32 v1, v13
	v_mad_u64_u32 v[4:5], s[20:21], v61, 24, v[1:2]
	v_mov_b32_e32 v13, v4
	flat_load_dword v1, v[12:13]
	s_waitcnt vmcnt(0) lgkmcnt(0)
	v_cmp_ne_u32_e32 vcc, 1, v1
	v_cmp_eq_u32_e64 s[20:21], 1, v1
	s_and_saveexec_b64 s[76:77], s[20:21]
	s_cbranch_execz .LBB6_3485
; %bb.3484:                             ;   in Loop: Header=BB6_49 Depth=1
	flat_load_dword v8, v[12:13] offset:4 glc
	s_waitcnt vmcnt(0) lgkmcnt(0)
	v_ashrrev_i32_e32 v9, 31, v8
.LBB6_3485:                             ;   in Loop: Header=BB6_49 Depth=1
	s_or_b64 exec, exec, s[76:77]
	s_orn2_b64 s[20:21], vcc, exec
.LBB6_3486:                             ;   in Loop: Header=BB6_49 Depth=1
	s_or_b64 exec, exec, s[74:75]
	s_and_saveexec_b64 s[74:75], s[20:21]
	s_cbranch_execz .LBB6_3488
; %bb.3487:                             ;   in Loop: Header=BB6_49 Depth=1
	buffer_load_dword v5, off, s[0:3], s33 offset:236 ; 4-byte Folded Reload
	v_mul_lo_u32 v4, v3, v51
	s_waitcnt vmcnt(0)
	v_mul_lo_u32 v1, v61, v5
	v_mad_u64_u32 v[8:9], s[20:21], v3, v5, 0
	v_add3_u32 v9, v9, v4, v1
.LBB6_3488:                             ;   in Loop: Header=BB6_49 Depth=1
	s_or_b64 exec, exec, s[74:75]
	v_cmp_eq_u32_e32 vcc, 0, v2
	buffer_load_dword v1, off, s[0:3], s33 offset:200 ; 4-byte Folded Reload
	buffer_load_dword v2, off, s[0:3], s33 offset:204 ; 4-byte Folded Reload
	v_cndmask_b32_e32 v3, v55, v40, vcc
	v_add_u32_e32 v3, v0, v3
	s_waitcnt vmcnt(0)
	v_add_co_u32_e32 v1, vcc, v1, v8
	v_addc_co_u32_e32 v2, vcc, v2, v9, vcc
	ds_write_b64 v3, v[1:2] offset:584
	v_and_b32_e32 v1, 0x2000, v16
	v_cmp_ne_u32_e32 vcc, 0, v1
	s_and_saveexec_b64 s[20:21], vcc
	s_cbranch_execz .LBB6_3490
; %bb.3489:                             ;   in Loop: Header=BB6_49 Depth=1
	ds_read_b64 v[1:2], v0 offset:872
	s_waitcnt lgkmcnt(0)
	v_add_co_u32_e32 v1, vcc, 1, v1
	v_addc_co_u32_e32 v2, vcc, 0, v2, vcc
	ds_write_b64 v0, v[1:2] offset:872
.LBB6_3490:                             ;   in Loop: Header=BB6_49 Depth=1
	s_or_b64 exec, exec, s[20:21]
	v_mov_b32_e32 v24, v11
	v_mov_b32_e32 v23, v10
.LBB6_3491:                             ;   in Loop: Header=BB6_49 Depth=1
	s_or_b64 exec, exec, s[72:73]
	s_and_saveexec_b64 s[20:21], s[10:11]
	s_cbranch_execz .LBB6_3510
; %bb.3492:                             ;   in Loop: Header=BB6_49 Depth=1
	s_and_saveexec_b64 s[72:73], s[42:43]
	s_xor_b64 s[72:73], exec, s[72:73]
	s_cbranch_execz .LBB6_3507
; %bb.3493:                             ;   in Loop: Header=BB6_49 Depth=1
	s_and_saveexec_b64 s[74:75], s[12:13]
	s_cbranch_execz .LBB6_3506
; %bb.3494:                             ;   in Loop: Header=BB6_49 Depth=1
	s_mov_b64 s[78:79], exec
	v_mbcnt_lo_u32_b32 v1, s78, 0
	v_mbcnt_hi_u32_b32 v1, s79, v1
	v_cmp_eq_u32_e32 vcc, 0, v1
	s_waitcnt vmcnt(0) lgkmcnt(0)
	buffer_wbinvl1_vol
	s_and_saveexec_b64 s[76:77], vcc
	s_cbranch_execz .LBB6_3496
; %bb.3495:                             ;   in Loop: Header=BB6_49 Depth=1
	s_bcnt1_i32_b64 s78, s[78:79]
	v_mov_b32_e32 v60, s78
	ds_add_u64 v0, v[60:61]
	s_trap 2
.LBB6_3496:                             ;   in Loop: Header=BB6_49 Depth=1
	s_or_b64 exec, exec, s[76:77]
	s_trap 2
	ds_read_b64 v[1:2], v0
	s_waitcnt lgkmcnt(0)
	buffer_load_dword v3, off, s[0:3], s33 offset:76 ; 4-byte Folded Reload
	buffer_load_dword v4, off, s[0:3], s33 offset:80 ; 4-byte Folded Reload
	;; [unrolled: 1-line block ×3, first 2 shown]
	s_waitcnt vmcnt(0)
	v_add_co_u32_e32 v3, vcc, v3, v5
	v_addc_co_u32_e32 v4, vcc, 0, v4, vcc
	buffer_store_dword v3, off, s[0:3], s33 offset:76 ; 4-byte Folded Spill
	s_nop 0
	buffer_store_dword v4, off, s[0:3], s33 offset:80 ; 4-byte Folded Spill
	v_cmp_lt_u64_e32 vcc, v[1:2], v[3:4]
	s_and_saveexec_b64 s[76:77], vcc
	s_cbranch_execz .LBB6_3505
; %bb.3497:                             ;   in Loop: Header=BB6_49 Depth=1
	s_mov_b32 s30, 0
	s_mov_b64 s[78:79], 0
                                        ; implicit-def: $sgpr88_sgpr89
                                        ; implicit-def: $sgpr90_sgpr91
	s_branch .LBB6_3499
.LBB6_3498:                             ;   in Loop: Header=BB6_3499 Depth=2
	s_or_b64 exec, exec, s[94:95]
	s_and_b64 s[92:93], exec, vcc
	s_or_b64 s[78:79], s[92:93], s[78:79]
	s_andn2_b64 s[88:89], s[88:89], exec
	s_and_b64 s[92:93], s[90:91], exec
	s_or_b64 s[88:89], s[88:89], s[92:93]
	s_andn2_b64 exec, exec, s[78:79]
	s_cbranch_execz .LBB6_3503
.LBB6_3499:                             ;   Parent Loop BB6_49 Depth=1
                                        ; =>  This Inner Loop Header: Depth=2
	s_add_i32 s30, s30, 1
	s_cmpk_lg_i32 s30, 0x2710
	s_cselect_b64 s[92:93], -1, 0
	s_and_b64 vcc, exec, s[92:93]
	s_cbranch_vccz .LBB6_3501
; %bb.3500:                             ;   in Loop: Header=BB6_3499 Depth=2
	s_mov_b64 vcc, -1
	s_or_b64 s[90:91], s[90:91], exec
	s_and_saveexec_b64 s[94:95], s[92:93]
	s_cbranch_execz .LBB6_3498
	s_branch .LBB6_3502
.LBB6_3501:                             ;   in Loop: Header=BB6_3499 Depth=2
	s_trap 2
	ds_read_b64 v[1:2], v0
	s_andn2_b64 s[92:93], s[92:93], exec
	s_mov_b32 s30, 0
	s_waitcnt vmcnt(0) lgkmcnt(0)
	flat_load_dword v1, v[1:2] glc
	s_waitcnt vmcnt(0) lgkmcnt(0)
	buffer_wbinvl1_vol
	v_cmp_eq_u32_e32 vcc, 0, v1
	s_and_b64 s[94:95], vcc, exec
	s_or_b64 s[92:93], s[92:93], s[94:95]
	s_mov_b64 vcc, -1
	s_or_b64 s[90:91], s[90:91], exec
	s_and_saveexec_b64 s[94:95], s[92:93]
	s_cbranch_execz .LBB6_3498
.LBB6_3502:                             ;   in Loop: Header=BB6_3499 Depth=2
	s_sleep 1
	s_trap 2
	ds_read_b64 v[1:2], v0
	s_waitcnt lgkmcnt(0)
	buffer_load_dword v3, off, s[0:3], s33 offset:76 ; 4-byte Folded Reload
	buffer_load_dword v4, off, s[0:3], s33 offset:80 ; 4-byte Folded Reload
	s_andn2_b64 s[90:91], s[90:91], exec
	s_waitcnt vmcnt(0)
	v_cmp_ge_u64_e32 vcc, v[1:2], v[3:4]
	s_orn2_b64 vcc, vcc, exec
	s_branch .LBB6_3498
.LBB6_3503:                             ;   in Loop: Header=BB6_49 Depth=1
	s_or_b64 exec, exec, s[78:79]
	s_and_saveexec_b64 s[78:79], s[88:89]
	s_xor_b64 s[78:79], exec, s[78:79]
	s_cbranch_execz .LBB6_3505
; %bb.3504:                             ;   in Loop: Header=BB6_49 Depth=1
	ds_write_b32 v0, v54
	s_trap 2
.LBB6_3505:                             ;   in Loop: Header=BB6_49 Depth=1
	s_or_b64 exec, exec, s[76:77]
	;;#ASMSTART
	s_wakeup
	;;#ASMEND
.LBB6_3506:                             ;   in Loop: Header=BB6_49 Depth=1
	s_or_b64 exec, exec, s[74:75]
.LBB6_3507:                             ;   in Loop: Header=BB6_49 Depth=1
	s_andn2_saveexec_b64 s[72:73], s[72:73]
	s_cbranch_execz .LBB6_3509
; %bb.3508:                             ;   in Loop: Header=BB6_49 Depth=1
	s_waitcnt vmcnt(0) lgkmcnt(0)
	buffer_wbinvl1_vol
	s_barrier
.LBB6_3509:                             ;   in Loop: Header=BB6_49 Depth=1
	s_or_b64 exec, exec, s[72:73]
.LBB6_3510:                             ;   in Loop: Header=BB6_49 Depth=1
	s_or_b64 exec, exec, s[20:21]
	s_trap 2
	ds_read_b32 v1, v0
	v_cmp_lt_i32_e32 vcc, 0, v0
	v_and_b32_e32 v0, 16, v16
	s_waitcnt lgkmcnt(0)
	v_readfirstlane_b32 s20, v1
	s_cmp_eq_u32 s20, 0
	s_cselect_b64 s[20:21], -1, 0
	s_and_b64 s[20:21], vcc, s[20:21]
	v_cmp_ne_u32_e32 vcc, 0, v0
	s_and_b64 s[72:73], vcc, s[20:21]
	s_and_saveexec_b64 s[20:21], s[72:73]
	s_cbranch_execz .LBB6_3512
; %bb.3511:                             ;   in Loop: Header=BB6_49 Depth=1
	s_waitcnt vmcnt(0)
	buffer_wbinvl1_vol
.LBB6_3512:                             ;   in Loop: Header=BB6_49 Depth=1
	s_or_b64 exec, exec, s[20:21]
	v_cmp_ne_u32_e32 vcc, 0, v0
	s_xor_b64 s[20:21], s[18:19], -1
	s_and_b64 s[72:73], vcc, s[20:21]
	s_and_saveexec_b64 s[20:21], s[72:73]
	s_cbranch_execz .LBB6_3514
; %bb.3513:                             ;   in Loop: Header=BB6_49 Depth=1
	flat_store_dword v[36:37], v54
.LBB6_3514:                             ;   in Loop: Header=BB6_49 Depth=1
	s_or_b64 exec, exec, s[20:21]
	v_and_b32_e32 v0, 48, v16
	v_cmp_ne_u32_e32 vcc, 0, v0
	s_and_saveexec_b64 s[20:21], vcc
	s_cbranch_execz .LBB6_47
; %bb.3515:                             ;   in Loop: Header=BB6_49 Depth=1
	buffer_load_dword v0, off, s[0:3], s33 offset:60 ; 4-byte Folded Reload
	buffer_load_dword v1, off, s[0:3], s33 offset:64 ; 4-byte Folded Reload
	v_add_co_u32_e32 v23, vcc, 1, v23
	v_addc_co_u32_e32 v24, vcc, 0, v24, vcc
	s_waitcnt vmcnt(0)
	flat_store_dwordx2 v[0:1], v[23:24]
	s_branch .LBB6_47
.LBB6_3516:
	s_or_b64 exec, exec, s[44:45]
	buffer_load_dword v45, off, s[0:3], s33 offset:276 ; 4-byte Folded Reload
	buffer_load_dword v38, off, s[0:3], s33 offset:280 ; 4-byte Folded Reload
	;; [unrolled: 1-line block ×3, first 2 shown]
.LBB6_3517:
	s_or_b64 exec, exec, s[40:41]
                                        ; implicit-def: $vgpr0_vgpr1
                                        ; kill: killed $vgpr0_vgpr1
                                        ; implicit-def: $vgpr14_vgpr15
                                        ; implicit-def: $vgpr48
                                        ; implicit-def: $vgpr6
                                        ; implicit-def: $vgpr49
                                        ; implicit-def: $vgpr0
                                        ; kill: killed $vgpr0
                                        ; implicit-def: $vgpr0_vgpr1
                                        ; kill: killed $vgpr0_vgpr1
                                        ; implicit-def: $vgpr0_vgpr1
                                        ; kill: killed $vgpr0_vgpr1
	;; [unrolled: 2-line block ×3, first 2 shown]
.LBB6_3518:
	s_andn2_saveexec_b64 s[22:23], s[28:29]
	s_cbranch_execz .LBB6_6984
; %bb.3519:
	v_mov_b32_e32 v0, 0
	v_cmp_ne_u64_e32 vcc, 0, v[14:15]
	v_mov_b32_e32 v1, 0
	buffer_store_dword v0, off, s[0:3], s33 offset:76 ; 4-byte Folded Spill
	s_nop 0
	buffer_store_dword v1, off, s[0:3], s33 offset:80 ; 4-byte Folded Spill
	s_and_saveexec_b64 s[28:29], vcc
	s_cbranch_execz .LBB6_6983
; %bb.3520:
	s_waitcnt vmcnt(0)
	v_and_b32_e32 v0, 63, v38
	v_cmp_eq_u32_e64 s[12:13], 0, v0
	v_ashrrev_i32_e32 v0, 31, v48
	v_lshrrev_b32_e32 v0, 26, v0
	v_add_u32_e32 v0, v48, v0
	v_ashrrev_i32_e32 v51, 6, v0
	v_and_b32_e32 v0, 0xffffffc0, v0
	v_sub_u32_e32 v2, v48, v0
	v_lshlrev_b32_e32 v0, 12, v51
	v_lshl_add_u32 v0, v2, 4, v0
	s_trap 2
	v_lshrrev_b32_e32 v1, 6, v45
	buffer_store_dword v0, off, s[0:3], s33 offset:356 ; 4-byte Folded Spill
	v_ashrrev_i32_e32 v0, 31, v0
	s_ashr_i32 s6, s48, 31
	buffer_store_dword v0, off, s[0:3], s33 offset:364 ; 4-byte Folded Spill
	v_lshlrev_b32_e32 v0, 12, v1
	s_lshr_b32 s6, s6, 24
	buffer_store_dword v0, off, s[0:3], s33 offset:232 ; 4-byte Folded Spill
	v_lshlrev_b32_e32 v0, 11, v1
	s_add_i32 s6, s48, s6
	v_cmp_eq_u32_e32 vcc, 64, v45
	v_lshlrev_b32_e32 v52, 10, v1
	buffer_store_dword v1, off, s[0:3], s33 offset:84 ; 4-byte Folded Spill
	buffer_store_dword v0, off, s[0:3], s33 offset:216 ; 4-byte Folded Spill
	v_mov_b32_e32 v54, 0
	v_mov_b32_e32 v0, 0
	s_mov_b32 s60, -1
	s_ashr_i32 s38, s6, 8
	v_cmp_ge_i32_e64 s[6:7], v48, v45
	v_cmp_ne_u32_e64 s[10:11], 64, v45
	v_cmp_ne_u32_sdwa s[40:41], v45, v39 src0_sel:DWORD src1_sel:WORD_0
	v_mov_b32_e32 v3, 0
	s_movk_i32 s39, 0xffc0
	v_cmp_le_i32_e64 s[14:15], v2, v6
	v_cmp_gt_i32_e64 s[16:17], 1, v2
	v_and_b32_e32 v53, 0x3fc0, v45
	s_mov_b64 s[42:43], 0
	v_mov_b32_e32 v55, 0
	v_mov_b32_e32 v1, 0
	s_xor_b64 s[44:45], vcc, -1
	s_movk_i32 s49, 0x80
	s_movk_i32 s50, 0x7f
	s_mov_b64 s[46:47], 0x7f800000
	s_mov_b64 s[56:57], 0x43e00001
	s_movk_i32 s51, 0x7a
	s_mov_b64 s[58:59], 0xffffff
	s_mov_b32 s61, 0xffffff
	s_mov_b32 s52, 0x3ffffc00
	v_bfrev_b32_e32 v57, 60
	v_mov_b32_e32 v40, 0x7f800001
	v_bfrev_b32_e32 v41, 1
	buffer_store_dword v2, off, s[0:3], s33 offset:348 ; 4-byte Folded Spill
	buffer_store_dword v0, off, s[0:3], s33 offset:76 ; 4-byte Folded Spill
	s_nop 0
	buffer_store_dword v1, off, s[0:3], s33 offset:80 ; 4-byte Folded Spill
	buffer_store_dword v48, off, s[0:3], s33 offset:240 ; 4-byte Folded Spill
	;; [unrolled: 1-line block ×3, first 2 shown]
	s_nop 0
	buffer_store_dword v50, off, s[0:3], s33 offset:212 ; 4-byte Folded Spill
	buffer_store_dword v51, off, s[0:3], s33 offset:312 ; 4-byte Folded Spill
	;; [unrolled: 1-line block ×8, first 2 shown]
	s_nop 0
	buffer_store_dword v15, off, s[0:3], s33 offset:160 ; 4-byte Folded Spill
	buffer_store_dword v16, off, s[0:3], s33 offset:164 ; 4-byte Folded Spill
	;; [unrolled: 1-line block ×3, first 2 shown]
	s_branch .LBB6_3523
.LBB6_3521:                             ;   in Loop: Header=BB6_3523 Depth=1
	s_or_b64 exec, exec, s[18:19]
.LBB6_3522:                             ;   in Loop: Header=BB6_3523 Depth=1
	s_or_b64 exec, exec, s[20:21]
	v_add_co_u32_e32 v54, vcc, v54, v49
	v_addc_co_u32_e32 v55, vcc, 0, v55, vcc
	v_cmp_ge_u64_e32 vcc, v[54:55], v[14:15]
	s_or_b64 s[42:43], vcc, s[42:43]
	s_andn2_b64 exec, exec, s[42:43]
	s_cbranch_execz .LBB6_6982
.LBB6_3523:                             ; =>This Loop Header: Depth=1
                                        ;     Child Loop BB6_3532 Depth 2
                                        ;     Child Loop BB6_3556 Depth 2
                                        ;     Child Loop BB6_3575 Depth 2
                                        ;     Child Loop BB6_3598 Depth 2
                                        ;     Child Loop BB6_5395 Depth 2
                                        ;     Child Loop BB6_5851 Depth 2
                                        ;     Child Loop BB6_6880 Depth 2
                                        ;     Child Loop BB6_6920 Depth 2
                                        ;     Child Loop BB6_6943 Depth 2
                                        ;     Child Loop BB6_6967 Depth 2
	v_sub_co_u32_e32 v0, vcc, v14, v54
	v_subb_co_u32_e32 v1, vcc, v15, v55, vcc
	v_cmp_lt_u64_e32 vcc, v[49:50], v[0:1]
	v_mov_b32_e32 v4, v3
	v_cndmask_b32_e64 v43, v1, 0, vcc
	v_cndmask_b32_e32 v42, v0, v49, vcc
	v_cmp_eq_u64_e32 vcc, 0, v[42:43]
	v_add_u32_e32 v0, 15, v42
	v_and_b32_e32 v0, 0x7ffffff0, v0
	s_or_b64 s[62:63], s[6:7], vcc
	v_max_i32_e32 v43, s38, v0
	s_xor_b64 s[18:19], s[62:63], -1
	s_and_saveexec_b64 s[72:73], s[18:19]
	s_cbranch_execz .LBB6_6936
; %bb.3524:                             ;   in Loop: Header=BB6_3523 Depth=1
	s_and_saveexec_b64 s[18:19], s[4:5]
	s_cbranch_execz .LBB6_3526
; %bb.3525:                             ;   in Loop: Header=BB6_3523 Depth=1
	s_trap 2
	ds_read2_b64 v[4:7], v0 offset1:1
	buffer_load_dword v0, off, s[0:3], s33 offset:224 ; 4-byte Folded Reload
	buffer_load_dword v1, off, s[0:3], s33 offset:228 ; 4-byte Folded Reload
	s_waitcnt vmcnt(0)
	v_add_co_u32_e32 v2, vcc, v54, v0
	v_addc_co_u32_e32 v8, vcc, v55, v1, vcc
	ds_read_b64 v[0:1], v0
	s_waitcnt lgkmcnt(0)
	v_add_co_u32_e32 v4, vcc, v4, v2
	v_addc_co_u32_e32 v5, vcc, v5, v8, vcc
	ds_write_b64 v0, v[4:5]
	v_add_co_u32_e32 v4, vcc, v6, v2
	v_addc_co_u32_e32 v5, vcc, v7, v8, vcc
	v_add_co_u32_e32 v2, vcc, v0, v2
	ds_write_b64 v0, v[4:5]
	v_addc_co_u32_e32 v4, vcc, v1, v8, vcc
	v_cmp_ne_u64_e32 vcc, 0, v[0:1]
	v_cndmask_b32_e32 v1, 0, v4, vcc
	v_cndmask_b32_e32 v0, 0, v2, vcc
	ds_write_b64 v0, v[0:1]
.LBB6_3526:                             ;   in Loop: Header=BB6_3523 Depth=1
	s_or_b64 exec, exec, s[18:19]
	v_and_b32_e32 v0, 4, v16
	v_cmp_ne_u32_e32 vcc, 0, v0
	s_and_saveexec_b64 s[20:21], vcc
	s_cbranch_execz .LBB6_3548
; %bb.3527:                             ;   in Loop: Header=BB6_3523 Depth=1
	buffer_load_dword v4, off, s[0:3], s33 offset:68 ; 4-byte Folded Reload
	buffer_load_dword v5, off, s[0:3], s33 offset:72 ; 4-byte Folded Reload
	s_waitcnt lgkmcnt(0)
	v_add_co_u32_e32 v0, vcc, 1, v23
	v_addc_co_u32_e32 v1, vcc, 0, v24, vcc
	s_waitcnt vmcnt(0)
	v_cmp_lt_u64_e32 vcc, v[4:5], v[0:1]
	s_and_saveexec_b64 s[74:75], vcc
	s_cbranch_execz .LBB6_3539
; %bb.3528:                             ;   in Loop: Header=BB6_3523 Depth=1
	v_and_b32_e32 v2, 64, v16
	s_mov_b32 s53, 0
	v_cmp_eq_u32_e32 vcc, 0, v2
	s_mov_b64 s[76:77], 0
                                        ; implicit-def: $sgpr78_sgpr79
                                        ; implicit-def: $sgpr88_sgpr89
                                        ; implicit-def: $sgpr90_sgpr91
	s_branch .LBB6_3532
.LBB6_3529:                             ;   in Loop: Header=BB6_3532 Depth=2
	buffer_load_dword v4, off, s[0:3], s33 offset:68 ; 4-byte Folded Reload
	buffer_load_dword v5, off, s[0:3], s33 offset:72 ; 4-byte Folded Reload
	s_or_b64 s[30:31], s[30:31], exec
	s_waitcnt vmcnt(0)
	v_cmp_ge_u64_e64 s[18:19], v[4:5], v[0:1]
	s_orn2_b64 s[94:95], s[18:19], exec
.LBB6_3530:                             ;   in Loop: Header=BB6_3532 Depth=2
	s_or_b64 exec, exec, s[36:37]
	s_andn2_b64 s[18:19], s[90:91], exec
	s_and_b64 s[90:91], s[30:31], exec
	s_or_b64 s[90:91], s[18:19], s[90:91]
	s_andn2_b64 s[18:19], s[88:89], exec
	s_and_b64 s[88:89], s[94:95], exec
	s_or_b64 s[88:89], s[18:19], s[88:89]
.LBB6_3531:                             ;   in Loop: Header=BB6_3532 Depth=2
	s_or_b64 exec, exec, s[92:93]
	s_and_b64 s[18:19], exec, s[88:89]
	s_or_b64 s[76:77], s[18:19], s[76:77]
	s_andn2_b64 s[18:19], s[78:79], exec
	s_and_b64 s[78:79], s[90:91], exec
	s_or_b64 s[78:79], s[18:19], s[78:79]
	s_andn2_b64 exec, exec, s[76:77]
	s_cbranch_execz .LBB6_3536
.LBB6_3532:                             ;   Parent Loop BB6_3523 Depth=1
                                        ; =>  This Inner Loop Header: Depth=2
	s_sleep 1
	buffer_load_dword v4, off, s[0:3], s33 offset:60 ; 4-byte Folded Reload
	buffer_load_dword v5, off, s[0:3], s33 offset:64 ; 4-byte Folded Reload
	s_or_b64 s[90:91], s[90:91], exec
	s_or_b64 s[88:89], s[88:89], exec
                                        ; implicit-def: $vgpr2
	s_waitcnt vmcnt(0)
	flat_load_dwordx2 v[4:5], v[4:5] glc
	s_waitcnt vmcnt(0) lgkmcnt(0)
	buffer_store_dword v4, off, s[0:3], s33 offset:68 ; 4-byte Folded Spill
	s_nop 0
	buffer_store_dword v5, off, s[0:3], s33 offset:72 ; 4-byte Folded Spill
	s_and_saveexec_b64 s[92:93], vcc
	s_cbranch_execz .LBB6_3531
; %bb.3533:                             ;   in Loop: Header=BB6_3532 Depth=2
	s_cmpk_lt_i32 s53, 0x270f
	s_cselect_b64 s[34:35], -1, 0
	s_cmpk_gt_i32 s53, 0x270e
	s_mov_b64 s[94:95], -1
	s_cbranch_scc0 .LBB6_3535
; %bb.3534:                             ;   in Loop: Header=BB6_3532 Depth=2
	s_trap 2
	ds_read_b64 v[4:5], v0
	s_andn2_b64 s[34:35], s[34:35], exec
	s_mov_b32 s53, 0
	s_mov_b64 s[30:31], 0
	s_waitcnt vmcnt(0) lgkmcnt(0)
	flat_load_dword v2, v[4:5] glc
	s_waitcnt vmcnt(0) lgkmcnt(0)
	buffer_wbinvl1_vol
	v_cmp_eq_u32_e64 s[18:19], 0, v2
	s_and_b64 s[18:19], s[18:19], exec
	s_or_b64 s[34:35], s[34:35], s[18:19]
	s_and_saveexec_b64 s[36:37], s[34:35]
	s_cbranch_execz .LBB6_3530
	s_branch .LBB6_3529
.LBB6_3535:                             ;   in Loop: Header=BB6_3532 Depth=2
	s_add_i32 s53, s53, 1
	s_mov_b64 s[30:31], -1
                                        ; implicit-def: $vgpr2
	s_and_saveexec_b64 s[36:37], s[34:35]
	s_cbranch_execz .LBB6_3530
	s_branch .LBB6_3529
.LBB6_3536:                             ;   in Loop: Header=BB6_3523 Depth=1
	s_or_b64 exec, exec, s[76:77]
	s_xor_b64 s[18:19], s[78:79], -1
	s_and_saveexec_b64 s[76:77], s[18:19]
	s_xor_b64 s[18:19], exec, s[76:77]
	s_cbranch_execz .LBB6_3538
; %bb.3537:                             ;   in Loop: Header=BB6_3523 Depth=1
	v_or_b32_e32 v16, 64, v16
	ds_write_b32 v0, v2
	s_trap 2
.LBB6_3538:                             ;   in Loop: Header=BB6_3523 Depth=1
	s_or_b64 exec, exec, s[18:19]
.LBB6_3539:                             ;   in Loop: Header=BB6_3523 Depth=1
	s_or_b64 exec, exec, s[74:75]
	v_and_b32_e32 v2, 0x100, v16
	v_cmp_ne_u32_e32 vcc, 0, v2
	v_and_b32_e32 v2, 7, v23
	s_mov_b64 s[18:19], -1
	;;#ASMSTART
	s_wakeup
	;;#ASMEND
                                        ; implicit-def: $vgpr8_vgpr9
	s_and_saveexec_b64 s[74:75], vcc
	s_cbranch_execz .LBB6_3543
; %bb.3540:                             ;   in Loop: Header=BB6_3523 Depth=1
	v_mad_u64_u32 v[10:11], s[18:19], v2, 24, v[21:22]
                                        ; implicit-def: $vgpr8_vgpr9
	flat_load_dword v4, v[10:11]
	s_waitcnt vmcnt(0) lgkmcnt(0)
	v_cmp_ne_u32_e32 vcc, 1, v4
	v_cmp_eq_u32_e64 s[18:19], 1, v4
	s_and_saveexec_b64 s[76:77], s[18:19]
	s_cbranch_execz .LBB6_3542
; %bb.3541:                             ;   in Loop: Header=BB6_3523 Depth=1
	flat_load_dword v8, v[10:11] offset:4 glc
	s_waitcnt vmcnt(0) lgkmcnt(0)
	v_ashrrev_i32_e32 v9, 31, v8
.LBB6_3542:                             ;   in Loop: Header=BB6_3523 Depth=1
	s_or_b64 exec, exec, s[76:77]
	s_orn2_b64 s[18:19], vcc, exec
.LBB6_3543:                             ;   in Loop: Header=BB6_3523 Depth=1
	s_or_b64 exec, exec, s[74:75]
	s_and_saveexec_b64 s[74:75], s[18:19]
	s_cbranch_execz .LBB6_3545
; %bb.3544:                             ;   in Loop: Header=BB6_3523 Depth=1
	buffer_load_dword v4, off, s[0:3], s33 offset:236 ; 4-byte Folded Reload
	s_waitcnt vmcnt(0)
	v_mad_i64_i32 v[8:9], s[18:19], v2, v4, 0
.LBB6_3545:                             ;   in Loop: Header=BB6_3523 Depth=1
	s_or_b64 exec, exec, s[74:75]
	buffer_load_dword v4, off, s[0:3], s33 offset:200 ; 4-byte Folded Reload
	buffer_load_dword v5, off, s[0:3], s33 offset:204 ; 4-byte Folded Reload
	v_and_b32_e32 v2, 0x2000, v16
	s_waitcnt vmcnt(1)
	v_add_co_u32_e32 v4, vcc, v4, v8
	s_waitcnt vmcnt(0)
	v_addc_co_u32_e32 v5, vcc, v5, v9, vcc
	v_cmp_ne_u32_e32 vcc, 0, v2
	ds_write_b64 v0, v[4:5] offset:728
	s_and_saveexec_b64 s[18:19], vcc
	s_cbranch_execz .LBB6_3547
; %bb.3546:                             ;   in Loop: Header=BB6_3523 Depth=1
	ds_read_b64 v[4:5], v0 offset:872
	s_waitcnt lgkmcnt(0)
	v_add_co_u32_e32 v4, vcc, 1, v4
	v_addc_co_u32_e32 v5, vcc, 0, v5, vcc
	ds_write_b64 v0, v[4:5] offset:872
.LBB6_3547:                             ;   in Loop: Header=BB6_3523 Depth=1
	s_or_b64 exec, exec, s[18:19]
	v_mov_b32_e32 v24, v1
	v_mov_b32_e32 v23, v0
.LBB6_3548:                             ;   in Loop: Header=BB6_3523 Depth=1
	s_or_b64 exec, exec, s[20:21]
	s_and_saveexec_b64 s[18:19], s[10:11]
	s_cbranch_execz .LBB6_3567
; %bb.3549:                             ;   in Loop: Header=BB6_3523 Depth=1
	s_and_saveexec_b64 s[20:21], s[40:41]
	s_xor_b64 s[20:21], exec, s[20:21]
	s_cbranch_execz .LBB6_3564
; %bb.3550:                             ;   in Loop: Header=BB6_3523 Depth=1
	s_and_saveexec_b64 s[74:75], s[12:13]
	s_cbranch_execz .LBB6_3563
; %bb.3551:                             ;   in Loop: Header=BB6_3523 Depth=1
	s_mov_b64 s[78:79], exec
	v_mbcnt_lo_u32_b32 v0, s78, 0
	v_mbcnt_hi_u32_b32 v0, s79, v0
	v_cmp_eq_u32_e32 vcc, 0, v0
	s_waitcnt vmcnt(0) lgkmcnt(0)
	buffer_wbinvl1_vol
	s_and_saveexec_b64 s[76:77], vcc
	s_cbranch_execz .LBB6_3553
; %bb.3552:                             ;   in Loop: Header=BB6_3523 Depth=1
	s_bcnt1_i32_b64 s78, s[78:79]
	v_mov_b32_e32 v2, s78
	ds_add_u64 v0, v[2:3]
	s_trap 2
.LBB6_3553:                             ;   in Loop: Header=BB6_3523 Depth=1
	s_or_b64 exec, exec, s[76:77]
	s_trap 2
	ds_read_b64 v[0:1], v0
	s_waitcnt lgkmcnt(0)
	buffer_load_dword v4, off, s[0:3], s33 offset:76 ; 4-byte Folded Reload
	buffer_load_dword v5, off, s[0:3], s33 offset:80 ; 4-byte Folded Reload
	;; [unrolled: 1-line block ×3, first 2 shown]
	s_waitcnt vmcnt(0)
	v_add_co_u32_e32 v4, vcc, v4, v2
	v_addc_co_u32_e32 v5, vcc, 0, v5, vcc
	buffer_store_dword v4, off, s[0:3], s33 offset:76 ; 4-byte Folded Spill
	s_nop 0
	buffer_store_dword v5, off, s[0:3], s33 offset:80 ; 4-byte Folded Spill
	v_cmp_lt_u64_e32 vcc, v[0:1], v[4:5]
	s_and_saveexec_b64 s[76:77], vcc
	s_cbranch_execz .LBB6_3562
; %bb.3554:                             ;   in Loop: Header=BB6_3523 Depth=1
	s_mov_b32 s30, 0
	s_mov_b64 s[78:79], 0
                                        ; implicit-def: $sgpr88_sgpr89
                                        ; implicit-def: $sgpr90_sgpr91
	s_branch .LBB6_3556
.LBB6_3555:                             ;   in Loop: Header=BB6_3556 Depth=2
	s_or_b64 exec, exec, s[94:95]
	s_and_b64 s[92:93], exec, vcc
	s_or_b64 s[78:79], s[92:93], s[78:79]
	s_andn2_b64 s[88:89], s[88:89], exec
	s_and_b64 s[92:93], s[90:91], exec
	s_or_b64 s[88:89], s[88:89], s[92:93]
	s_andn2_b64 exec, exec, s[78:79]
	s_cbranch_execz .LBB6_3560
.LBB6_3556:                             ;   Parent Loop BB6_3523 Depth=1
                                        ; =>  This Inner Loop Header: Depth=2
	s_add_i32 s30, s30, 1
	s_cmpk_lg_i32 s30, 0x2710
	s_cselect_b64 s[92:93], -1, 0
	s_and_b64 vcc, exec, s[92:93]
	s_cbranch_vccz .LBB6_3558
; %bb.3557:                             ;   in Loop: Header=BB6_3556 Depth=2
	s_mov_b64 vcc, -1
	s_or_b64 s[90:91], s[90:91], exec
	s_and_saveexec_b64 s[94:95], s[92:93]
	s_cbranch_execz .LBB6_3555
	s_branch .LBB6_3559
.LBB6_3558:                             ;   in Loop: Header=BB6_3556 Depth=2
	s_trap 2
	ds_read_b64 v[0:1], v0
	s_andn2_b64 s[92:93], s[92:93], exec
	s_mov_b32 s30, 0
	s_waitcnt vmcnt(0) lgkmcnt(0)
	flat_load_dword v0, v[0:1] glc
	s_waitcnt vmcnt(0) lgkmcnt(0)
	buffer_wbinvl1_vol
	v_cmp_eq_u32_e32 vcc, 0, v0
	s_and_b64 s[94:95], vcc, exec
	s_or_b64 s[92:93], s[92:93], s[94:95]
	s_mov_b64 vcc, -1
	s_or_b64 s[90:91], s[90:91], exec
	s_and_saveexec_b64 s[94:95], s[92:93]
	s_cbranch_execz .LBB6_3555
.LBB6_3559:                             ;   in Loop: Header=BB6_3556 Depth=2
	s_sleep 1
	s_trap 2
	ds_read_b64 v[0:1], v0
	s_waitcnt lgkmcnt(0)
	buffer_load_dword v4, off, s[0:3], s33 offset:76 ; 4-byte Folded Reload
	buffer_load_dword v5, off, s[0:3], s33 offset:80 ; 4-byte Folded Reload
	s_andn2_b64 s[90:91], s[90:91], exec
	s_waitcnt vmcnt(0)
	v_cmp_ge_u64_e32 vcc, v[0:1], v[4:5]
	s_orn2_b64 vcc, vcc, exec
	s_branch .LBB6_3555
.LBB6_3560:                             ;   in Loop: Header=BB6_3523 Depth=1
	s_or_b64 exec, exec, s[78:79]
	s_and_saveexec_b64 s[78:79], s[88:89]
	s_xor_b64 s[78:79], exec, s[78:79]
	s_cbranch_execz .LBB6_3562
; %bb.3561:                             ;   in Loop: Header=BB6_3523 Depth=1
	v_mov_b32_e32 v0, 1
	ds_write_b32 v0, v0
	s_trap 2
.LBB6_3562:                             ;   in Loop: Header=BB6_3523 Depth=1
	s_or_b64 exec, exec, s[76:77]
	;;#ASMSTART
	s_wakeup
	;;#ASMEND
.LBB6_3563:                             ;   in Loop: Header=BB6_3523 Depth=1
	s_or_b64 exec, exec, s[74:75]
.LBB6_3564:                             ;   in Loop: Header=BB6_3523 Depth=1
	s_andn2_saveexec_b64 s[20:21], s[20:21]
	s_cbranch_execz .LBB6_3566
; %bb.3565:                             ;   in Loop: Header=BB6_3523 Depth=1
	s_waitcnt vmcnt(0) lgkmcnt(0)
	buffer_wbinvl1_vol
	s_barrier
.LBB6_3566:                             ;   in Loop: Header=BB6_3523 Depth=1
	s_or_b64 exec, exec, s[20:21]
.LBB6_3567:                             ;   in Loop: Header=BB6_3523 Depth=1
	s_or_b64 exec, exec, s[18:19]
	s_trap 2
	ds_read_b32 v0, v0
	v_and_b32_e32 v1, 0x4000, v16
	v_cmp_ne_u32_e32 vcc, 0, v1
	s_and_b64 s[20:21], s[44:45], vcc
	s_and_saveexec_b64 s[18:19], s[20:21]
	s_cbranch_execz .LBB6_3586
; %bb.3568:                             ;   in Loop: Header=BB6_3523 Depth=1
	s_and_saveexec_b64 s[20:21], s[40:41]
	s_xor_b64 s[20:21], exec, s[20:21]
	s_cbranch_execz .LBB6_3583
; %bb.3569:                             ;   in Loop: Header=BB6_3523 Depth=1
	s_and_saveexec_b64 s[74:75], s[12:13]
	s_cbranch_execz .LBB6_3582
; %bb.3570:                             ;   in Loop: Header=BB6_3523 Depth=1
	s_mov_b64 s[78:79], exec
	v_mbcnt_lo_u32_b32 v1, s78, 0
	v_mbcnt_hi_u32_b32 v1, s79, v1
	v_cmp_eq_u32_e32 vcc, 0, v1
	s_waitcnt vmcnt(0) lgkmcnt(0)
	buffer_wbinvl1_vol
	s_and_saveexec_b64 s[76:77], vcc
	s_cbranch_execz .LBB6_3572
; %bb.3571:                             ;   in Loop: Header=BB6_3523 Depth=1
	s_bcnt1_i32_b64 s78, s[78:79]
	v_mov_b32_e32 v2, s78
	ds_add_u64 v0, v[2:3]
	s_trap 2
.LBB6_3572:                             ;   in Loop: Header=BB6_3523 Depth=1
	s_or_b64 exec, exec, s[76:77]
	s_trap 2
	ds_read_b64 v[1:2], v0
	s_waitcnt lgkmcnt(0)
	buffer_load_dword v4, off, s[0:3], s33 offset:76 ; 4-byte Folded Reload
	buffer_load_dword v5, off, s[0:3], s33 offset:80 ; 4-byte Folded Reload
	;; [unrolled: 1-line block ×3, first 2 shown]
	s_waitcnt vmcnt(0)
	v_add_co_u32_e32 v4, vcc, v4, v6
	v_addc_co_u32_e32 v5, vcc, 0, v5, vcc
	buffer_store_dword v4, off, s[0:3], s33 offset:76 ; 4-byte Folded Spill
	s_nop 0
	buffer_store_dword v5, off, s[0:3], s33 offset:80 ; 4-byte Folded Spill
	v_cmp_lt_u64_e32 vcc, v[1:2], v[4:5]
	s_and_saveexec_b64 s[76:77], vcc
	s_cbranch_execz .LBB6_3581
; %bb.3573:                             ;   in Loop: Header=BB6_3523 Depth=1
	s_mov_b32 s30, 0
	s_mov_b64 s[78:79], 0
                                        ; implicit-def: $sgpr88_sgpr89
                                        ; implicit-def: $sgpr90_sgpr91
	s_branch .LBB6_3575
.LBB6_3574:                             ;   in Loop: Header=BB6_3575 Depth=2
	s_or_b64 exec, exec, s[94:95]
	s_and_b64 s[92:93], exec, vcc
	s_or_b64 s[78:79], s[92:93], s[78:79]
	s_andn2_b64 s[88:89], s[88:89], exec
	s_and_b64 s[92:93], s[90:91], exec
	s_or_b64 s[88:89], s[88:89], s[92:93]
	s_andn2_b64 exec, exec, s[78:79]
	s_cbranch_execz .LBB6_3579
.LBB6_3575:                             ;   Parent Loop BB6_3523 Depth=1
                                        ; =>  This Inner Loop Header: Depth=2
	s_add_i32 s30, s30, 1
	s_cmpk_lg_i32 s30, 0x2710
	s_cselect_b64 s[92:93], -1, 0
	s_and_b64 vcc, exec, s[92:93]
	s_cbranch_vccz .LBB6_3577
; %bb.3576:                             ;   in Loop: Header=BB6_3575 Depth=2
	s_mov_b64 vcc, -1
	s_or_b64 s[90:91], s[90:91], exec
	s_and_saveexec_b64 s[94:95], s[92:93]
	s_cbranch_execz .LBB6_3574
	s_branch .LBB6_3578
.LBB6_3577:                             ;   in Loop: Header=BB6_3575 Depth=2
	s_trap 2
	ds_read_b64 v[1:2], v0
	s_andn2_b64 s[92:93], s[92:93], exec
	s_mov_b32 s30, 0
	s_waitcnt vmcnt(0) lgkmcnt(0)
	flat_load_dword v1, v[1:2] glc
	s_waitcnt vmcnt(0) lgkmcnt(0)
	buffer_wbinvl1_vol
	v_cmp_eq_u32_e32 vcc, 0, v1
	s_and_b64 s[94:95], vcc, exec
	s_or_b64 s[92:93], s[92:93], s[94:95]
	s_mov_b64 vcc, -1
	s_or_b64 s[90:91], s[90:91], exec
	s_and_saveexec_b64 s[94:95], s[92:93]
	s_cbranch_execz .LBB6_3574
.LBB6_3578:                             ;   in Loop: Header=BB6_3575 Depth=2
	s_sleep 1
	s_trap 2
	ds_read_b64 v[1:2], v0
	s_waitcnt lgkmcnt(0)
	buffer_load_dword v4, off, s[0:3], s33 offset:76 ; 4-byte Folded Reload
	buffer_load_dword v5, off, s[0:3], s33 offset:80 ; 4-byte Folded Reload
	s_andn2_b64 s[90:91], s[90:91], exec
	s_waitcnt vmcnt(0)
	v_cmp_ge_u64_e32 vcc, v[1:2], v[4:5]
	s_orn2_b64 vcc, vcc, exec
	s_branch .LBB6_3574
.LBB6_3579:                             ;   in Loop: Header=BB6_3523 Depth=1
	s_or_b64 exec, exec, s[78:79]
	s_and_saveexec_b64 s[78:79], s[88:89]
	s_xor_b64 s[78:79], exec, s[78:79]
	s_cbranch_execz .LBB6_3581
; %bb.3580:                             ;   in Loop: Header=BB6_3523 Depth=1
	v_mov_b32_e32 v1, 1
	ds_write_b32 v0, v1
	s_trap 2
.LBB6_3581:                             ;   in Loop: Header=BB6_3523 Depth=1
	s_or_b64 exec, exec, s[76:77]
	;;#ASMSTART
	s_wakeup
	;;#ASMEND
.LBB6_3582:                             ;   in Loop: Header=BB6_3523 Depth=1
	s_or_b64 exec, exec, s[74:75]
.LBB6_3583:                             ;   in Loop: Header=BB6_3523 Depth=1
	s_andn2_saveexec_b64 s[20:21], s[20:21]
	s_cbranch_execz .LBB6_3585
; %bb.3584:                             ;   in Loop: Header=BB6_3523 Depth=1
	s_waitcnt vmcnt(0) lgkmcnt(0)
	buffer_wbinvl1_vol
	s_barrier
.LBB6_3585:                             ;   in Loop: Header=BB6_3523 Depth=1
	s_or_b64 exec, exec, s[20:21]
.LBB6_3586:                             ;   in Loop: Header=BB6_3523 Depth=1
	s_or_b64 exec, exec, s[18:19]
	s_trap 2
	s_waitcnt lgkmcnt(0)
	ds_read_b64 v[61:62], v0
	v_min_u32_e32 v43, v43, v42
	s_waitcnt lgkmcnt(0)
	v_cmp_eq_u64_e32 vcc, 0, v[61:62]
	s_cbranch_vccnz .LBB6_3594
; %bb.3587:                             ;   in Loop: Header=BB6_3523 Depth=1
	s_trap 2
	ds_read_b64 v[58:59], v0
	s_waitcnt lgkmcnt(0)
	v_cmp_eq_u64_e32 vcc, 0, v[58:59]
	s_cbranch_vccnz .LBB6_3594
; %bb.3588:                             ;   in Loop: Header=BB6_3523 Depth=1
	s_mov_b64 s[20:21], -1
	s_and_saveexec_b64 s[18:19], s[14:15]
	s_cbranch_execz .LBB6_3590
; %bb.3589:                             ;   in Loop: Header=BB6_3523 Depth=1
	ds_read_b32 v1, v0 offset:720
	s_waitcnt lgkmcnt(0)
	v_and_b32_e32 v1, 15, v1
	v_cmp_eq_u32_e32 vcc, 0, v1
	s_orn2_b64 s[20:21], vcc, exec
.LBB6_3590:                             ;   in Loop: Header=BB6_3523 Depth=1
	s_or_b64 exec, exec, s[18:19]
	s_and_saveexec_b64 s[18:19], s[16:17]
	s_cbranch_execz .LBB6_3592
; %bb.3591:                             ;   in Loop: Header=BB6_3523 Depth=1
	ds_read_b32 v1, v0 offset:784
	s_waitcnt lgkmcnt(0)
	v_and_b32_e32 v1, 15, v1
	v_cmp_eq_u32_e32 vcc, 0, v1
	s_and_b64 s[74:75], s[20:21], vcc
	s_andn2_b64 s[20:21], s[20:21], exec
	s_and_b64 s[74:75], s[74:75], exec
	s_or_b64 s[20:21], s[20:21], s[74:75]
.LBB6_3592:                             ;   in Loop: Header=BB6_3523 Depth=1
	s_or_b64 exec, exec, s[18:19]
	v_cmp_eq_u32_e32 vcc, 0, v0
	s_xor_b64 s[20:21], s[20:21], -1
	v_cndmask_b32_e32 v44, 0, v43, vcc
	v_cndmask_b32_e64 v0, 0, 1, s[20:21]
	s_mov_b64 s[18:19], -1
	v_cmp_ne_u32_e32 vcc, 0, v0
	v_mov_b32_e32 v9, 0
	v_mov_b32_e32 v6, v44
	v_mov_b32_e32 v2, v48
	v_mov_b32_e32 v0, v51
	buffer_store_dword v21, off, s[0:3], s33 offset:244 ; 4-byte Folded Spill
	s_nop 0
	buffer_store_dword v22, off, s[0:3], s33 offset:248 ; 4-byte Folded Spill
	buffer_store_dword v23, off, s[0:3], s33 offset:252 ; 4-byte Folded Spill
	;; [unrolled: 1-line block ×4, first 2 shown]
	s_cbranch_vccz .LBB6_3595
; %bb.3593:                             ;   in Loop: Header=BB6_3523 Depth=1
	s_and_saveexec_b64 s[20:21], s[18:19]
	s_cbranch_execnz .LBB6_5848
	s_branch .LBB6_6912
.LBB6_3594:                             ;   in Loop: Header=BB6_3523 Depth=1
	s_mov_b64 s[18:19], 0
	s_and_saveexec_b64 s[20:21], s[10:11]
	s_cbranch_execnz .LBB6_6913
	s_branch .LBB6_6931
.LBB6_3595:                             ;   in Loop: Header=BB6_3523 Depth=1
	v_lshrrev_b32_e32 v0, 12, v44
	v_sub_u32_e32 v60, v0, v51
	v_cmp_lt_i32_e32 vcc, 0, v60
	s_and_saveexec_b64 s[20:21], vcc
	s_cbranch_execz .LBB6_5391
; %bb.3596:                             ;   in Loop: Header=BB6_3523 Depth=1
	buffer_store_dword v44, off, s[0:3], s33 offset:304 ; 4-byte Folded Spill
	buffer_store_dword v43, off, s[0:3], s33 offset:296 ; 4-byte Folded Spill
	;; [unrolled: 1-line block ×3, first 2 shown]
	s_nop 0
	buffer_store_dword v43, off, s[0:3], s33 offset:292 ; 4-byte Folded Spill
	buffer_store_dword v54, off, s[0:3], s33 offset:268 ; 4-byte Folded Spill
	s_nop 0
	buffer_store_dword v55, off, s[0:3], s33 offset:272 ; 4-byte Folded Spill
	s_trap 2
	buffer_load_dword v2, off, s[0:3], s33 offset:356 ; 4-byte Folded Reload
	buffer_load_dword v6, off, s[0:3], s33 offset:364 ; 4-byte Folded Reload
	ds_read_b64 v[4:5], v0
	s_mov_b64 s[74:75], 0
	s_waitcnt vmcnt(0)
	v_add_co_u32_e32 v0, vcc, v61, v2
	buffer_store_dword v61, off, s[0:3], s33 offset:340 ; 4-byte Folded Spill
	s_nop 0
	buffer_store_dword v62, off, s[0:3], s33 offset:344 ; 4-byte Folded Spill
	s_waitcnt vmcnt(2)
	v_addc_co_u32_e32 v1, vcc, v62, v6, vcc
	s_waitcnt lgkmcnt(0)
	v_add_co_u32_e32 v61, vcc, v4, v2
	v_addc_co_u32_e32 v62, vcc, v5, v6, vcc
	v_add_co_u32_e32 v52, vcc, v58, v2
	buffer_store_dword v58, off, s[0:3], s33 offset:332 ; 4-byte Folded Spill
	s_nop 0
	buffer_store_dword v59, off, s[0:3], s33 offset:336 ; 4-byte Folded Spill
	v_addc_co_u32_e32 v53, vcc, v59, v6, vcc
	s_branch .LBB6_3598
.LBB6_3597:                             ;   in Loop: Header=BB6_3598 Depth=2
	s_or_b64 exec, exec, s[18:19]
	v_lshl_or_b32 v10, v45, 8, v44
	v_lshl_or_b32 v12, v34, 8, v31
	v_lshlrev_b32_e32 v11, 16, v26
	v_lshlrev_b32_e32 v13, 24, v27
	;; [unrolled: 1-line block ×4, first 2 shown]
	v_or3_b32 v11, v10, v11, v13
	v_or3_b32 v10, v12, v15, v16
	v_lshl_or_b32 v12, v50, 8, v28
	v_lshlrev_b32_e32 v13, 16, v51
	v_lshlrev_b32_e32 v15, 24, v55
	v_lshl_or_b32 v6, v7, 8, v6
	v_lshlrev_b32_e32 v7, 24, v9
	v_lshlrev_b32_e32 v8, 16, v8
	v_or3_b32 v12, v12, v13, v15
	v_or3_b32 v13, v6, v8, v7
	buffer_load_dword v6, off, s[0:3], s33 offset:184 ; 4-byte Folded Reload
	buffer_load_dword v7, off, s[0:3], s33 offset:188 ; 4-byte Folded Reload
	v_lshlrev_b32_e32 v8, 24, v36
	v_lshlrev_b32_e32 v4, 16, v4
	;; [unrolled: 1-line block ×5, first 2 shown]
	s_waitcnt vmcnt(0)
	v_lshl_or_b32 v6, v7, 8, v6
	buffer_load_dword v7, off, s[0:3], s33 offset:192 ; 4-byte Folded Reload
	buffer_load_dword v9, off, s[0:3], s33 offset:152 ; 4-byte Folded Reload
	;; [unrolled: 1-line block ×3, first 2 shown]
	s_waitcnt vmcnt(2)
	v_lshlrev_b32_e32 v7, 16, v7
	v_or3_b32 v7, v6, v7, v8
	buffer_load_dword v6, off, s[0:3], s33 offset:176 ; 4-byte Folded Reload
	buffer_load_dword v8, off, s[0:3], s33 offset:180 ; 4-byte Folded Reload
	s_waitcnt vmcnt(2)
	v_lshl_or_b32 v9, v15, 8, v9
	s_waitcnt vmcnt(1)
	v_lshlrev_b32_e32 v6, 16, v6
	s_waitcnt vmcnt(0)
	v_lshlrev_b32_e32 v8, 24, v8
	v_or3_b32 v6, v9, v6, v8
	buffer_load_dword v8, off, s[0:3], s33 offset:196 ; 4-byte Folded Reload
	v_lshl_or_b32 v9, v38, 8, v42
	s_waitcnt vmcnt(0)
	v_lshl_or_b32 v8, v37, 8, v8
	v_or3_b32 v8, v8, v4, v5
	v_lshlrev_b32_e32 v4, 24, v29
	v_lshlrev_b32_e32 v5, 16, v30
	v_or3_b32 v9, v9, v5, v4
	buffer_load_dword v4, off, s[0:3], s33 offset:104 ; 4-byte Folded Reload
	buffer_load_dword v5, off, s[0:3], s33 offset:108 ; 4-byte Folded Reload
	buffer_load_dword v15, off, s[0:3], s33 offset:116 ; 4-byte Folded Reload
	s_waitcnt vmcnt(1)
	v_lshl_or_b32 v4, v5, 8, v4
	buffer_load_dword v5, off, s[0:3], s33 offset:112 ; 4-byte Folded Reload
	s_waitcnt vmcnt(1)
	v_lshlrev_b32_e32 v15, 24, v15
	s_waitcnt vmcnt(0)
	v_lshlrev_b32_e32 v5, 16, v5
	v_or3_b32 v27, v4, v5, v15
	buffer_load_dword v4, off, s[0:3], s33 offset:88 ; 4-byte Folded Reload
	buffer_load_dword v5, off, s[0:3], s33 offset:92 ; 4-byte Folded Reload
	buffer_load_dword v15, off, s[0:3], s33 offset:100 ; 4-byte Folded Reload
	s_waitcnt vmcnt(1)
	v_lshl_or_b32 v4, v5, 8, v4
	buffer_load_dword v5, off, s[0:3], s33 offset:96 ; 4-byte Folded Reload
	s_waitcnt vmcnt(1)
	v_lshlrev_b32_e32 v15, 24, v15
	s_waitcnt vmcnt(0)
	;; [unrolled: 11-line block ×3, first 2 shown]
	v_lshlrev_b32_e32 v5, 16, v5
	v_or3_b32 v28, v4, v5, v15
	buffer_load_dword v4, off, s[0:3], s33 offset:148 ; 4-byte Folded Reload
	buffer_load_dword v5, off, s[0:3], s33 offset:144 ; 4-byte Folded Reload
	;; [unrolled: 1-line block ×4, first 2 shown]
	s_waitcnt vmcnt(3)
	v_lshlrev_b32_e32 v4, 24, v4
	s_waitcnt vmcnt(2)
	v_lshlrev_b32_e32 v5, 16, v5
	s_waitcnt vmcnt(0)
	v_lshl_or_b32 v15, v16, 8, v15
	v_or3_b32 v29, v15, v5, v4
	v_lshl_or_b32 v4, v54, 8, v25
	v_lshlrev_b32_e32 v5, 16, v18
	v_lshlrev_b32_e32 v15, 24, v19
	v_or3_b32 v16, v4, v5, v15
	v_lshl_or_b32 v4, v22, 8, v21
	v_lshlrev_b32_e32 v5, 16, v23
	v_lshlrev_b32_e32 v15, 24, v24
	v_or3_b32 v15, v4, v5, v15
	v_lshl_or_b32 v4, v56, 8, v20
	v_lshlrev_b32_e32 v5, 16, v58
	v_or3_b32 v17, v4, v5, v17
	v_lshlrev_b32_e32 v4, 16, v14
	v_lshl_or_b32 v5, v40, 8, v48
	v_or3_b32 v18, v5, v4, v2
	global_store_dwordx4 v[52:53], v[26:29], off glc slc
	global_store_dwordx4 v[52:53], v[6:9], off offset:1024 glc slc
	global_store_dwordx4 v[52:53], v[10:13], off offset:2048 glc slc
	;; [unrolled: 1-line block ×3, first 2 shown]
	buffer_load_dword v2, off, s[0:3], s33 offset:232 ; 4-byte Folded Reload
	buffer_load_dword v4, off, s[0:3], s33 offset:84 ; 4-byte Folded Reload
	s_waitcnt vmcnt(1)
	v_add_co_u32_e32 v0, vcc, v0, v2
	v_addc_co_u32_e32 v1, vcc, 0, v1, vcc
	v_add_co_u32_e32 v61, vcc, v61, v2
	v_addc_co_u32_e32 v62, vcc, 0, v62, vcc
	s_waitcnt vmcnt(0)
	v_sub_u32_e32 v60, v60, v4
	v_cmp_gt_i32_e32 vcc, 1, v60
	s_or_b64 s[74:75], vcc, s[74:75]
	v_add_co_u32_e32 v52, vcc, v52, v2
	v_addc_co_u32_e32 v53, vcc, 0, v53, vcc
	s_andn2_b64 exec, exec, s[74:75]
	s_cbranch_execz .LBB6_5390
.LBB6_3598:                             ;   Parent Loop BB6_3523 Depth=1
                                        ; =>  This Inner Loop Header: Depth=2
	global_load_dwordx4 v[48:51], v[0:1], off glc slc
	global_load_dwordx4 v[32:35], v[0:1], off offset:1024 glc slc
	global_load_dwordx4 v[22:25], v[0:1], off offset:2048 glc slc
	;; [unrolled: 1-line block ×3, first 2 shown]
	global_load_dwordx4 v[36:39], v[61:62], off glc slc
	global_load_dwordx4 v[26:29], v[61:62], off offset:1024 glc slc
	global_load_dwordx4 v[18:21], v[61:62], off offset:2048 glc slc
	;; [unrolled: 1-line block ×3, first 2 shown]
	v_mov_b32_e32 v2, 0
	v_mov_b32_e32 v4, 0
	s_waitcnt vmcnt(7)
	v_cmp_ne_u16_sdwa s[76:77], v48, v3 src0_sel:BYTE_0 src1_sel:DWORD
	s_and_saveexec_b64 s[18:19], s[76:77]
	s_cbranch_execz .LBB6_3604
; %bb.3599:                             ;   in Loop: Header=BB6_3598 Depth=2
	v_cmp_ne_u16_sdwa s[78:79], v48, s49 src0_sel:BYTE_0 src1_sel:DWORD
	v_bfrev_b32_e32 v4, 1
	s_and_saveexec_b64 s[76:77], s[78:79]
	s_cbranch_execz .LBB6_3603
; %bb.3600:                             ;   in Loop: Header=BB6_3598 Depth=2
	v_and_b32_e32 v5, 0x7f, v48
	v_cmp_ne_u32_e32 vcc, s50, v5
	v_mov_b32_e32 v4, 0x7f800001
	s_and_saveexec_b64 s[78:79], vcc
	s_cbranch_execz .LBB6_3602
; %bb.3601:                             ;   in Loop: Header=BB6_3598 Depth=2
	v_and_b32_e32 v4, 7, v48
	v_ffbh_u32_e32 v4, v4
	v_min_u32_e32 v4, 32, v4
	v_lshrrev_b32_e32 v6, 3, v5
	v_cmp_gt_u32_e32 vcc, 8, v5
	v_subrev_u32_e32 v5, 28, v4
	v_sub_u32_e32 v4, 29, v4
	v_cndmask_b32_e32 v6, v6, v4, vcc
	v_cndmask_b32_e32 v4, 0, v5, vcc
	v_lshlrev_b64 v[4:5], v4, v[48:49]
	v_lshlrev_b32_e32 v5, 24, v48
	v_lshlrev_b32_e32 v4, 20, v4
	v_and_b32_e32 v4, 0x700000, v4
	v_and_b32_e32 v5, 0x80000000, v5
	v_lshl_add_u32 v6, v6, 23, v57
	v_or3_b32 v4, v5, v6, v4
.LBB6_3602:                             ;   in Loop: Header=BB6_3598 Depth=2
	s_or_b64 exec, exec, s[78:79]
.LBB6_3603:                             ;   in Loop: Header=BB6_3598 Depth=2
	s_or_b64 exec, exec, s[76:77]
.LBB6_3604:                             ;   in Loop: Header=BB6_3598 Depth=2
	s_or_b64 exec, exec, s[18:19]
	s_waitcnt vmcnt(3)
	v_cmp_ne_u16_sdwa s[76:77], v36, v3 src0_sel:BYTE_0 src1_sel:DWORD
	s_and_saveexec_b64 s[18:19], s[76:77]
	s_cbranch_execz .LBB6_3610
; %bb.3605:                             ;   in Loop: Header=BB6_3598 Depth=2
	v_cmp_ne_u16_sdwa s[78:79], v36, s49 src0_sel:BYTE_0 src1_sel:DWORD
	v_bfrev_b32_e32 v2, 1
	s_and_saveexec_b64 s[76:77], s[78:79]
	s_cbranch_execz .LBB6_3609
; %bb.3606:                             ;   in Loop: Header=BB6_3598 Depth=2
	v_and_b32_e32 v5, 0x7f, v36
	v_cmp_ne_u32_e32 vcc, s50, v5
	v_mov_b32_e32 v2, 0x7f800001
	s_and_saveexec_b64 s[78:79], vcc
	s_cbranch_execz .LBB6_3608
; %bb.3607:                             ;   in Loop: Header=BB6_3598 Depth=2
	v_and_b32_e32 v2, 7, v36
	v_ffbh_u32_e32 v2, v2
	v_min_u32_e32 v2, 32, v2
	v_lshrrev_b32_e32 v6, 3, v5
	v_cmp_gt_u32_e32 vcc, 8, v5
	v_subrev_u32_e32 v5, 28, v2
	v_sub_u32_e32 v2, 29, v2
	v_cndmask_b32_e32 v5, 0, v5, vcc
	v_cndmask_b32_e32 v2, v6, v2, vcc
	v_lshlrev_b64 v[5:6], v5, v[36:37]
	v_lshlrev_b32_e32 v6, 24, v36
	v_lshlrev_b32_e32 v5, 20, v5
	v_and_b32_e32 v5, 0x700000, v5
	v_and_b32_e32 v6, 0x80000000, v6
	v_lshl_add_u32 v2, v2, 23, v57
	v_or3_b32 v2, v6, v2, v5
.LBB6_3608:                             ;   in Loop: Header=BB6_3598 Depth=2
	s_or_b64 exec, exec, s[78:79]
.LBB6_3609:                             ;   in Loop: Header=BB6_3598 Depth=2
	s_or_b64 exec, exec, s[76:77]
.LBB6_3610:                             ;   in Loop: Header=BB6_3598 Depth=2
	s_or_b64 exec, exec, s[18:19]
	v_add_f32_e32 v5, v4, v2
	v_and_b32_e32 v2, 0x7f800000, v5
	v_cmp_ne_u64_e32 vcc, s[46:47], v[2:3]
                                        ; implicit-def: $vgpr2
                                        ; kill: killed $vgpr2
	s_and_saveexec_b64 s[18:19], vcc
	s_xor_b64 s[76:77], exec, s[18:19]
	s_cbranch_execz .LBB6_3624
; %bb.3611:                             ;   in Loop: Header=BB6_3598 Depth=2
	v_and_b32_e32 v2, 0x7fffffff, v5
	v_cmp_gt_u64_e32 vcc, s[56:57], v[2:3]
	v_and_b32_sdwa v4, v5, s49 dst_sel:DWORD dst_unused:UNUSED_PAD src0_sel:BYTE_3 src1_sel:DWORD
                                        ; implicit-def: $vgpr2
                                        ; kill: killed $vgpr2
	s_and_saveexec_b64 s[18:19], vcc
	s_xor_b64 s[78:79], exec, s[18:19]
	s_cbranch_execz .LBB6_3621
; %bb.3612:                             ;   in Loop: Header=BB6_3598 Depth=2
	v_mov_b32_e32 v2, 0
	v_cmp_ne_u32_e32 vcc, 0, v5
	buffer_store_dword v2, off, s[0:3], s33 offset:88 ; 4-byte Folded Spill
	s_and_saveexec_b64 s[88:89], vcc
	s_cbranch_execz .LBB6_3620
; %bb.3613:                             ;   in Loop: Header=BB6_3598 Depth=2
	v_and_b32_e32 v2, 0x7fffff, v5
	v_bfe_u32 v5, v5, 23, 8
	v_cmp_gt_u32_e64 s[18:19], s51, v5
	v_sub_u32_e32 v6, 0x79, v5
	v_cmp_eq_u32_e32 vcc, 0, v5
	v_cndmask_b32_e64 v6, 0, v6, s[18:19]
	v_mov_b32_e32 v8, 0x78
	v_or_b32_e32 v7, 0x800000, v2
	v_cndmask_b32_e32 v6, v6, v8, vcc
	v_cndmask_b32_e32 v2, v7, v2, vcc
	v_add_u32_e32 v7, 20, v6
	v_lshlrev_b64 v[7:8], v7, -1
	v_add_u32_e32 v9, 19, v6
	v_lshlrev_b64 v[30:31], v9, 1
	v_bfi_b32 v8, v8, 0, 0
	v_bfi_b32 v7, v7, 0, v2
	v_cmp_eq_u64_e64 s[18:19], v[7:8], v[30:31]
	v_lshrrev_b64 v[30:31], v6, v[2:3]
	v_mov_b32_e32 v43, v31
	v_mov_b32_e32 v42, v30
	s_and_saveexec_b64 s[90:91], s[18:19]
; %bb.3614:                             ;   in Loop: Header=BB6_3598 Depth=2
	v_bfe_u32 v2, v30, 20, 1
	v_add_co_u32_e64 v2, s[18:19], v30, v2
	v_add_co_u32_e64 v42, s[18:19], -1, v2
; %bb.3615:                             ;   in Loop: Header=BB6_3598 Depth=2
	s_or_b64 exec, exec, s[90:91]
	v_add_u32_e32 v2, 0xffffff81, v5
	v_mov_b32_e32 v5, 0xffffff82
	v_cndmask_b32_e32 v2, v2, v5, vcc
	v_lshrrev_b32_e32 v5, 23, v30
	v_add3_u32 v7, v6, v2, v5
	v_add_u32_e32 v6, 6, v7
	v_and_b32_e32 v2, 0xfffff, v42
	v_add_u32_e32 v2, v2, v30
	v_cmp_ne_u32_e32 vcc, 0, v6
                                        ; implicit-def: $vgpr30_vgpr31
                                        ; implicit-def: $vgpr5
	s_and_saveexec_b64 s[18:19], vcc
	s_xor_b64 s[18:19], exec, s[18:19]
; %bb.3616:                             ;   in Loop: Header=BB6_3598 Depth=2
	v_cmp_lt_u64_e32 vcc, s[58:59], v[2:3]
	v_add_u32_e32 v5, 7, v7
	v_cndmask_b32_e32 v5, v6, v5, vcc
	v_cndmask_b32_e64 v6, 0, 1, vcc
	v_lshrrev_b64 v[30:31], v6, v[2:3]
; %bb.3617:                             ;   in Loop: Header=BB6_3598 Depth=2
	s_andn2_saveexec_b64 s[18:19], s[18:19]
; %bb.3618:                             ;   in Loop: Header=BB6_3598 Depth=2
	v_mov_b32_e32 v31, v3
	v_bfe_u32 v5, v2, 23, 1
	v_mov_b32_e32 v30, v2
; %bb.3619:                             ;   in Loop: Header=BB6_3598 Depth=2
	s_or_b64 exec, exec, s[18:19]
	v_lshrrev_b64 v[6:7], 20, v[30:31]
	v_cmp_gt_i32_e32 vcc, 16, v5
	v_cndmask_b32_e32 v7, 0, v7, vcc
	v_cndmask_b32_e32 v6, 7, v6, vcc
	v_min_i32_e32 v2, 15, v5
	v_cmp_eq_u64_e64 s[18:19], 0, v[6:7]
	v_lshlrev_b32_e32 v2, 3, v2
	v_cmp_eq_u32_e32 vcc, 0, v5
	v_and_b32_e32 v2, 0xf8, v2
	v_and_or_b32 v2, v6, 7, v2
	s_and_b64 s[18:19], vcc, s[18:19]
	v_cndmask_b32_e64 v2, v2, 0, s[18:19]
	v_or_b32_e32 v2, v2, v4
	buffer_store_dword v2, off, s[0:3], s33 offset:88 ; 4-byte Folded Spill
.LBB6_3620:                             ;   in Loop: Header=BB6_3598 Depth=2
	s_or_b64 exec, exec, s[88:89]
                                        ; implicit-def: $vgpr4
.LBB6_3621:                             ;   in Loop: Header=BB6_3598 Depth=2
	s_andn2_saveexec_b64 s[18:19], s[78:79]
	s_cbranch_execz .LBB6_3623
; %bb.3622:                             ;   in Loop: Header=BB6_3598 Depth=2
	v_or_b32_e32 v2, 0x7e, v4
	buffer_store_dword v2, off, s[0:3], s33 offset:88 ; 4-byte Folded Spill
.LBB6_3623:                             ;   in Loop: Header=BB6_3598 Depth=2
	s_or_b64 exec, exec, s[18:19]
                                        ; implicit-def: $vgpr5
.LBB6_3624:                             ;   in Loop: Header=BB6_3598 Depth=2
	s_andn2_saveexec_b64 s[18:19], s[76:77]
	s_cbranch_execz .LBB6_3626
; %bb.3625:                             ;   in Loop: Header=BB6_3598 Depth=2
	v_or_b32_sdwa v2, v5, s50 dst_sel:DWORD dst_unused:UNUSED_PAD src0_sel:BYTE_3 src1_sel:DWORD
	buffer_store_dword v2, off, s[0:3], s33 offset:88 ; 4-byte Folded Spill
.LBB6_3626:                             ;   in Loop: Header=BB6_3598 Depth=2
	s_or_b64 exec, exec, s[18:19]
	v_lshrrev_b16_e32 v2, 8, v48
	v_cmp_ne_u16_e32 vcc, 0, v2
	v_mov_b32_e32 v4, 0
	v_mov_b32_e32 v5, 0
	s_and_saveexec_b64 s[18:19], vcc
	s_cbranch_execz .LBB6_3632
; %bb.3627:                             ;   in Loop: Header=BB6_3598 Depth=2
	v_cmp_ne_u16_e32 vcc, s49, v2
	v_bfrev_b32_e32 v5, 1
	s_and_saveexec_b64 s[76:77], vcc
	s_cbranch_execz .LBB6_3631
; %bb.3628:                             ;   in Loop: Header=BB6_3598 Depth=2
	v_and_b32_e32 v6, 0x7f, v2
	v_cmp_ne_u32_e32 vcc, s50, v6
	v_mov_b32_e32 v5, 0x7f800001
	s_and_saveexec_b64 s[78:79], vcc
	s_cbranch_execz .LBB6_3630
; %bb.3629:                             ;   in Loop: Header=BB6_3598 Depth=2
	v_and_b32_e32 v7, 7, v2
	v_ffbh_u32_e32 v5, v7
	v_min_u32_e32 v9, 32, v5
	v_subrev_u32_e32 v5, 28, v9
	v_lshrrev_b32_e32 v8, 3, v6
	v_cmp_gt_u32_e32 vcc, 8, v6
	v_lshlrev_b64 v[5:6], v5, v[2:3]
	v_sub_u32_e32 v2, 29, v9
	v_and_b32_e32 v5, 7, v5
	v_cndmask_b32_e32 v2, v8, v2, vcc
	v_cndmask_b32_e32 v5, v7, v5, vcc
	v_lshlrev_b32_e32 v6, 16, v48
	v_lshlrev_b32_e32 v5, 20, v5
	v_and_b32_e32 v6, 0x80000000, v6
	v_lshl_add_u32 v2, v2, 23, v57
	v_or3_b32 v5, v6, v2, v5
.LBB6_3630:                             ;   in Loop: Header=BB6_3598 Depth=2
	s_or_b64 exec, exec, s[78:79]
.LBB6_3631:                             ;   in Loop: Header=BB6_3598 Depth=2
	s_or_b64 exec, exec, s[76:77]
.LBB6_3632:                             ;   in Loop: Header=BB6_3598 Depth=2
	s_or_b64 exec, exec, s[18:19]
	v_lshrrev_b16_e32 v2, 8, v36
	v_cmp_ne_u16_e32 vcc, 0, v2
	s_and_saveexec_b64 s[18:19], vcc
	s_cbranch_execz .LBB6_3638
; %bb.3633:                             ;   in Loop: Header=BB6_3598 Depth=2
	v_cmp_ne_u16_e32 vcc, s49, v2
	v_bfrev_b32_e32 v4, 1
	s_and_saveexec_b64 s[76:77], vcc
	s_cbranch_execz .LBB6_3637
; %bb.3634:                             ;   in Loop: Header=BB6_3598 Depth=2
	v_and_b32_e32 v6, 0x7f, v2
	v_cmp_ne_u32_e32 vcc, s50, v6
	v_mov_b32_e32 v4, 0x7f800001
	s_and_saveexec_b64 s[78:79], vcc
	s_cbranch_execz .LBB6_3636
; %bb.3635:                             ;   in Loop: Header=BB6_3598 Depth=2
	v_and_b32_e32 v4, 7, v2
	v_lshrrev_b32_e32 v8, 3, v6
	v_cmp_gt_u32_e32 vcc, 8, v6
	v_ffbh_u32_e32 v6, v4
	v_min_u32_e32 v9, 32, v6
	v_subrev_u32_e32 v6, 28, v9
	v_lshlrev_b64 v[6:7], v6, v[2:3]
	v_sub_u32_e32 v2, 29, v9
	v_and_b32_e32 v6, 7, v6
	v_cndmask_b32_e32 v2, v8, v2, vcc
	v_cndmask_b32_e32 v4, v4, v6, vcc
	v_lshlrev_b32_e32 v6, 16, v36
	v_lshlrev_b32_e32 v4, 20, v4
	v_and_b32_e32 v6, 0x80000000, v6
	v_lshl_add_u32 v2, v2, 23, v57
	v_or3_b32 v4, v6, v2, v4
.LBB6_3636:                             ;   in Loop: Header=BB6_3598 Depth=2
	s_or_b64 exec, exec, s[78:79]
.LBB6_3637:                             ;   in Loop: Header=BB6_3598 Depth=2
	s_or_b64 exec, exec, s[76:77]
.LBB6_3638:                             ;   in Loop: Header=BB6_3598 Depth=2
	s_or_b64 exec, exec, s[18:19]
	v_add_f32_e32 v5, v5, v4
	v_and_b32_e32 v2, 0x7f800000, v5
	v_cmp_ne_u64_e32 vcc, s[46:47], v[2:3]
                                        ; implicit-def: $vgpr2
                                        ; kill: killed $vgpr2
	s_and_saveexec_b64 s[18:19], vcc
	s_xor_b64 s[76:77], exec, s[18:19]
	s_cbranch_execz .LBB6_3652
; %bb.3639:                             ;   in Loop: Header=BB6_3598 Depth=2
	v_and_b32_e32 v2, 0x7fffffff, v5
	v_cmp_gt_u64_e32 vcc, s[56:57], v[2:3]
	v_and_b32_sdwa v4, v5, s49 dst_sel:DWORD dst_unused:UNUSED_PAD src0_sel:BYTE_3 src1_sel:DWORD
                                        ; implicit-def: $vgpr2
                                        ; kill: killed $vgpr2
	s_and_saveexec_b64 s[18:19], vcc
	s_xor_b64 s[78:79], exec, s[18:19]
	s_cbranch_execz .LBB6_3649
; %bb.3640:                             ;   in Loop: Header=BB6_3598 Depth=2
	v_mov_b32_e32 v2, 0
	v_cmp_ne_u32_e32 vcc, 0, v5
	buffer_store_dword v2, off, s[0:3], s33 offset:92 ; 4-byte Folded Spill
	s_and_saveexec_b64 s[88:89], vcc
	s_cbranch_execz .LBB6_3648
; %bb.3641:                             ;   in Loop: Header=BB6_3598 Depth=2
	v_and_b32_e32 v2, 0x7fffff, v5
	v_bfe_u32 v5, v5, 23, 8
	v_cmp_gt_u32_e64 s[18:19], s51, v5
	v_sub_u32_e32 v6, 0x79, v5
	v_cmp_eq_u32_e32 vcc, 0, v5
	v_cndmask_b32_e64 v6, 0, v6, s[18:19]
	v_mov_b32_e32 v8, 0x78
	v_or_b32_e32 v7, 0x800000, v2
	v_cndmask_b32_e32 v6, v6, v8, vcc
	v_cndmask_b32_e32 v2, v7, v2, vcc
	v_add_u32_e32 v7, 20, v6
	v_lshlrev_b64 v[7:8], v7, -1
	v_add_u32_e32 v9, 19, v6
	v_lshlrev_b64 v[30:31], v9, 1
	v_bfi_b32 v8, v8, 0, 0
	v_bfi_b32 v7, v7, 0, v2
	v_cmp_eq_u64_e64 s[18:19], v[7:8], v[30:31]
	v_lshrrev_b64 v[30:31], v6, v[2:3]
	v_mov_b32_e32 v43, v31
	v_mov_b32_e32 v42, v30
	s_and_saveexec_b64 s[90:91], s[18:19]
; %bb.3642:                             ;   in Loop: Header=BB6_3598 Depth=2
	v_bfe_u32 v2, v30, 20, 1
	v_add_co_u32_e64 v2, s[18:19], v30, v2
	v_add_co_u32_e64 v42, s[18:19], -1, v2
; %bb.3643:                             ;   in Loop: Header=BB6_3598 Depth=2
	s_or_b64 exec, exec, s[90:91]
	v_add_u32_e32 v2, 0xffffff81, v5
	v_mov_b32_e32 v5, 0xffffff82
	v_cndmask_b32_e32 v2, v2, v5, vcc
	v_lshrrev_b32_e32 v5, 23, v30
	v_add3_u32 v7, v6, v2, v5
	v_add_u32_e32 v6, 6, v7
	v_and_b32_e32 v2, 0xfffff, v42
	v_add_u32_e32 v2, v2, v30
	v_cmp_ne_u32_e32 vcc, 0, v6
                                        ; implicit-def: $vgpr30_vgpr31
                                        ; implicit-def: $vgpr5
	s_and_saveexec_b64 s[18:19], vcc
	s_xor_b64 s[18:19], exec, s[18:19]
; %bb.3644:                             ;   in Loop: Header=BB6_3598 Depth=2
	v_cmp_lt_u64_e32 vcc, s[58:59], v[2:3]
	v_add_u32_e32 v5, 7, v7
	v_cndmask_b32_e32 v5, v6, v5, vcc
	v_cndmask_b32_e64 v6, 0, 1, vcc
	v_lshrrev_b64 v[30:31], v6, v[2:3]
; %bb.3645:                             ;   in Loop: Header=BB6_3598 Depth=2
	s_andn2_saveexec_b64 s[18:19], s[18:19]
; %bb.3646:                             ;   in Loop: Header=BB6_3598 Depth=2
	v_mov_b32_e32 v31, v3
	v_bfe_u32 v5, v2, 23, 1
	v_mov_b32_e32 v30, v2
; %bb.3647:                             ;   in Loop: Header=BB6_3598 Depth=2
	s_or_b64 exec, exec, s[18:19]
	v_lshrrev_b64 v[6:7], 20, v[30:31]
	v_cmp_gt_i32_e32 vcc, 16, v5
	v_cndmask_b32_e32 v7, 0, v7, vcc
	v_cndmask_b32_e32 v6, 7, v6, vcc
	v_min_i32_e32 v2, 15, v5
	v_cmp_eq_u64_e64 s[18:19], 0, v[6:7]
	v_lshlrev_b32_e32 v2, 3, v2
	v_cmp_eq_u32_e32 vcc, 0, v5
	v_and_b32_e32 v2, 0xf8, v2
	v_and_or_b32 v2, v6, 7, v2
	s_and_b64 s[18:19], vcc, s[18:19]
	v_cndmask_b32_e64 v2, v2, 0, s[18:19]
	v_or_b32_e32 v2, v2, v4
	buffer_store_dword v2, off, s[0:3], s33 offset:92 ; 4-byte Folded Spill
.LBB6_3648:                             ;   in Loop: Header=BB6_3598 Depth=2
	s_or_b64 exec, exec, s[88:89]
                                        ; implicit-def: $vgpr4
.LBB6_3649:                             ;   in Loop: Header=BB6_3598 Depth=2
	s_andn2_saveexec_b64 s[18:19], s[78:79]
	s_cbranch_execz .LBB6_3651
; %bb.3650:                             ;   in Loop: Header=BB6_3598 Depth=2
	v_or_b32_e32 v2, 0x7e, v4
	buffer_store_dword v2, off, s[0:3], s33 offset:92 ; 4-byte Folded Spill
.LBB6_3651:                             ;   in Loop: Header=BB6_3598 Depth=2
	s_or_b64 exec, exec, s[18:19]
                                        ; implicit-def: $vgpr5
.LBB6_3652:                             ;   in Loop: Header=BB6_3598 Depth=2
	s_andn2_saveexec_b64 s[18:19], s[76:77]
	s_cbranch_execz .LBB6_3654
; %bb.3653:                             ;   in Loop: Header=BB6_3598 Depth=2
	v_or_b32_sdwa v2, v5, s50 dst_sel:DWORD dst_unused:UNUSED_PAD src0_sel:BYTE_3 src1_sel:DWORD
	buffer_store_dword v2, off, s[0:3], s33 offset:92 ; 4-byte Folded Spill
.LBB6_3654:                             ;   in Loop: Header=BB6_3598 Depth=2
	s_or_b64 exec, exec, s[18:19]
	v_lshrrev_b32_e32 v2, 16, v48
	v_cmp_ne_u16_sdwa s[76:77], v2, v3 src0_sel:BYTE_0 src1_sel:DWORD
	v_mov_b32_e32 v4, 0
	v_mov_b32_e32 v5, 0
	s_and_saveexec_b64 s[18:19], s[76:77]
	s_cbranch_execz .LBB6_3660
; %bb.3655:                             ;   in Loop: Header=BB6_3598 Depth=2
	v_cmp_ne_u16_sdwa s[78:79], v2, s49 src0_sel:BYTE_0 src1_sel:DWORD
	v_bfrev_b32_e32 v5, 1
	s_and_saveexec_b64 s[76:77], s[78:79]
	s_cbranch_execz .LBB6_3659
; %bb.3656:                             ;   in Loop: Header=BB6_3598 Depth=2
	v_bfe_u32 v6, v48, 16, 7
	v_cmp_ne_u32_e32 vcc, s50, v6
	v_mov_b32_e32 v5, 0x7f800001
	s_and_saveexec_b64 s[78:79], vcc
	s_cbranch_execz .LBB6_3658
; %bb.3657:                             ;   in Loop: Header=BB6_3598 Depth=2
	v_and_b32_e32 v7, 7, v2
	v_ffbh_u32_e32 v5, v7
	v_min_u32_e32 v9, 32, v5
	v_subrev_u32_e32 v5, 28, v9
	v_lshrrev_b32_e32 v8, 3, v6
	v_cmp_gt_u32_e32 vcc, 8, v6
	v_lshlrev_b64 v[5:6], v5, v[2:3]
	v_sub_u32_e32 v6, 29, v9
	v_and_b32_e32 v5, 7, v5
	v_cndmask_b32_e32 v6, v8, v6, vcc
	v_cndmask_b32_e32 v5, v7, v5, vcc
	v_lshlrev_b32_e32 v2, 24, v2
	v_lshlrev_b32_e32 v5, 20, v5
	v_and_b32_e32 v2, 0x80000000, v2
	v_lshl_add_u32 v6, v6, 23, v57
	v_or3_b32 v5, v2, v6, v5
.LBB6_3658:                             ;   in Loop: Header=BB6_3598 Depth=2
	s_or_b64 exec, exec, s[78:79]
.LBB6_3659:                             ;   in Loop: Header=BB6_3598 Depth=2
	s_or_b64 exec, exec, s[76:77]
.LBB6_3660:                             ;   in Loop: Header=BB6_3598 Depth=2
	s_or_b64 exec, exec, s[18:19]
	v_lshrrev_b32_e32 v2, 16, v36
	v_cmp_ne_u16_sdwa s[76:77], v2, v3 src0_sel:BYTE_0 src1_sel:DWORD
	s_and_saveexec_b64 s[18:19], s[76:77]
	s_cbranch_execz .LBB6_3666
; %bb.3661:                             ;   in Loop: Header=BB6_3598 Depth=2
	v_cmp_ne_u16_sdwa s[78:79], v2, s49 src0_sel:BYTE_0 src1_sel:DWORD
	v_bfrev_b32_e32 v4, 1
	s_and_saveexec_b64 s[76:77], s[78:79]
	s_cbranch_execz .LBB6_3665
; %bb.3662:                             ;   in Loop: Header=BB6_3598 Depth=2
	v_bfe_u32 v6, v36, 16, 7
	v_cmp_ne_u32_e32 vcc, s50, v6
	v_mov_b32_e32 v4, 0x7f800001
	s_and_saveexec_b64 s[78:79], vcc
	s_cbranch_execz .LBB6_3664
; %bb.3663:                             ;   in Loop: Header=BB6_3598 Depth=2
	v_and_b32_e32 v4, 7, v2
	v_lshrrev_b32_e32 v8, 3, v6
	v_cmp_gt_u32_e32 vcc, 8, v6
	v_ffbh_u32_e32 v6, v4
	v_min_u32_e32 v9, 32, v6
	v_subrev_u32_e32 v6, 28, v9
	v_lshlrev_b64 v[6:7], v6, v[2:3]
	v_sub_u32_e32 v2, 29, v9
	v_and_b32_e32 v6, 7, v6
	v_cndmask_b32_e32 v2, v8, v2, vcc
	v_cndmask_b32_e32 v4, v4, v6, vcc
	v_lshlrev_b32_e32 v6, 8, v36
	v_lshlrev_b32_e32 v4, 20, v4
	v_and_b32_e32 v6, 0x80000000, v6
	v_lshl_add_u32 v2, v2, 23, v57
	v_or3_b32 v4, v6, v2, v4
.LBB6_3664:                             ;   in Loop: Header=BB6_3598 Depth=2
	s_or_b64 exec, exec, s[78:79]
.LBB6_3665:                             ;   in Loop: Header=BB6_3598 Depth=2
	s_or_b64 exec, exec, s[76:77]
.LBB6_3666:                             ;   in Loop: Header=BB6_3598 Depth=2
	s_or_b64 exec, exec, s[18:19]
	v_add_f32_e32 v5, v5, v4
	v_and_b32_e32 v2, 0x7f800000, v5
	v_cmp_ne_u64_e32 vcc, s[46:47], v[2:3]
                                        ; implicit-def: $vgpr2
                                        ; kill: killed $vgpr2
	s_and_saveexec_b64 s[18:19], vcc
	s_xor_b64 s[76:77], exec, s[18:19]
	s_cbranch_execz .LBB6_3680
; %bb.3667:                             ;   in Loop: Header=BB6_3598 Depth=2
	v_and_b32_e32 v2, 0x7fffffff, v5
	v_cmp_gt_u64_e32 vcc, s[56:57], v[2:3]
	v_and_b32_sdwa v4, v5, s49 dst_sel:DWORD dst_unused:UNUSED_PAD src0_sel:BYTE_3 src1_sel:DWORD
                                        ; implicit-def: $vgpr2
                                        ; kill: killed $vgpr2
	s_and_saveexec_b64 s[18:19], vcc
	s_xor_b64 s[78:79], exec, s[18:19]
	s_cbranch_execz .LBB6_3677
; %bb.3668:                             ;   in Loop: Header=BB6_3598 Depth=2
	v_mov_b32_e32 v2, 0
	v_cmp_ne_u32_e32 vcc, 0, v5
	buffer_store_dword v2, off, s[0:3], s33 offset:96 ; 4-byte Folded Spill
	s_and_saveexec_b64 s[88:89], vcc
	s_cbranch_execz .LBB6_3676
; %bb.3669:                             ;   in Loop: Header=BB6_3598 Depth=2
	v_and_b32_e32 v2, 0x7fffff, v5
	v_bfe_u32 v5, v5, 23, 8
	v_cmp_gt_u32_e64 s[18:19], s51, v5
	v_sub_u32_e32 v6, 0x79, v5
	v_cmp_eq_u32_e32 vcc, 0, v5
	v_cndmask_b32_e64 v6, 0, v6, s[18:19]
	v_mov_b32_e32 v8, 0x78
	v_or_b32_e32 v7, 0x800000, v2
	v_cndmask_b32_e32 v6, v6, v8, vcc
	v_cndmask_b32_e32 v2, v7, v2, vcc
	v_add_u32_e32 v7, 20, v6
	v_lshlrev_b64 v[7:8], v7, -1
	v_add_u32_e32 v9, 19, v6
	v_lshlrev_b64 v[30:31], v9, 1
	v_bfi_b32 v8, v8, 0, 0
	v_bfi_b32 v7, v7, 0, v2
	v_cmp_eq_u64_e64 s[18:19], v[7:8], v[30:31]
	v_lshrrev_b64 v[30:31], v6, v[2:3]
	v_mov_b32_e32 v43, v31
	v_mov_b32_e32 v42, v30
	s_and_saveexec_b64 s[90:91], s[18:19]
; %bb.3670:                             ;   in Loop: Header=BB6_3598 Depth=2
	v_bfe_u32 v2, v30, 20, 1
	v_add_co_u32_e64 v2, s[18:19], v30, v2
	v_add_co_u32_e64 v42, s[18:19], -1, v2
; %bb.3671:                             ;   in Loop: Header=BB6_3598 Depth=2
	s_or_b64 exec, exec, s[90:91]
	v_add_u32_e32 v2, 0xffffff81, v5
	v_mov_b32_e32 v5, 0xffffff82
	v_cndmask_b32_e32 v2, v2, v5, vcc
	v_lshrrev_b32_e32 v5, 23, v30
	v_add3_u32 v7, v6, v2, v5
	v_add_u32_e32 v6, 6, v7
	v_and_b32_e32 v2, 0xfffff, v42
	v_add_u32_e32 v2, v2, v30
	v_cmp_ne_u32_e32 vcc, 0, v6
                                        ; implicit-def: $vgpr30_vgpr31
                                        ; implicit-def: $vgpr5
	s_and_saveexec_b64 s[18:19], vcc
	s_xor_b64 s[18:19], exec, s[18:19]
; %bb.3672:                             ;   in Loop: Header=BB6_3598 Depth=2
	v_cmp_lt_u64_e32 vcc, s[58:59], v[2:3]
	v_add_u32_e32 v5, 7, v7
	v_cndmask_b32_e32 v5, v6, v5, vcc
	v_cndmask_b32_e64 v6, 0, 1, vcc
	v_lshrrev_b64 v[30:31], v6, v[2:3]
; %bb.3673:                             ;   in Loop: Header=BB6_3598 Depth=2
	s_andn2_saveexec_b64 s[18:19], s[18:19]
; %bb.3674:                             ;   in Loop: Header=BB6_3598 Depth=2
	v_mov_b32_e32 v31, v3
	v_bfe_u32 v5, v2, 23, 1
	v_mov_b32_e32 v30, v2
; %bb.3675:                             ;   in Loop: Header=BB6_3598 Depth=2
	s_or_b64 exec, exec, s[18:19]
	v_lshrrev_b64 v[6:7], 20, v[30:31]
	v_cmp_gt_i32_e32 vcc, 16, v5
	v_cndmask_b32_e32 v7, 0, v7, vcc
	v_cndmask_b32_e32 v6, 7, v6, vcc
	v_min_i32_e32 v2, 15, v5
	v_cmp_eq_u64_e64 s[18:19], 0, v[6:7]
	v_lshlrev_b32_e32 v2, 3, v2
	v_cmp_eq_u32_e32 vcc, 0, v5
	v_and_b32_e32 v2, 0xf8, v2
	v_and_or_b32 v2, v6, 7, v2
	s_and_b64 s[18:19], vcc, s[18:19]
	v_cndmask_b32_e64 v2, v2, 0, s[18:19]
	v_or_b32_e32 v2, v2, v4
	buffer_store_dword v2, off, s[0:3], s33 offset:96 ; 4-byte Folded Spill
.LBB6_3676:                             ;   in Loop: Header=BB6_3598 Depth=2
	s_or_b64 exec, exec, s[88:89]
                                        ; implicit-def: $vgpr4
.LBB6_3677:                             ;   in Loop: Header=BB6_3598 Depth=2
	s_andn2_saveexec_b64 s[18:19], s[78:79]
	s_cbranch_execz .LBB6_3679
; %bb.3678:                             ;   in Loop: Header=BB6_3598 Depth=2
	v_or_b32_e32 v2, 0x7e, v4
	buffer_store_dword v2, off, s[0:3], s33 offset:96 ; 4-byte Folded Spill
.LBB6_3679:                             ;   in Loop: Header=BB6_3598 Depth=2
	s_or_b64 exec, exec, s[18:19]
                                        ; implicit-def: $vgpr5
.LBB6_3680:                             ;   in Loop: Header=BB6_3598 Depth=2
	s_andn2_saveexec_b64 s[18:19], s[76:77]
	s_cbranch_execz .LBB6_3682
; %bb.3681:                             ;   in Loop: Header=BB6_3598 Depth=2
	v_or_b32_sdwa v2, v5, s50 dst_sel:DWORD dst_unused:UNUSED_PAD src0_sel:BYTE_3 src1_sel:DWORD
	buffer_store_dword v2, off, s[0:3], s33 offset:96 ; 4-byte Folded Spill
.LBB6_3682:                             ;   in Loop: Header=BB6_3598 Depth=2
	s_or_b64 exec, exec, s[18:19]
	v_cmp_lt_u32_e32 vcc, s61, v48
	v_mov_b32_e32 v4, 0
	v_mov_b32_e32 v5, 0
	s_and_saveexec_b64 s[18:19], vcc
	s_cbranch_execz .LBB6_3688
; %bb.3683:                             ;   in Loop: Header=BB6_3598 Depth=2
	v_lshrrev_b32_e32 v2, 24, v48
	v_cmp_ne_u32_e32 vcc, s49, v2
	v_bfrev_b32_e32 v5, 1
	s_and_saveexec_b64 s[76:77], vcc
	s_cbranch_execz .LBB6_3687
; %bb.3684:                             ;   in Loop: Header=BB6_3598 Depth=2
	v_bfe_u32 v6, v48, 24, 7
	v_cmp_ne_u32_e32 vcc, s50, v6
	v_mov_b32_e32 v5, 0x7f800001
	s_and_saveexec_b64 s[78:79], vcc
	s_cbranch_execz .LBB6_3686
; %bb.3685:                             ;   in Loop: Header=BB6_3598 Depth=2
	v_and_b32_e32 v7, 7, v2
	v_ffbh_u32_e32 v5, v7
	v_min_u32_e32 v9, 32, v5
	v_subrev_u32_e32 v5, 28, v9
	v_lshrrev_b32_e32 v8, 3, v6
	v_cmp_gt_u32_e32 vcc, 8, v6
	v_lshlrev_b64 v[5:6], v5, v[2:3]
	v_sub_u32_e32 v6, 29, v9
	v_and_b32_e32 v5, 7, v5
	v_cndmask_b32_e32 v6, v8, v6, vcc
	v_cndmask_b32_e32 v5, v7, v5, vcc
	v_lshlrev_b32_e32 v2, 24, v2
	v_lshlrev_b32_e32 v5, 20, v5
	v_and_b32_e32 v2, 0x80000000, v2
	v_lshl_add_u32 v6, v6, 23, v57
	v_or3_b32 v5, v2, v6, v5
.LBB6_3686:                             ;   in Loop: Header=BB6_3598 Depth=2
	s_or_b64 exec, exec, s[78:79]
.LBB6_3687:                             ;   in Loop: Header=BB6_3598 Depth=2
	s_or_b64 exec, exec, s[76:77]
.LBB6_3688:                             ;   in Loop: Header=BB6_3598 Depth=2
	s_or_b64 exec, exec, s[18:19]
	v_cmp_lt_u32_e32 vcc, s61, v36
	s_and_saveexec_b64 s[18:19], vcc
	s_cbranch_execz .LBB6_3694
; %bb.3689:                             ;   in Loop: Header=BB6_3598 Depth=2
	v_lshrrev_b32_e32 v2, 24, v36
	v_cmp_ne_u32_e32 vcc, s49, v2
	v_bfrev_b32_e32 v4, 1
	s_and_saveexec_b64 s[76:77], vcc
	s_cbranch_execz .LBB6_3693
; %bb.3690:                             ;   in Loop: Header=BB6_3598 Depth=2
	v_bfe_u32 v6, v36, 24, 7
	v_cmp_ne_u32_e32 vcc, s50, v6
	v_mov_b32_e32 v4, 0x7f800001
	s_and_saveexec_b64 s[78:79], vcc
	s_cbranch_execz .LBB6_3692
; %bb.3691:                             ;   in Loop: Header=BB6_3598 Depth=2
	v_and_b32_e32 v4, 7, v2
	v_lshrrev_b32_e32 v8, 3, v6
	v_cmp_gt_u32_e32 vcc, 8, v6
	v_ffbh_u32_e32 v6, v4
	v_min_u32_e32 v9, 32, v6
	v_subrev_u32_e32 v6, 28, v9
	v_lshlrev_b64 v[6:7], v6, v[2:3]
	v_sub_u32_e32 v7, 29, v9
	v_and_b32_e32 v6, 7, v6
	v_cndmask_b32_e32 v7, v8, v7, vcc
	v_cndmask_b32_e32 v4, v4, v6, vcc
	v_lshlrev_b32_e32 v2, 24, v2
	v_lshlrev_b32_e32 v4, 20, v4
	v_and_b32_e32 v2, 0x80000000, v2
	v_lshl_add_u32 v6, v7, 23, v57
	v_or3_b32 v4, v2, v6, v4
.LBB6_3692:                             ;   in Loop: Header=BB6_3598 Depth=2
	s_or_b64 exec, exec, s[78:79]
.LBB6_3693:                             ;   in Loop: Header=BB6_3598 Depth=2
	s_or_b64 exec, exec, s[76:77]
.LBB6_3694:                             ;   in Loop: Header=BB6_3598 Depth=2
	s_or_b64 exec, exec, s[18:19]
	v_add_f32_e32 v5, v5, v4
	v_and_b32_e32 v2, 0x7f800000, v5
	v_cmp_ne_u64_e32 vcc, s[46:47], v[2:3]
                                        ; implicit-def: $vgpr2
                                        ; kill: killed $vgpr2
	s_and_saveexec_b64 s[18:19], vcc
	s_xor_b64 s[76:77], exec, s[18:19]
	s_cbranch_execz .LBB6_3708
; %bb.3695:                             ;   in Loop: Header=BB6_3598 Depth=2
	v_and_b32_e32 v2, 0x7fffffff, v5
	v_cmp_gt_u64_e32 vcc, s[56:57], v[2:3]
	v_and_b32_sdwa v4, v5, s49 dst_sel:DWORD dst_unused:UNUSED_PAD src0_sel:BYTE_3 src1_sel:DWORD
                                        ; implicit-def: $vgpr2
                                        ; kill: killed $vgpr2
	s_and_saveexec_b64 s[18:19], vcc
	s_xor_b64 s[78:79], exec, s[18:19]
	s_cbranch_execz .LBB6_3705
; %bb.3696:                             ;   in Loop: Header=BB6_3598 Depth=2
	v_mov_b32_e32 v2, 0
	v_cmp_ne_u32_e32 vcc, 0, v5
	buffer_store_dword v2, off, s[0:3], s33 offset:100 ; 4-byte Folded Spill
	s_and_saveexec_b64 s[88:89], vcc
	s_cbranch_execz .LBB6_3704
; %bb.3697:                             ;   in Loop: Header=BB6_3598 Depth=2
	v_and_b32_e32 v2, 0x7fffff, v5
	v_bfe_u32 v5, v5, 23, 8
	v_cmp_gt_u32_e64 s[18:19], s51, v5
	v_sub_u32_e32 v6, 0x79, v5
	v_cmp_eq_u32_e32 vcc, 0, v5
	v_cndmask_b32_e64 v6, 0, v6, s[18:19]
	v_mov_b32_e32 v8, 0x78
	v_or_b32_e32 v7, 0x800000, v2
	v_cndmask_b32_e32 v6, v6, v8, vcc
	v_cndmask_b32_e32 v2, v7, v2, vcc
	v_add_u32_e32 v7, 20, v6
	v_lshlrev_b64 v[7:8], v7, -1
	v_add_u32_e32 v9, 19, v6
	v_lshlrev_b64 v[30:31], v9, 1
	v_bfi_b32 v8, v8, 0, 0
	v_bfi_b32 v7, v7, 0, v2
	v_cmp_eq_u64_e64 s[18:19], v[7:8], v[30:31]
	v_lshrrev_b64 v[30:31], v6, v[2:3]
	v_mov_b32_e32 v43, v31
	v_mov_b32_e32 v42, v30
	s_and_saveexec_b64 s[90:91], s[18:19]
; %bb.3698:                             ;   in Loop: Header=BB6_3598 Depth=2
	v_bfe_u32 v2, v30, 20, 1
	v_add_co_u32_e64 v2, s[18:19], v30, v2
	v_add_co_u32_e64 v42, s[18:19], -1, v2
; %bb.3699:                             ;   in Loop: Header=BB6_3598 Depth=2
	s_or_b64 exec, exec, s[90:91]
	v_add_u32_e32 v2, 0xffffff81, v5
	v_mov_b32_e32 v5, 0xffffff82
	v_cndmask_b32_e32 v2, v2, v5, vcc
	v_lshrrev_b32_e32 v5, 23, v30
	v_add3_u32 v7, v6, v2, v5
	v_add_u32_e32 v6, 6, v7
	v_and_b32_e32 v2, 0xfffff, v42
	v_add_u32_e32 v2, v2, v30
	v_cmp_ne_u32_e32 vcc, 0, v6
                                        ; implicit-def: $vgpr30_vgpr31
                                        ; implicit-def: $vgpr5
	s_and_saveexec_b64 s[18:19], vcc
	s_xor_b64 s[18:19], exec, s[18:19]
; %bb.3700:                             ;   in Loop: Header=BB6_3598 Depth=2
	v_cmp_lt_u64_e32 vcc, s[58:59], v[2:3]
	v_add_u32_e32 v5, 7, v7
	v_cndmask_b32_e32 v5, v6, v5, vcc
	v_cndmask_b32_e64 v6, 0, 1, vcc
	v_lshrrev_b64 v[30:31], v6, v[2:3]
; %bb.3701:                             ;   in Loop: Header=BB6_3598 Depth=2
	s_andn2_saveexec_b64 s[18:19], s[18:19]
; %bb.3702:                             ;   in Loop: Header=BB6_3598 Depth=2
	v_mov_b32_e32 v31, v3
	v_bfe_u32 v5, v2, 23, 1
	v_mov_b32_e32 v30, v2
; %bb.3703:                             ;   in Loop: Header=BB6_3598 Depth=2
	s_or_b64 exec, exec, s[18:19]
	v_lshrrev_b64 v[6:7], 20, v[30:31]
	v_cmp_gt_i32_e32 vcc, 16, v5
	v_cndmask_b32_e32 v7, 0, v7, vcc
	v_cndmask_b32_e32 v6, 7, v6, vcc
	v_min_i32_e32 v2, 15, v5
	v_cmp_eq_u64_e64 s[18:19], 0, v[6:7]
	v_lshlrev_b32_e32 v2, 3, v2
	v_cmp_eq_u32_e32 vcc, 0, v5
	v_and_b32_e32 v2, 0xf8, v2
	v_and_or_b32 v2, v6, 7, v2
	s_and_b64 s[18:19], vcc, s[18:19]
	v_cndmask_b32_e64 v2, v2, 0, s[18:19]
	v_or_b32_e32 v2, v2, v4
	buffer_store_dword v2, off, s[0:3], s33 offset:100 ; 4-byte Folded Spill
.LBB6_3704:                             ;   in Loop: Header=BB6_3598 Depth=2
	s_or_b64 exec, exec, s[88:89]
                                        ; implicit-def: $vgpr4
.LBB6_3705:                             ;   in Loop: Header=BB6_3598 Depth=2
	s_andn2_saveexec_b64 s[18:19], s[78:79]
	s_cbranch_execz .LBB6_3707
; %bb.3706:                             ;   in Loop: Header=BB6_3598 Depth=2
	v_or_b32_e32 v2, 0x7e, v4
	buffer_store_dword v2, off, s[0:3], s33 offset:100 ; 4-byte Folded Spill
.LBB6_3707:                             ;   in Loop: Header=BB6_3598 Depth=2
	s_or_b64 exec, exec, s[18:19]
                                        ; implicit-def: $vgpr5
.LBB6_3708:                             ;   in Loop: Header=BB6_3598 Depth=2
	s_andn2_saveexec_b64 s[18:19], s[76:77]
	s_cbranch_execz .LBB6_3710
; %bb.3709:                             ;   in Loop: Header=BB6_3598 Depth=2
	v_or_b32_sdwa v2, v5, s50 dst_sel:DWORD dst_unused:UNUSED_PAD src0_sel:BYTE_3 src1_sel:DWORD
	buffer_store_dword v2, off, s[0:3], s33 offset:100 ; 4-byte Folded Spill
.LBB6_3710:                             ;   in Loop: Header=BB6_3598 Depth=2
	s_or_b64 exec, exec, s[18:19]
	v_mov_b32_e32 v2, v49
	v_cmp_ne_u16_sdwa s[76:77], v49, v3 src0_sel:BYTE_0 src1_sel:DWORD
	v_mov_b32_e32 v5, 0
	v_mov_b32_e32 v4, 0
	s_and_saveexec_b64 s[18:19], s[76:77]
	s_cbranch_execz .LBB6_3716
; %bb.3711:                             ;   in Loop: Header=BB6_3598 Depth=2
	v_cmp_ne_u16_sdwa s[78:79], v49, s49 src0_sel:BYTE_0 src1_sel:DWORD
	v_bfrev_b32_e32 v4, 1
	s_and_saveexec_b64 s[76:77], s[78:79]
	s_cbranch_execz .LBB6_3715
; %bb.3712:                             ;   in Loop: Header=BB6_3598 Depth=2
	v_and_b32_e32 v6, 0x7f, v49
	v_cmp_ne_u32_e32 vcc, s50, v6
	v_mov_b32_e32 v4, 0x7f800001
	s_and_saveexec_b64 s[78:79], vcc
	s_cbranch_execz .LBB6_3714
; %bb.3713:                             ;   in Loop: Header=BB6_3598 Depth=2
	v_and_b32_e32 v4, 7, v49
	v_ffbh_u32_e32 v4, v4
	v_min_u32_e32 v4, 32, v4
	v_lshrrev_b32_e32 v7, 3, v6
	v_cmp_gt_u32_e32 vcc, 8, v6
	v_subrev_u32_e32 v6, 28, v4
	v_sub_u32_e32 v4, 29, v4
	v_cndmask_b32_e32 v6, 0, v6, vcc
	v_cndmask_b32_e32 v4, v7, v4, vcc
	v_lshlrev_b64 v[6:7], v6, v[2:3]
	v_lshlrev_b32_e32 v7, 24, v2
	v_lshlrev_b32_e32 v6, 20, v6
	v_and_b32_e32 v6, 0x700000, v6
	v_and_b32_e32 v7, 0x80000000, v7
	v_lshl_add_u32 v4, v4, 23, v57
	v_or3_b32 v4, v7, v4, v6
.LBB6_3714:                             ;   in Loop: Header=BB6_3598 Depth=2
	s_or_b64 exec, exec, s[78:79]
.LBB6_3715:                             ;   in Loop: Header=BB6_3598 Depth=2
	s_or_b64 exec, exec, s[76:77]
.LBB6_3716:                             ;   in Loop: Header=BB6_3598 Depth=2
	s_or_b64 exec, exec, s[18:19]
	v_cmp_ne_u16_sdwa s[76:77], v37, v3 src0_sel:BYTE_0 src1_sel:DWORD
	s_and_saveexec_b64 s[18:19], s[76:77]
	s_cbranch_execz .LBB6_3722
; %bb.3717:                             ;   in Loop: Header=BB6_3598 Depth=2
	v_cmp_ne_u16_sdwa s[78:79], v37, s49 src0_sel:BYTE_0 src1_sel:DWORD
	v_bfrev_b32_e32 v5, 1
	s_and_saveexec_b64 s[76:77], s[78:79]
	s_cbranch_execz .LBB6_3721
; %bb.3718:                             ;   in Loop: Header=BB6_3598 Depth=2
	v_and_b32_e32 v6, 0x7f, v37
	v_cmp_ne_u32_e32 vcc, s50, v6
	v_mov_b32_e32 v5, 0x7f800001
	s_and_saveexec_b64 s[78:79], vcc
	s_cbranch_execz .LBB6_3720
; %bb.3719:                             ;   in Loop: Header=BB6_3598 Depth=2
	v_and_b32_e32 v5, 7, v37
	v_ffbh_u32_e32 v5, v5
	v_min_u32_e32 v5, 32, v5
	v_lshrrev_b32_e32 v9, 3, v6
	v_cmp_gt_u32_e32 vcc, 8, v6
	v_subrev_u32_e32 v6, 28, v5
	v_sub_u32_e32 v5, 29, v5
	v_mov_b32_e32 v7, v37
	v_mov_b32_e32 v8, v3
	v_cndmask_b32_e32 v9, v9, v5, vcc
	v_cndmask_b32_e32 v5, 0, v6, vcc
	v_lshlrev_b64 v[5:6], v5, v[7:8]
	v_lshlrev_b32_e32 v6, 24, v7
	v_lshlrev_b32_e32 v5, 20, v5
	v_and_b32_e32 v5, 0x700000, v5
	v_and_b32_e32 v6, 0x80000000, v6
	v_lshl_add_u32 v7, v9, 23, v57
	v_or3_b32 v5, v6, v7, v5
.LBB6_3720:                             ;   in Loop: Header=BB6_3598 Depth=2
	s_or_b64 exec, exec, s[78:79]
.LBB6_3721:                             ;   in Loop: Header=BB6_3598 Depth=2
	s_or_b64 exec, exec, s[76:77]
.LBB6_3722:                             ;   in Loop: Header=BB6_3598 Depth=2
	s_or_b64 exec, exec, s[18:19]
	v_add_f32_e32 v5, v4, v5
	v_and_b32_e32 v6, 0x7f800000, v5
	v_mov_b32_e32 v7, v3
	v_cmp_ne_u64_e32 vcc, s[46:47], v[6:7]
                                        ; implicit-def: $vgpr4
                                        ; kill: killed $vgpr4
	s_and_saveexec_b64 s[18:19], vcc
	s_xor_b64 s[76:77], exec, s[18:19]
	s_cbranch_execz .LBB6_3736
; %bb.3723:                             ;   in Loop: Header=BB6_3598 Depth=2
	v_and_b32_e32 v6, 0x7fffffff, v5
	v_mov_b32_e32 v7, v3
	v_cmp_gt_u64_e32 vcc, s[56:57], v[6:7]
	v_and_b32_sdwa v4, v5, s49 dst_sel:DWORD dst_unused:UNUSED_PAD src0_sel:BYTE_3 src1_sel:DWORD
                                        ; implicit-def: $vgpr6
                                        ; kill: killed $vgpr6
	s_and_saveexec_b64 s[18:19], vcc
	s_xor_b64 s[78:79], exec, s[18:19]
	s_cbranch_execz .LBB6_3733
; %bb.3724:                             ;   in Loop: Header=BB6_3598 Depth=2
	v_mov_b32_e32 v6, 0
	v_cmp_ne_u32_e32 vcc, 0, v5
	buffer_store_dword v6, off, s[0:3], s33 offset:104 ; 4-byte Folded Spill
	s_and_saveexec_b64 s[88:89], vcc
	s_cbranch_execz .LBB6_3732
; %bb.3725:                             ;   in Loop: Header=BB6_3598 Depth=2
	v_and_b32_e32 v7, 0x7fffff, v5
	v_bfe_u32 v5, v5, 23, 8
	v_cmp_gt_u32_e64 s[18:19], s51, v5
	v_sub_u32_e32 v6, 0x79, v5
	v_cmp_eq_u32_e32 vcc, 0, v5
	v_cndmask_b32_e64 v6, 0, v6, s[18:19]
	v_mov_b32_e32 v9, 0x78
	v_cndmask_b32_e32 v6, v6, v9, vcc
	v_add_u32_e32 v9, 20, v6
	v_or_b32_e32 v8, 0x800000, v7
	v_lshlrev_b64 v[30:31], v9, -1
	v_add_u32_e32 v9, 19, v6
	v_cndmask_b32_e32 v7, v8, v7, vcc
	v_lshlrev_b64 v[54:55], v9, 1
	v_mov_b32_e32 v8, v3
	v_bfi_b32 v31, v31, 0, 0
	v_bfi_b32 v30, v30, 0, v7
	v_cmp_eq_u64_e64 s[18:19], v[30:31], v[54:55]
	v_lshrrev_b64 v[30:31], v6, v[7:8]
	v_mov_b32_e32 v43, v31
	v_mov_b32_e32 v42, v30
	s_and_saveexec_b64 s[90:91], s[18:19]
; %bb.3726:                             ;   in Loop: Header=BB6_3598 Depth=2
	v_bfe_u32 v7, v30, 20, 1
	v_add_co_u32_e64 v7, s[18:19], v30, v7
	v_add_co_u32_e64 v42, s[18:19], -1, v7
; %bb.3727:                             ;   in Loop: Header=BB6_3598 Depth=2
	s_or_b64 exec, exec, s[90:91]
	v_add_u32_e32 v5, 0xffffff81, v5
	v_mov_b32_e32 v7, 0xffffff82
	v_cndmask_b32_e32 v5, v5, v7, vcc
	v_lshrrev_b32_e32 v7, 23, v30
	v_add3_u32 v7, v6, v5, v7
	v_add_u32_e32 v6, 6, v7
	v_and_b32_e32 v5, 0xfffff, v42
	v_add_u32_e32 v30, v5, v30
	v_mov_b32_e32 v31, v3
	v_cmp_ne_u32_e32 vcc, 0, v6
                                        ; implicit-def: $vgpr5
	s_and_saveexec_b64 s[18:19], vcc
	s_xor_b64 s[18:19], exec, s[18:19]
; %bb.3728:                             ;   in Loop: Header=BB6_3598 Depth=2
	v_cmp_lt_u64_e32 vcc, s[58:59], v[30:31]
	v_add_u32_e32 v5, 7, v7
	v_cndmask_b32_e32 v5, v6, v5, vcc
	v_cndmask_b32_e64 v6, 0, 1, vcc
	v_lshrrev_b64 v[30:31], v6, v[30:31]
; %bb.3729:                             ;   in Loop: Header=BB6_3598 Depth=2
	s_andn2_saveexec_b64 s[18:19], s[18:19]
; %bb.3730:                             ;   in Loop: Header=BB6_3598 Depth=2
	v_bfe_u32 v5, v30, 23, 1
; %bb.3731:                             ;   in Loop: Header=BB6_3598 Depth=2
	s_or_b64 exec, exec, s[18:19]
	v_lshrrev_b64 v[6:7], 20, v[30:31]
	v_cmp_gt_i32_e32 vcc, 16, v5
	v_cndmask_b32_e32 v7, 0, v7, vcc
	v_cndmask_b32_e32 v6, 7, v6, vcc
	v_cmp_eq_u32_e32 vcc, 0, v5
	v_min_i32_e32 v5, 15, v5
	v_cmp_eq_u64_e64 s[18:19], 0, v[6:7]
	v_lshlrev_b32_e32 v5, 3, v5
	v_and_b32_e32 v5, 0xf8, v5
	v_and_or_b32 v5, v6, 7, v5
	s_and_b64 s[18:19], vcc, s[18:19]
	v_cndmask_b32_e64 v5, v5, 0, s[18:19]
	v_or_b32_e32 v4, v5, v4
	buffer_store_dword v4, off, s[0:3], s33 offset:104 ; 4-byte Folded Spill
.LBB6_3732:                             ;   in Loop: Header=BB6_3598 Depth=2
	s_or_b64 exec, exec, s[88:89]
                                        ; implicit-def: $vgpr4
.LBB6_3733:                             ;   in Loop: Header=BB6_3598 Depth=2
	s_andn2_saveexec_b64 s[18:19], s[78:79]
	s_cbranch_execz .LBB6_3735
; %bb.3734:                             ;   in Loop: Header=BB6_3598 Depth=2
	v_or_b32_e32 v4, 0x7e, v4
	buffer_store_dword v4, off, s[0:3], s33 offset:104 ; 4-byte Folded Spill
.LBB6_3735:                             ;   in Loop: Header=BB6_3598 Depth=2
	s_or_b64 exec, exec, s[18:19]
                                        ; implicit-def: $vgpr5
.LBB6_3736:                             ;   in Loop: Header=BB6_3598 Depth=2
	s_andn2_saveexec_b64 s[18:19], s[76:77]
	s_cbranch_execz .LBB6_3738
; %bb.3737:                             ;   in Loop: Header=BB6_3598 Depth=2
	v_or_b32_sdwa v4, v5, s50 dst_sel:DWORD dst_unused:UNUSED_PAD src0_sel:BYTE_3 src1_sel:DWORD
	buffer_store_dword v4, off, s[0:3], s33 offset:104 ; 4-byte Folded Spill
.LBB6_3738:                             ;   in Loop: Header=BB6_3598 Depth=2
	s_or_b64 exec, exec, s[18:19]
	v_lshrrev_b16_e32 v30, 8, v2
	v_cmp_ne_u16_e32 vcc, 0, v30
	v_mov_b32_e32 v4, 0
	v_mov_b32_e32 v5, 0
	s_and_saveexec_b64 s[18:19], vcc
	s_cbranch_execz .LBB6_3744
; %bb.3739:                             ;   in Loop: Header=BB6_3598 Depth=2
	v_cmp_ne_u16_e32 vcc, s49, v30
	v_bfrev_b32_e32 v5, 1
	s_and_saveexec_b64 s[76:77], vcc
	s_cbranch_execz .LBB6_3743
; %bb.3740:                             ;   in Loop: Header=BB6_3598 Depth=2
	v_and_b32_e32 v6, 0x7f, v30
	v_cmp_ne_u32_e32 vcc, s50, v6
	v_mov_b32_e32 v5, 0x7f800001
	s_and_saveexec_b64 s[78:79], vcc
	s_cbranch_execz .LBB6_3742
; %bb.3741:                             ;   in Loop: Header=BB6_3598 Depth=2
	v_and_b32_e32 v7, 7, v30
	v_ffbh_u32_e32 v5, v7
	v_min_u32_e32 v9, 32, v5
	v_subrev_u32_e32 v5, 28, v9
	v_lshrrev_b32_e32 v8, 3, v6
	v_cmp_gt_u32_e32 vcc, 8, v6
	v_lshlrev_b64 v[5:6], v5, v[30:31]
	v_sub_u32_e32 v6, 29, v9
	v_and_b32_e32 v5, 7, v5
	v_cndmask_b32_e32 v6, v8, v6, vcc
	v_cndmask_b32_e32 v5, v7, v5, vcc
	v_lshlrev_b32_e32 v2, 16, v2
	v_lshlrev_b32_e32 v5, 20, v5
	v_and_b32_e32 v2, 0x80000000, v2
	v_lshl_add_u32 v6, v6, 23, v57
	v_or3_b32 v5, v2, v6, v5
.LBB6_3742:                             ;   in Loop: Header=BB6_3598 Depth=2
	s_or_b64 exec, exec, s[78:79]
.LBB6_3743:                             ;   in Loop: Header=BB6_3598 Depth=2
	s_or_b64 exec, exec, s[76:77]
.LBB6_3744:                             ;   in Loop: Header=BB6_3598 Depth=2
	s_or_b64 exec, exec, s[18:19]
	v_lshrrev_b16_e32 v2, 8, v37
	v_cmp_ne_u16_e32 vcc, 0, v2
	s_and_saveexec_b64 s[18:19], vcc
	s_cbranch_execz .LBB6_3750
; %bb.3745:                             ;   in Loop: Header=BB6_3598 Depth=2
	v_cmp_ne_u16_e32 vcc, s49, v2
	v_bfrev_b32_e32 v4, 1
	s_and_saveexec_b64 s[76:77], vcc
	s_cbranch_execz .LBB6_3749
; %bb.3746:                             ;   in Loop: Header=BB6_3598 Depth=2
	v_and_b32_e32 v6, 0x7f, v2
	v_cmp_ne_u32_e32 vcc, s50, v6
	v_mov_b32_e32 v4, 0x7f800001
	s_and_saveexec_b64 s[78:79], vcc
	s_cbranch_execz .LBB6_3748
; %bb.3747:                             ;   in Loop: Header=BB6_3598 Depth=2
	v_and_b32_e32 v4, 7, v2
	v_lshrrev_b32_e32 v8, 3, v6
	v_cmp_gt_u32_e32 vcc, 8, v6
	v_ffbh_u32_e32 v6, v4
	v_min_u32_e32 v9, 32, v6
	v_subrev_u32_e32 v6, 28, v9
	v_lshlrev_b64 v[6:7], v6, v[2:3]
	v_sub_u32_e32 v2, 29, v9
	v_and_b32_e32 v6, 7, v6
	v_cndmask_b32_e32 v2, v8, v2, vcc
	v_cndmask_b32_e32 v4, v4, v6, vcc
	v_lshlrev_b32_e32 v6, 16, v37
	v_lshlrev_b32_e32 v4, 20, v4
	v_and_b32_e32 v6, 0x80000000, v6
	v_lshl_add_u32 v2, v2, 23, v57
	v_or3_b32 v4, v6, v2, v4
.LBB6_3748:                             ;   in Loop: Header=BB6_3598 Depth=2
	s_or_b64 exec, exec, s[78:79]
.LBB6_3749:                             ;   in Loop: Header=BB6_3598 Depth=2
	s_or_b64 exec, exec, s[76:77]
.LBB6_3750:                             ;   in Loop: Header=BB6_3598 Depth=2
	s_or_b64 exec, exec, s[18:19]
	v_add_f32_e32 v5, v5, v4
	v_and_b32_e32 v2, 0x7f800000, v5
	v_cmp_ne_u64_e32 vcc, s[46:47], v[2:3]
                                        ; implicit-def: $vgpr2
                                        ; kill: killed $vgpr2
	s_and_saveexec_b64 s[18:19], vcc
	s_xor_b64 s[76:77], exec, s[18:19]
	s_cbranch_execz .LBB6_3764
; %bb.3751:                             ;   in Loop: Header=BB6_3598 Depth=2
	v_and_b32_e32 v2, 0x7fffffff, v5
	v_cmp_gt_u64_e32 vcc, s[56:57], v[2:3]
	v_and_b32_sdwa v4, v5, s49 dst_sel:DWORD dst_unused:UNUSED_PAD src0_sel:BYTE_3 src1_sel:DWORD
                                        ; implicit-def: $vgpr2
                                        ; kill: killed $vgpr2
	s_and_saveexec_b64 s[18:19], vcc
	s_xor_b64 s[78:79], exec, s[18:19]
	s_cbranch_execz .LBB6_3761
; %bb.3752:                             ;   in Loop: Header=BB6_3598 Depth=2
	v_mov_b32_e32 v2, 0
	v_cmp_ne_u32_e32 vcc, 0, v5
	buffer_store_dword v2, off, s[0:3], s33 offset:108 ; 4-byte Folded Spill
	s_and_saveexec_b64 s[88:89], vcc
	s_cbranch_execz .LBB6_3760
; %bb.3753:                             ;   in Loop: Header=BB6_3598 Depth=2
	v_and_b32_e32 v2, 0x7fffff, v5
	v_bfe_u32 v5, v5, 23, 8
	v_cmp_gt_u32_e64 s[18:19], s51, v5
	v_sub_u32_e32 v6, 0x79, v5
	v_cmp_eq_u32_e32 vcc, 0, v5
	v_cndmask_b32_e64 v6, 0, v6, s[18:19]
	v_mov_b32_e32 v8, 0x78
	v_or_b32_e32 v7, 0x800000, v2
	v_cndmask_b32_e32 v6, v6, v8, vcc
	v_cndmask_b32_e32 v2, v7, v2, vcc
	v_add_u32_e32 v7, 20, v6
	v_lshlrev_b64 v[7:8], v7, -1
	v_add_u32_e32 v9, 19, v6
	v_lshlrev_b64 v[30:31], v9, 1
	v_bfi_b32 v8, v8, 0, 0
	v_bfi_b32 v7, v7, 0, v2
	v_cmp_eq_u64_e64 s[18:19], v[7:8], v[30:31]
	v_lshrrev_b64 v[30:31], v6, v[2:3]
	v_mov_b32_e32 v43, v31
	v_mov_b32_e32 v42, v30
	s_and_saveexec_b64 s[90:91], s[18:19]
; %bb.3754:                             ;   in Loop: Header=BB6_3598 Depth=2
	v_bfe_u32 v2, v30, 20, 1
	v_add_co_u32_e64 v2, s[18:19], v30, v2
	v_add_co_u32_e64 v42, s[18:19], -1, v2
; %bb.3755:                             ;   in Loop: Header=BB6_3598 Depth=2
	s_or_b64 exec, exec, s[90:91]
	v_add_u32_e32 v2, 0xffffff81, v5
	v_mov_b32_e32 v5, 0xffffff82
	v_cndmask_b32_e32 v2, v2, v5, vcc
	v_lshrrev_b32_e32 v5, 23, v30
	v_add3_u32 v7, v6, v2, v5
	v_add_u32_e32 v6, 6, v7
	v_and_b32_e32 v2, 0xfffff, v42
	v_add_u32_e32 v2, v2, v30
	v_cmp_ne_u32_e32 vcc, 0, v6
                                        ; implicit-def: $vgpr30_vgpr31
                                        ; implicit-def: $vgpr5
	s_and_saveexec_b64 s[18:19], vcc
	s_xor_b64 s[18:19], exec, s[18:19]
; %bb.3756:                             ;   in Loop: Header=BB6_3598 Depth=2
	v_cmp_lt_u64_e32 vcc, s[58:59], v[2:3]
	v_add_u32_e32 v5, 7, v7
	v_cndmask_b32_e32 v5, v6, v5, vcc
	v_cndmask_b32_e64 v6, 0, 1, vcc
	v_lshrrev_b64 v[30:31], v6, v[2:3]
; %bb.3757:                             ;   in Loop: Header=BB6_3598 Depth=2
	s_andn2_saveexec_b64 s[18:19], s[18:19]
; %bb.3758:                             ;   in Loop: Header=BB6_3598 Depth=2
	v_mov_b32_e32 v31, v3
	v_bfe_u32 v5, v2, 23, 1
	v_mov_b32_e32 v30, v2
; %bb.3759:                             ;   in Loop: Header=BB6_3598 Depth=2
	s_or_b64 exec, exec, s[18:19]
	v_lshrrev_b64 v[6:7], 20, v[30:31]
	v_cmp_gt_i32_e32 vcc, 16, v5
	v_cndmask_b32_e32 v7, 0, v7, vcc
	v_cndmask_b32_e32 v6, 7, v6, vcc
	v_min_i32_e32 v2, 15, v5
	v_cmp_eq_u64_e64 s[18:19], 0, v[6:7]
	v_lshlrev_b32_e32 v2, 3, v2
	v_cmp_eq_u32_e32 vcc, 0, v5
	v_and_b32_e32 v2, 0xf8, v2
	v_and_or_b32 v2, v6, 7, v2
	s_and_b64 s[18:19], vcc, s[18:19]
	v_cndmask_b32_e64 v2, v2, 0, s[18:19]
	v_or_b32_e32 v2, v2, v4
	buffer_store_dword v2, off, s[0:3], s33 offset:108 ; 4-byte Folded Spill
.LBB6_3760:                             ;   in Loop: Header=BB6_3598 Depth=2
	s_or_b64 exec, exec, s[88:89]
                                        ; implicit-def: $vgpr4
.LBB6_3761:                             ;   in Loop: Header=BB6_3598 Depth=2
	s_andn2_saveexec_b64 s[18:19], s[78:79]
	s_cbranch_execz .LBB6_3763
; %bb.3762:                             ;   in Loop: Header=BB6_3598 Depth=2
	v_or_b32_e32 v2, 0x7e, v4
	buffer_store_dword v2, off, s[0:3], s33 offset:108 ; 4-byte Folded Spill
.LBB6_3763:                             ;   in Loop: Header=BB6_3598 Depth=2
	s_or_b64 exec, exec, s[18:19]
                                        ; implicit-def: $vgpr5
.LBB6_3764:                             ;   in Loop: Header=BB6_3598 Depth=2
	s_andn2_saveexec_b64 s[18:19], s[76:77]
	s_cbranch_execz .LBB6_3766
; %bb.3765:                             ;   in Loop: Header=BB6_3598 Depth=2
	v_or_b32_sdwa v2, v5, s50 dst_sel:DWORD dst_unused:UNUSED_PAD src0_sel:BYTE_3 src1_sel:DWORD
	buffer_store_dword v2, off, s[0:3], s33 offset:108 ; 4-byte Folded Spill
.LBB6_3766:                             ;   in Loop: Header=BB6_3598 Depth=2
	s_or_b64 exec, exec, s[18:19]
	v_lshrrev_b32_e32 v2, 16, v49
	v_cmp_ne_u16_sdwa s[76:77], v2, v3 src0_sel:BYTE_0 src1_sel:DWORD
	v_mov_b32_e32 v4, 0
	v_mov_b32_e32 v5, 0
	s_and_saveexec_b64 s[18:19], s[76:77]
	s_cbranch_execz .LBB6_3772
; %bb.3767:                             ;   in Loop: Header=BB6_3598 Depth=2
	v_cmp_ne_u16_sdwa s[78:79], v2, s49 src0_sel:BYTE_0 src1_sel:DWORD
	v_bfrev_b32_e32 v5, 1
	s_and_saveexec_b64 s[76:77], s[78:79]
	s_cbranch_execz .LBB6_3771
; %bb.3768:                             ;   in Loop: Header=BB6_3598 Depth=2
	v_bfe_u32 v6, v49, 16, 7
	v_cmp_ne_u32_e32 vcc, s50, v6
	v_mov_b32_e32 v5, 0x7f800001
	s_and_saveexec_b64 s[78:79], vcc
	s_cbranch_execz .LBB6_3770
; %bb.3769:                             ;   in Loop: Header=BB6_3598 Depth=2
	v_and_b32_e32 v7, 7, v2
	v_ffbh_u32_e32 v5, v7
	v_min_u32_e32 v9, 32, v5
	v_subrev_u32_e32 v5, 28, v9
	v_lshrrev_b32_e32 v8, 3, v6
	v_cmp_gt_u32_e32 vcc, 8, v6
	v_lshlrev_b64 v[5:6], v5, v[2:3]
	v_sub_u32_e32 v6, 29, v9
	v_and_b32_e32 v5, 7, v5
	v_cndmask_b32_e32 v6, v8, v6, vcc
	v_cndmask_b32_e32 v5, v7, v5, vcc
	v_lshlrev_b32_e32 v2, 24, v2
	v_lshlrev_b32_e32 v5, 20, v5
	v_and_b32_e32 v2, 0x80000000, v2
	v_lshl_add_u32 v6, v6, 23, v57
	v_or3_b32 v5, v2, v6, v5
.LBB6_3770:                             ;   in Loop: Header=BB6_3598 Depth=2
	s_or_b64 exec, exec, s[78:79]
.LBB6_3771:                             ;   in Loop: Header=BB6_3598 Depth=2
	s_or_b64 exec, exec, s[76:77]
.LBB6_3772:                             ;   in Loop: Header=BB6_3598 Depth=2
	s_or_b64 exec, exec, s[18:19]
	v_lshrrev_b32_e32 v2, 16, v37
	v_cmp_ne_u16_sdwa s[76:77], v2, v3 src0_sel:BYTE_0 src1_sel:DWORD
	s_and_saveexec_b64 s[18:19], s[76:77]
	s_cbranch_execz .LBB6_3778
; %bb.3773:                             ;   in Loop: Header=BB6_3598 Depth=2
	v_cmp_ne_u16_sdwa s[78:79], v2, s49 src0_sel:BYTE_0 src1_sel:DWORD
	v_bfrev_b32_e32 v4, 1
	s_and_saveexec_b64 s[76:77], s[78:79]
	s_cbranch_execz .LBB6_3777
; %bb.3774:                             ;   in Loop: Header=BB6_3598 Depth=2
	v_bfe_u32 v6, v37, 16, 7
	v_cmp_ne_u32_e32 vcc, s50, v6
	v_mov_b32_e32 v4, 0x7f800001
	s_and_saveexec_b64 s[78:79], vcc
	s_cbranch_execz .LBB6_3776
; %bb.3775:                             ;   in Loop: Header=BB6_3598 Depth=2
	v_and_b32_e32 v4, 7, v2
	v_lshrrev_b32_e32 v8, 3, v6
	v_cmp_gt_u32_e32 vcc, 8, v6
	v_ffbh_u32_e32 v6, v4
	v_min_u32_e32 v9, 32, v6
	v_subrev_u32_e32 v6, 28, v9
	v_lshlrev_b64 v[6:7], v6, v[2:3]
	v_sub_u32_e32 v2, 29, v9
	v_and_b32_e32 v6, 7, v6
	v_cndmask_b32_e32 v2, v8, v2, vcc
	v_cndmask_b32_e32 v4, v4, v6, vcc
	v_lshlrev_b32_e32 v6, 8, v37
	v_lshlrev_b32_e32 v4, 20, v4
	v_and_b32_e32 v6, 0x80000000, v6
	v_lshl_add_u32 v2, v2, 23, v57
	v_or3_b32 v4, v6, v2, v4
.LBB6_3776:                             ;   in Loop: Header=BB6_3598 Depth=2
	s_or_b64 exec, exec, s[78:79]
.LBB6_3777:                             ;   in Loop: Header=BB6_3598 Depth=2
	s_or_b64 exec, exec, s[76:77]
.LBB6_3778:                             ;   in Loop: Header=BB6_3598 Depth=2
	s_or_b64 exec, exec, s[18:19]
	v_add_f32_e32 v5, v5, v4
	v_and_b32_e32 v2, 0x7f800000, v5
	v_cmp_ne_u64_e32 vcc, s[46:47], v[2:3]
                                        ; implicit-def: $vgpr2
                                        ; kill: killed $vgpr2
	s_and_saveexec_b64 s[18:19], vcc
	s_xor_b64 s[76:77], exec, s[18:19]
	s_cbranch_execz .LBB6_3792
; %bb.3779:                             ;   in Loop: Header=BB6_3598 Depth=2
	v_and_b32_e32 v2, 0x7fffffff, v5
	v_cmp_gt_u64_e32 vcc, s[56:57], v[2:3]
	v_and_b32_sdwa v4, v5, s49 dst_sel:DWORD dst_unused:UNUSED_PAD src0_sel:BYTE_3 src1_sel:DWORD
                                        ; implicit-def: $vgpr2
                                        ; kill: killed $vgpr2
	s_and_saveexec_b64 s[18:19], vcc
	s_xor_b64 s[78:79], exec, s[18:19]
	s_cbranch_execz .LBB6_3789
; %bb.3780:                             ;   in Loop: Header=BB6_3598 Depth=2
	v_mov_b32_e32 v2, 0
	v_cmp_ne_u32_e32 vcc, 0, v5
	buffer_store_dword v2, off, s[0:3], s33 offset:112 ; 4-byte Folded Spill
	s_and_saveexec_b64 s[88:89], vcc
	s_cbranch_execz .LBB6_3788
; %bb.3781:                             ;   in Loop: Header=BB6_3598 Depth=2
	v_and_b32_e32 v2, 0x7fffff, v5
	v_bfe_u32 v5, v5, 23, 8
	v_cmp_gt_u32_e64 s[18:19], s51, v5
	v_sub_u32_e32 v6, 0x79, v5
	v_cmp_eq_u32_e32 vcc, 0, v5
	v_cndmask_b32_e64 v6, 0, v6, s[18:19]
	v_mov_b32_e32 v8, 0x78
	v_or_b32_e32 v7, 0x800000, v2
	v_cndmask_b32_e32 v6, v6, v8, vcc
	v_cndmask_b32_e32 v2, v7, v2, vcc
	v_add_u32_e32 v7, 20, v6
	v_lshlrev_b64 v[7:8], v7, -1
	v_add_u32_e32 v9, 19, v6
	v_lshlrev_b64 v[30:31], v9, 1
	v_bfi_b32 v8, v8, 0, 0
	v_bfi_b32 v7, v7, 0, v2
	v_cmp_eq_u64_e64 s[18:19], v[7:8], v[30:31]
	v_lshrrev_b64 v[30:31], v6, v[2:3]
	v_mov_b32_e32 v43, v31
	v_mov_b32_e32 v42, v30
	s_and_saveexec_b64 s[90:91], s[18:19]
; %bb.3782:                             ;   in Loop: Header=BB6_3598 Depth=2
	v_bfe_u32 v2, v30, 20, 1
	v_add_co_u32_e64 v2, s[18:19], v30, v2
	v_add_co_u32_e64 v42, s[18:19], -1, v2
; %bb.3783:                             ;   in Loop: Header=BB6_3598 Depth=2
	s_or_b64 exec, exec, s[90:91]
	v_add_u32_e32 v2, 0xffffff81, v5
	v_mov_b32_e32 v5, 0xffffff82
	v_cndmask_b32_e32 v2, v2, v5, vcc
	v_lshrrev_b32_e32 v5, 23, v30
	v_add3_u32 v7, v6, v2, v5
	v_add_u32_e32 v6, 6, v7
	v_and_b32_e32 v2, 0xfffff, v42
	v_add_u32_e32 v2, v2, v30
	v_cmp_ne_u32_e32 vcc, 0, v6
                                        ; implicit-def: $vgpr30_vgpr31
                                        ; implicit-def: $vgpr5
	s_and_saveexec_b64 s[18:19], vcc
	s_xor_b64 s[18:19], exec, s[18:19]
; %bb.3784:                             ;   in Loop: Header=BB6_3598 Depth=2
	v_cmp_lt_u64_e32 vcc, s[58:59], v[2:3]
	v_add_u32_e32 v5, 7, v7
	v_cndmask_b32_e32 v5, v6, v5, vcc
	v_cndmask_b32_e64 v6, 0, 1, vcc
	v_lshrrev_b64 v[30:31], v6, v[2:3]
; %bb.3785:                             ;   in Loop: Header=BB6_3598 Depth=2
	s_andn2_saveexec_b64 s[18:19], s[18:19]
; %bb.3786:                             ;   in Loop: Header=BB6_3598 Depth=2
	v_mov_b32_e32 v31, v3
	v_bfe_u32 v5, v2, 23, 1
	v_mov_b32_e32 v30, v2
; %bb.3787:                             ;   in Loop: Header=BB6_3598 Depth=2
	s_or_b64 exec, exec, s[18:19]
	v_lshrrev_b64 v[6:7], 20, v[30:31]
	v_cmp_gt_i32_e32 vcc, 16, v5
	v_cndmask_b32_e32 v7, 0, v7, vcc
	v_cndmask_b32_e32 v6, 7, v6, vcc
	v_min_i32_e32 v2, 15, v5
	v_cmp_eq_u64_e64 s[18:19], 0, v[6:7]
	v_lshlrev_b32_e32 v2, 3, v2
	v_cmp_eq_u32_e32 vcc, 0, v5
	v_and_b32_e32 v2, 0xf8, v2
	v_and_or_b32 v2, v6, 7, v2
	s_and_b64 s[18:19], vcc, s[18:19]
	v_cndmask_b32_e64 v2, v2, 0, s[18:19]
	v_or_b32_e32 v2, v2, v4
	buffer_store_dword v2, off, s[0:3], s33 offset:112 ; 4-byte Folded Spill
.LBB6_3788:                             ;   in Loop: Header=BB6_3598 Depth=2
	s_or_b64 exec, exec, s[88:89]
                                        ; implicit-def: $vgpr4
.LBB6_3789:                             ;   in Loop: Header=BB6_3598 Depth=2
	s_andn2_saveexec_b64 s[18:19], s[78:79]
	s_cbranch_execz .LBB6_3791
; %bb.3790:                             ;   in Loop: Header=BB6_3598 Depth=2
	v_or_b32_e32 v2, 0x7e, v4
	buffer_store_dword v2, off, s[0:3], s33 offset:112 ; 4-byte Folded Spill
.LBB6_3791:                             ;   in Loop: Header=BB6_3598 Depth=2
	s_or_b64 exec, exec, s[18:19]
                                        ; implicit-def: $vgpr5
.LBB6_3792:                             ;   in Loop: Header=BB6_3598 Depth=2
	s_andn2_saveexec_b64 s[18:19], s[76:77]
	s_cbranch_execz .LBB6_3794
; %bb.3793:                             ;   in Loop: Header=BB6_3598 Depth=2
	v_or_b32_sdwa v2, v5, s50 dst_sel:DWORD dst_unused:UNUSED_PAD src0_sel:BYTE_3 src1_sel:DWORD
	buffer_store_dword v2, off, s[0:3], s33 offset:112 ; 4-byte Folded Spill
.LBB6_3794:                             ;   in Loop: Header=BB6_3598 Depth=2
	s_or_b64 exec, exec, s[18:19]
	v_cmp_lt_u64_e32 vcc, s[60:61], v[48:49]
	v_mov_b32_e32 v4, 0
	v_mov_b32_e32 v5, 0
	s_and_saveexec_b64 s[18:19], vcc
	s_cbranch_execz .LBB6_3800
; %bb.3795:                             ;   in Loop: Header=BB6_3598 Depth=2
	v_lshrrev_b32_e32 v2, 24, v49
	v_cmp_ne_u32_e32 vcc, s49, v2
	v_bfrev_b32_e32 v5, 1
	s_and_saveexec_b64 s[76:77], vcc
	s_cbranch_execz .LBB6_3799
; %bb.3796:                             ;   in Loop: Header=BB6_3598 Depth=2
	v_bfe_u32 v6, v49, 24, 7
	v_cmp_ne_u32_e32 vcc, s50, v6
	v_mov_b32_e32 v5, 0x7f800001
	s_and_saveexec_b64 s[78:79], vcc
	s_cbranch_execz .LBB6_3798
; %bb.3797:                             ;   in Loop: Header=BB6_3598 Depth=2
	v_and_b32_e32 v7, 7, v2
	v_ffbh_u32_e32 v5, v7
	v_min_u32_e32 v9, 32, v5
	v_subrev_u32_e32 v5, 28, v9
	v_lshrrev_b32_e32 v8, 3, v6
	v_cmp_gt_u32_e32 vcc, 8, v6
	v_lshlrev_b64 v[5:6], v5, v[2:3]
	v_sub_u32_e32 v6, 29, v9
	v_and_b32_e32 v5, 7, v5
	v_cndmask_b32_e32 v6, v8, v6, vcc
	v_cndmask_b32_e32 v5, v7, v5, vcc
	v_lshlrev_b32_e32 v2, 24, v2
	v_lshlrev_b32_e32 v5, 20, v5
	v_and_b32_e32 v2, 0x80000000, v2
	v_lshl_add_u32 v6, v6, 23, v57
	v_or3_b32 v5, v2, v6, v5
.LBB6_3798:                             ;   in Loop: Header=BB6_3598 Depth=2
	s_or_b64 exec, exec, s[78:79]
.LBB6_3799:                             ;   in Loop: Header=BB6_3598 Depth=2
	s_or_b64 exec, exec, s[76:77]
.LBB6_3800:                             ;   in Loop: Header=BB6_3598 Depth=2
	s_or_b64 exec, exec, s[18:19]
	v_cmp_lt_u64_e32 vcc, s[60:61], v[36:37]
	s_and_saveexec_b64 s[18:19], vcc
	s_cbranch_execz .LBB6_3806
; %bb.3801:                             ;   in Loop: Header=BB6_3598 Depth=2
	v_lshrrev_b32_e32 v2, 24, v37
	v_cmp_ne_u32_e32 vcc, s49, v2
	v_bfrev_b32_e32 v4, 1
	s_and_saveexec_b64 s[76:77], vcc
	s_cbranch_execz .LBB6_3805
; %bb.3802:                             ;   in Loop: Header=BB6_3598 Depth=2
	v_bfe_u32 v6, v37, 24, 7
	v_cmp_ne_u32_e32 vcc, s50, v6
	v_mov_b32_e32 v4, 0x7f800001
	s_and_saveexec_b64 s[78:79], vcc
	s_cbranch_execz .LBB6_3804
; %bb.3803:                             ;   in Loop: Header=BB6_3598 Depth=2
	v_and_b32_e32 v4, 7, v2
	v_lshrrev_b32_e32 v8, 3, v6
	v_cmp_gt_u32_e32 vcc, 8, v6
	v_ffbh_u32_e32 v6, v4
	v_min_u32_e32 v9, 32, v6
	v_subrev_u32_e32 v6, 28, v9
	v_lshlrev_b64 v[6:7], v6, v[2:3]
	v_sub_u32_e32 v7, 29, v9
	v_and_b32_e32 v6, 7, v6
	v_cndmask_b32_e32 v7, v8, v7, vcc
	v_cndmask_b32_e32 v4, v4, v6, vcc
	v_lshlrev_b32_e32 v2, 24, v2
	v_lshlrev_b32_e32 v4, 20, v4
	v_and_b32_e32 v2, 0x80000000, v2
	v_lshl_add_u32 v6, v7, 23, v57
	v_or3_b32 v4, v2, v6, v4
.LBB6_3804:                             ;   in Loop: Header=BB6_3598 Depth=2
	s_or_b64 exec, exec, s[78:79]
.LBB6_3805:                             ;   in Loop: Header=BB6_3598 Depth=2
	s_or_b64 exec, exec, s[76:77]
.LBB6_3806:                             ;   in Loop: Header=BB6_3598 Depth=2
	s_or_b64 exec, exec, s[18:19]
	v_add_f32_e32 v5, v5, v4
	v_and_b32_e32 v2, 0x7f800000, v5
	v_cmp_ne_u64_e32 vcc, s[46:47], v[2:3]
                                        ; implicit-def: $vgpr2
                                        ; kill: killed $vgpr2
	s_and_saveexec_b64 s[18:19], vcc
	s_xor_b64 s[76:77], exec, s[18:19]
	s_cbranch_execz .LBB6_3820
; %bb.3807:                             ;   in Loop: Header=BB6_3598 Depth=2
	v_and_b32_e32 v2, 0x7fffffff, v5
	v_cmp_gt_u64_e32 vcc, s[56:57], v[2:3]
	v_and_b32_sdwa v4, v5, s49 dst_sel:DWORD dst_unused:UNUSED_PAD src0_sel:BYTE_3 src1_sel:DWORD
                                        ; implicit-def: $vgpr2
                                        ; kill: killed $vgpr2
	s_and_saveexec_b64 s[18:19], vcc
	s_xor_b64 s[78:79], exec, s[18:19]
	s_cbranch_execz .LBB6_3817
; %bb.3808:                             ;   in Loop: Header=BB6_3598 Depth=2
	v_mov_b32_e32 v2, 0
	v_cmp_ne_u32_e32 vcc, 0, v5
	buffer_store_dword v2, off, s[0:3], s33 offset:116 ; 4-byte Folded Spill
	s_and_saveexec_b64 s[88:89], vcc
	s_cbranch_execz .LBB6_3816
; %bb.3809:                             ;   in Loop: Header=BB6_3598 Depth=2
	v_and_b32_e32 v2, 0x7fffff, v5
	v_bfe_u32 v5, v5, 23, 8
	v_cmp_gt_u32_e64 s[18:19], s51, v5
	v_sub_u32_e32 v6, 0x79, v5
	v_cmp_eq_u32_e32 vcc, 0, v5
	v_cndmask_b32_e64 v6, 0, v6, s[18:19]
	v_mov_b32_e32 v8, 0x78
	v_or_b32_e32 v7, 0x800000, v2
	v_cndmask_b32_e32 v6, v6, v8, vcc
	v_cndmask_b32_e32 v2, v7, v2, vcc
	v_add_u32_e32 v7, 20, v6
	v_lshlrev_b64 v[7:8], v7, -1
	v_add_u32_e32 v9, 19, v6
	v_lshlrev_b64 v[30:31], v9, 1
	v_bfi_b32 v8, v8, 0, 0
	v_bfi_b32 v7, v7, 0, v2
	v_cmp_eq_u64_e64 s[18:19], v[7:8], v[30:31]
	v_lshrrev_b64 v[30:31], v6, v[2:3]
	v_mov_b32_e32 v37, v31
	v_mov_b32_e32 v36, v30
	s_and_saveexec_b64 s[90:91], s[18:19]
; %bb.3810:                             ;   in Loop: Header=BB6_3598 Depth=2
	v_bfe_u32 v2, v30, 20, 1
	v_add_co_u32_e64 v2, s[18:19], v30, v2
	v_add_co_u32_e64 v36, s[18:19], -1, v2
; %bb.3811:                             ;   in Loop: Header=BB6_3598 Depth=2
	s_or_b64 exec, exec, s[90:91]
	v_add_u32_e32 v2, 0xffffff81, v5
	v_mov_b32_e32 v5, 0xffffff82
	v_cndmask_b32_e32 v2, v2, v5, vcc
	v_lshrrev_b32_e32 v5, 23, v30
	v_add3_u32 v7, v6, v2, v5
	v_add_u32_e32 v6, 6, v7
	v_and_b32_e32 v2, 0xfffff, v36
	v_add_u32_e32 v2, v2, v30
	v_cmp_ne_u32_e32 vcc, 0, v6
                                        ; implicit-def: $vgpr30_vgpr31
                                        ; implicit-def: $vgpr5
	s_and_saveexec_b64 s[18:19], vcc
	s_xor_b64 s[18:19], exec, s[18:19]
; %bb.3812:                             ;   in Loop: Header=BB6_3598 Depth=2
	v_cmp_lt_u64_e32 vcc, s[58:59], v[2:3]
	v_add_u32_e32 v5, 7, v7
	v_cndmask_b32_e32 v5, v6, v5, vcc
	v_cndmask_b32_e64 v6, 0, 1, vcc
	v_lshrrev_b64 v[30:31], v6, v[2:3]
; %bb.3813:                             ;   in Loop: Header=BB6_3598 Depth=2
	s_andn2_saveexec_b64 s[18:19], s[18:19]
; %bb.3814:                             ;   in Loop: Header=BB6_3598 Depth=2
	v_mov_b32_e32 v31, v3
	v_bfe_u32 v5, v2, 23, 1
	v_mov_b32_e32 v30, v2
; %bb.3815:                             ;   in Loop: Header=BB6_3598 Depth=2
	s_or_b64 exec, exec, s[18:19]
	v_lshrrev_b64 v[6:7], 20, v[30:31]
	v_cmp_gt_i32_e32 vcc, 16, v5
	v_cndmask_b32_e32 v7, 0, v7, vcc
	v_cndmask_b32_e32 v6, 7, v6, vcc
	v_min_i32_e32 v2, 15, v5
	v_cmp_eq_u64_e64 s[18:19], 0, v[6:7]
	v_lshlrev_b32_e32 v2, 3, v2
	v_cmp_eq_u32_e32 vcc, 0, v5
	v_and_b32_e32 v2, 0xf8, v2
	v_and_or_b32 v2, v6, 7, v2
	s_and_b64 s[18:19], vcc, s[18:19]
	v_cndmask_b32_e64 v2, v2, 0, s[18:19]
	v_or_b32_e32 v2, v2, v4
	buffer_store_dword v2, off, s[0:3], s33 offset:116 ; 4-byte Folded Spill
.LBB6_3816:                             ;   in Loop: Header=BB6_3598 Depth=2
	s_or_b64 exec, exec, s[88:89]
                                        ; implicit-def: $vgpr4
.LBB6_3817:                             ;   in Loop: Header=BB6_3598 Depth=2
	s_andn2_saveexec_b64 s[18:19], s[78:79]
	s_cbranch_execz .LBB6_3819
; %bb.3818:                             ;   in Loop: Header=BB6_3598 Depth=2
	v_or_b32_e32 v2, 0x7e, v4
	buffer_store_dword v2, off, s[0:3], s33 offset:116 ; 4-byte Folded Spill
.LBB6_3819:                             ;   in Loop: Header=BB6_3598 Depth=2
	s_or_b64 exec, exec, s[18:19]
                                        ; implicit-def: $vgpr5
.LBB6_3820:                             ;   in Loop: Header=BB6_3598 Depth=2
	s_andn2_saveexec_b64 s[18:19], s[76:77]
	s_cbranch_execz .LBB6_3822
; %bb.3821:                             ;   in Loop: Header=BB6_3598 Depth=2
	v_or_b32_sdwa v2, v5, s50 dst_sel:DWORD dst_unused:UNUSED_PAD src0_sel:BYTE_3 src1_sel:DWORD
	buffer_store_dword v2, off, s[0:3], s33 offset:116 ; 4-byte Folded Spill
.LBB6_3822:                             ;   in Loop: Header=BB6_3598 Depth=2
	s_or_b64 exec, exec, s[18:19]
	v_cmp_ne_u16_sdwa s[76:77], v50, v3 src0_sel:BYTE_0 src1_sel:DWORD
	v_mov_b32_e32 v2, 0
	v_mov_b32_e32 v4, 0
	s_and_saveexec_b64 s[18:19], s[76:77]
	s_cbranch_execz .LBB6_3828
; %bb.3823:                             ;   in Loop: Header=BB6_3598 Depth=2
	v_cmp_ne_u16_sdwa s[78:79], v50, s49 src0_sel:BYTE_0 src1_sel:DWORD
	v_bfrev_b32_e32 v4, 1
	s_and_saveexec_b64 s[76:77], s[78:79]
	s_cbranch_execz .LBB6_3827
; %bb.3824:                             ;   in Loop: Header=BB6_3598 Depth=2
	v_and_b32_e32 v5, 0x7f, v50
	v_cmp_ne_u32_e32 vcc, s50, v5
	v_mov_b32_e32 v4, 0x7f800001
	s_and_saveexec_b64 s[78:79], vcc
	s_cbranch_execz .LBB6_3826
; %bb.3825:                             ;   in Loop: Header=BB6_3598 Depth=2
	v_and_b32_e32 v4, 7, v50
	v_ffbh_u32_e32 v4, v4
	v_min_u32_e32 v4, 32, v4
	v_lshrrev_b32_e32 v6, 3, v5
	v_cmp_gt_u32_e32 vcc, 8, v5
	v_subrev_u32_e32 v5, 28, v4
	v_sub_u32_e32 v4, 29, v4
	v_cndmask_b32_e32 v6, v6, v4, vcc
	v_cndmask_b32_e32 v4, 0, v5, vcc
	v_lshlrev_b64 v[4:5], v4, v[50:51]
	v_lshlrev_b32_e32 v5, 24, v50
	v_lshlrev_b32_e32 v4, 20, v4
	v_and_b32_e32 v4, 0x700000, v4
	v_and_b32_e32 v5, 0x80000000, v5
	v_lshl_add_u32 v6, v6, 23, v57
	v_or3_b32 v4, v5, v6, v4
.LBB6_3826:                             ;   in Loop: Header=BB6_3598 Depth=2
	s_or_b64 exec, exec, s[78:79]
.LBB6_3827:                             ;   in Loop: Header=BB6_3598 Depth=2
	s_or_b64 exec, exec, s[76:77]
.LBB6_3828:                             ;   in Loop: Header=BB6_3598 Depth=2
	s_or_b64 exec, exec, s[18:19]
	v_cmp_ne_u16_sdwa s[76:77], v38, v3 src0_sel:BYTE_0 src1_sel:DWORD
	s_and_saveexec_b64 s[18:19], s[76:77]
	s_cbranch_execz .LBB6_3834
; %bb.3829:                             ;   in Loop: Header=BB6_3598 Depth=2
	v_cmp_ne_u16_sdwa s[78:79], v38, s49 src0_sel:BYTE_0 src1_sel:DWORD
	v_bfrev_b32_e32 v2, 1
	s_and_saveexec_b64 s[76:77], s[78:79]
	s_cbranch_execz .LBB6_3833
; %bb.3830:                             ;   in Loop: Header=BB6_3598 Depth=2
	v_and_b32_e32 v5, 0x7f, v38
	v_cmp_ne_u32_e32 vcc, s50, v5
	v_mov_b32_e32 v2, 0x7f800001
	s_and_saveexec_b64 s[78:79], vcc
	s_cbranch_execz .LBB6_3832
; %bb.3831:                             ;   in Loop: Header=BB6_3598 Depth=2
	v_and_b32_e32 v2, 7, v38
	v_ffbh_u32_e32 v2, v2
	v_min_u32_e32 v2, 32, v2
	v_lshrrev_b32_e32 v6, 3, v5
	v_cmp_gt_u32_e32 vcc, 8, v5
	v_subrev_u32_e32 v5, 28, v2
	v_sub_u32_e32 v2, 29, v2
	v_cndmask_b32_e32 v5, 0, v5, vcc
	v_cndmask_b32_e32 v2, v6, v2, vcc
	v_lshlrev_b64 v[5:6], v5, v[38:39]
	v_lshlrev_b32_e32 v6, 24, v38
	v_lshlrev_b32_e32 v5, 20, v5
	v_and_b32_e32 v5, 0x700000, v5
	v_and_b32_e32 v6, 0x80000000, v6
	v_lshl_add_u32 v2, v2, 23, v57
	v_or3_b32 v2, v6, v2, v5
.LBB6_3832:                             ;   in Loop: Header=BB6_3598 Depth=2
	s_or_b64 exec, exec, s[78:79]
.LBB6_3833:                             ;   in Loop: Header=BB6_3598 Depth=2
	s_or_b64 exec, exec, s[76:77]
.LBB6_3834:                             ;   in Loop: Header=BB6_3598 Depth=2
	s_or_b64 exec, exec, s[18:19]
	v_add_f32_e32 v5, v4, v2
	v_and_b32_e32 v2, 0x7f800000, v5
	v_cmp_ne_u64_e32 vcc, s[46:47], v[2:3]
                                        ; implicit-def: $vgpr2
                                        ; kill: killed $vgpr2
	s_and_saveexec_b64 s[18:19], vcc
	s_xor_b64 s[76:77], exec, s[18:19]
	s_cbranch_execz .LBB6_3848
; %bb.3835:                             ;   in Loop: Header=BB6_3598 Depth=2
	v_and_b32_e32 v2, 0x7fffffff, v5
	v_cmp_gt_u64_e32 vcc, s[56:57], v[2:3]
	v_and_b32_sdwa v4, v5, s49 dst_sel:DWORD dst_unused:UNUSED_PAD src0_sel:BYTE_3 src1_sel:DWORD
                                        ; implicit-def: $vgpr2
                                        ; kill: killed $vgpr2
	s_and_saveexec_b64 s[18:19], vcc
	s_xor_b64 s[78:79], exec, s[18:19]
	s_cbranch_execz .LBB6_3845
; %bb.3836:                             ;   in Loop: Header=BB6_3598 Depth=2
	v_mov_b32_e32 v2, 0
	v_cmp_ne_u32_e32 vcc, 0, v5
	buffer_store_dword v2, off, s[0:3], s33 offset:120 ; 4-byte Folded Spill
	s_and_saveexec_b64 s[88:89], vcc
	s_cbranch_execz .LBB6_3844
; %bb.3837:                             ;   in Loop: Header=BB6_3598 Depth=2
	v_and_b32_e32 v2, 0x7fffff, v5
	v_bfe_u32 v5, v5, 23, 8
	v_cmp_gt_u32_e64 s[18:19], s51, v5
	v_sub_u32_e32 v6, 0x79, v5
	v_cmp_eq_u32_e32 vcc, 0, v5
	v_cndmask_b32_e64 v6, 0, v6, s[18:19]
	v_mov_b32_e32 v8, 0x78
	v_or_b32_e32 v7, 0x800000, v2
	v_cndmask_b32_e32 v6, v6, v8, vcc
	v_cndmask_b32_e32 v2, v7, v2, vcc
	v_add_u32_e32 v7, 20, v6
	v_lshlrev_b64 v[7:8], v7, -1
	v_add_u32_e32 v9, 19, v6
	v_lshlrev_b64 v[30:31], v9, 1
	v_bfi_b32 v8, v8, 0, 0
	v_bfi_b32 v7, v7, 0, v2
	v_cmp_eq_u64_e64 s[18:19], v[7:8], v[30:31]
	v_lshrrev_b64 v[30:31], v6, v[2:3]
	v_mov_b32_e32 v37, v31
	v_mov_b32_e32 v36, v30
	s_and_saveexec_b64 s[90:91], s[18:19]
; %bb.3838:                             ;   in Loop: Header=BB6_3598 Depth=2
	v_bfe_u32 v2, v30, 20, 1
	v_add_co_u32_e64 v2, s[18:19], v30, v2
	v_add_co_u32_e64 v36, s[18:19], -1, v2
; %bb.3839:                             ;   in Loop: Header=BB6_3598 Depth=2
	s_or_b64 exec, exec, s[90:91]
	v_add_u32_e32 v2, 0xffffff81, v5
	v_mov_b32_e32 v5, 0xffffff82
	v_cndmask_b32_e32 v2, v2, v5, vcc
	v_lshrrev_b32_e32 v5, 23, v30
	v_add3_u32 v7, v6, v2, v5
	v_add_u32_e32 v6, 6, v7
	v_and_b32_e32 v2, 0xfffff, v36
	v_add_u32_e32 v2, v2, v30
	v_cmp_ne_u32_e32 vcc, 0, v6
                                        ; implicit-def: $vgpr30_vgpr31
                                        ; implicit-def: $vgpr5
	s_and_saveexec_b64 s[18:19], vcc
	s_xor_b64 s[18:19], exec, s[18:19]
; %bb.3840:                             ;   in Loop: Header=BB6_3598 Depth=2
	v_cmp_lt_u64_e32 vcc, s[58:59], v[2:3]
	v_add_u32_e32 v5, 7, v7
	v_cndmask_b32_e32 v5, v6, v5, vcc
	v_cndmask_b32_e64 v6, 0, 1, vcc
	v_lshrrev_b64 v[30:31], v6, v[2:3]
; %bb.3841:                             ;   in Loop: Header=BB6_3598 Depth=2
	s_andn2_saveexec_b64 s[18:19], s[18:19]
; %bb.3842:                             ;   in Loop: Header=BB6_3598 Depth=2
	v_mov_b32_e32 v31, v3
	v_bfe_u32 v5, v2, 23, 1
	v_mov_b32_e32 v30, v2
; %bb.3843:                             ;   in Loop: Header=BB6_3598 Depth=2
	s_or_b64 exec, exec, s[18:19]
	v_lshrrev_b64 v[6:7], 20, v[30:31]
	v_cmp_gt_i32_e32 vcc, 16, v5
	v_cndmask_b32_e32 v7, 0, v7, vcc
	v_cndmask_b32_e32 v6, 7, v6, vcc
	v_min_i32_e32 v2, 15, v5
	v_cmp_eq_u64_e64 s[18:19], 0, v[6:7]
	v_lshlrev_b32_e32 v2, 3, v2
	v_cmp_eq_u32_e32 vcc, 0, v5
	v_and_b32_e32 v2, 0xf8, v2
	v_and_or_b32 v2, v6, 7, v2
	s_and_b64 s[18:19], vcc, s[18:19]
	v_cndmask_b32_e64 v2, v2, 0, s[18:19]
	v_or_b32_e32 v2, v2, v4
	buffer_store_dword v2, off, s[0:3], s33 offset:120 ; 4-byte Folded Spill
.LBB6_3844:                             ;   in Loop: Header=BB6_3598 Depth=2
	s_or_b64 exec, exec, s[88:89]
                                        ; implicit-def: $vgpr4
.LBB6_3845:                             ;   in Loop: Header=BB6_3598 Depth=2
	s_andn2_saveexec_b64 s[18:19], s[78:79]
	s_cbranch_execz .LBB6_3847
; %bb.3846:                             ;   in Loop: Header=BB6_3598 Depth=2
	v_or_b32_e32 v2, 0x7e, v4
	buffer_store_dword v2, off, s[0:3], s33 offset:120 ; 4-byte Folded Spill
.LBB6_3847:                             ;   in Loop: Header=BB6_3598 Depth=2
	s_or_b64 exec, exec, s[18:19]
                                        ; implicit-def: $vgpr5
.LBB6_3848:                             ;   in Loop: Header=BB6_3598 Depth=2
	s_andn2_saveexec_b64 s[18:19], s[76:77]
	s_cbranch_execz .LBB6_3850
; %bb.3849:                             ;   in Loop: Header=BB6_3598 Depth=2
	v_or_b32_sdwa v2, v5, s50 dst_sel:DWORD dst_unused:UNUSED_PAD src0_sel:BYTE_3 src1_sel:DWORD
	buffer_store_dword v2, off, s[0:3], s33 offset:120 ; 4-byte Folded Spill
.LBB6_3850:                             ;   in Loop: Header=BB6_3598 Depth=2
	s_or_b64 exec, exec, s[18:19]
	v_lshrrev_b16_e32 v2, 8, v50
	v_cmp_ne_u16_e32 vcc, 0, v2
	v_mov_b32_e32 v4, 0
	v_mov_b32_e32 v5, 0
	s_and_saveexec_b64 s[18:19], vcc
	s_cbranch_execz .LBB6_3856
; %bb.3851:                             ;   in Loop: Header=BB6_3598 Depth=2
	v_cmp_ne_u16_e32 vcc, s49, v2
	v_bfrev_b32_e32 v5, 1
	s_and_saveexec_b64 s[76:77], vcc
	s_cbranch_execz .LBB6_3855
; %bb.3852:                             ;   in Loop: Header=BB6_3598 Depth=2
	v_and_b32_e32 v6, 0x7f, v2
	v_cmp_ne_u32_e32 vcc, s50, v6
	v_mov_b32_e32 v5, 0x7f800001
	s_and_saveexec_b64 s[78:79], vcc
	s_cbranch_execz .LBB6_3854
; %bb.3853:                             ;   in Loop: Header=BB6_3598 Depth=2
	v_and_b32_e32 v7, 7, v2
	v_ffbh_u32_e32 v5, v7
	v_min_u32_e32 v9, 32, v5
	v_subrev_u32_e32 v5, 28, v9
	v_lshrrev_b32_e32 v8, 3, v6
	v_cmp_gt_u32_e32 vcc, 8, v6
	v_lshlrev_b64 v[5:6], v5, v[2:3]
	v_sub_u32_e32 v2, 29, v9
	v_and_b32_e32 v5, 7, v5
	v_cndmask_b32_e32 v2, v8, v2, vcc
	v_cndmask_b32_e32 v5, v7, v5, vcc
	v_lshlrev_b32_e32 v6, 16, v50
	v_lshlrev_b32_e32 v5, 20, v5
	v_and_b32_e32 v6, 0x80000000, v6
	v_lshl_add_u32 v2, v2, 23, v57
	v_or3_b32 v5, v6, v2, v5
.LBB6_3854:                             ;   in Loop: Header=BB6_3598 Depth=2
	s_or_b64 exec, exec, s[78:79]
.LBB6_3855:                             ;   in Loop: Header=BB6_3598 Depth=2
	s_or_b64 exec, exec, s[76:77]
.LBB6_3856:                             ;   in Loop: Header=BB6_3598 Depth=2
	s_or_b64 exec, exec, s[18:19]
	v_lshrrev_b16_e32 v2, 8, v38
	v_cmp_ne_u16_e32 vcc, 0, v2
	s_and_saveexec_b64 s[18:19], vcc
	s_cbranch_execz .LBB6_3862
; %bb.3857:                             ;   in Loop: Header=BB6_3598 Depth=2
	v_cmp_ne_u16_e32 vcc, s49, v2
	v_bfrev_b32_e32 v4, 1
	s_and_saveexec_b64 s[76:77], vcc
	s_cbranch_execz .LBB6_3861
; %bb.3858:                             ;   in Loop: Header=BB6_3598 Depth=2
	v_and_b32_e32 v6, 0x7f, v2
	v_cmp_ne_u32_e32 vcc, s50, v6
	v_mov_b32_e32 v4, 0x7f800001
	s_and_saveexec_b64 s[78:79], vcc
	s_cbranch_execz .LBB6_3860
; %bb.3859:                             ;   in Loop: Header=BB6_3598 Depth=2
	v_and_b32_e32 v4, 7, v2
	v_lshrrev_b32_e32 v8, 3, v6
	v_cmp_gt_u32_e32 vcc, 8, v6
	v_ffbh_u32_e32 v6, v4
	v_min_u32_e32 v9, 32, v6
	v_subrev_u32_e32 v6, 28, v9
	v_lshlrev_b64 v[6:7], v6, v[2:3]
	v_sub_u32_e32 v2, 29, v9
	v_and_b32_e32 v6, 7, v6
	v_cndmask_b32_e32 v2, v8, v2, vcc
	v_cndmask_b32_e32 v4, v4, v6, vcc
	v_lshlrev_b32_e32 v6, 16, v38
	v_lshlrev_b32_e32 v4, 20, v4
	v_and_b32_e32 v6, 0x80000000, v6
	v_lshl_add_u32 v2, v2, 23, v57
	v_or3_b32 v4, v6, v2, v4
.LBB6_3860:                             ;   in Loop: Header=BB6_3598 Depth=2
	s_or_b64 exec, exec, s[78:79]
.LBB6_3861:                             ;   in Loop: Header=BB6_3598 Depth=2
	s_or_b64 exec, exec, s[76:77]
.LBB6_3862:                             ;   in Loop: Header=BB6_3598 Depth=2
	s_or_b64 exec, exec, s[18:19]
	v_add_f32_e32 v5, v5, v4
	v_and_b32_e32 v2, 0x7f800000, v5
	v_cmp_ne_u64_e32 vcc, s[46:47], v[2:3]
                                        ; implicit-def: $vgpr2
                                        ; kill: killed $vgpr2
	s_and_saveexec_b64 s[18:19], vcc
	s_xor_b64 s[76:77], exec, s[18:19]
	s_cbranch_execz .LBB6_3876
; %bb.3863:                             ;   in Loop: Header=BB6_3598 Depth=2
	v_and_b32_e32 v2, 0x7fffffff, v5
	v_cmp_gt_u64_e32 vcc, s[56:57], v[2:3]
	v_and_b32_sdwa v4, v5, s49 dst_sel:DWORD dst_unused:UNUSED_PAD src0_sel:BYTE_3 src1_sel:DWORD
                                        ; implicit-def: $vgpr2
                                        ; kill: killed $vgpr2
	s_and_saveexec_b64 s[18:19], vcc
	s_xor_b64 s[78:79], exec, s[18:19]
	s_cbranch_execz .LBB6_3873
; %bb.3864:                             ;   in Loop: Header=BB6_3598 Depth=2
	v_mov_b32_e32 v2, 0
	v_cmp_ne_u32_e32 vcc, 0, v5
	buffer_store_dword v2, off, s[0:3], s33 offset:124 ; 4-byte Folded Spill
	s_and_saveexec_b64 s[88:89], vcc
	s_cbranch_execz .LBB6_3872
; %bb.3865:                             ;   in Loop: Header=BB6_3598 Depth=2
	v_and_b32_e32 v2, 0x7fffff, v5
	v_bfe_u32 v5, v5, 23, 8
	v_cmp_gt_u32_e64 s[18:19], s51, v5
	v_sub_u32_e32 v6, 0x79, v5
	v_cmp_eq_u32_e32 vcc, 0, v5
	v_cndmask_b32_e64 v6, 0, v6, s[18:19]
	v_mov_b32_e32 v8, 0x78
	v_or_b32_e32 v7, 0x800000, v2
	v_cndmask_b32_e32 v6, v6, v8, vcc
	v_cndmask_b32_e32 v2, v7, v2, vcc
	v_add_u32_e32 v7, 20, v6
	v_lshlrev_b64 v[7:8], v7, -1
	v_add_u32_e32 v9, 19, v6
	v_lshlrev_b64 v[30:31], v9, 1
	v_bfi_b32 v8, v8, 0, 0
	v_bfi_b32 v7, v7, 0, v2
	v_cmp_eq_u64_e64 s[18:19], v[7:8], v[30:31]
	v_lshrrev_b64 v[30:31], v6, v[2:3]
	v_mov_b32_e32 v37, v31
	v_mov_b32_e32 v36, v30
	s_and_saveexec_b64 s[90:91], s[18:19]
; %bb.3866:                             ;   in Loop: Header=BB6_3598 Depth=2
	v_bfe_u32 v2, v30, 20, 1
	v_add_co_u32_e64 v2, s[18:19], v30, v2
	v_add_co_u32_e64 v36, s[18:19], -1, v2
; %bb.3867:                             ;   in Loop: Header=BB6_3598 Depth=2
	s_or_b64 exec, exec, s[90:91]
	v_add_u32_e32 v2, 0xffffff81, v5
	v_mov_b32_e32 v5, 0xffffff82
	v_cndmask_b32_e32 v2, v2, v5, vcc
	v_lshrrev_b32_e32 v5, 23, v30
	v_add3_u32 v7, v6, v2, v5
	v_add_u32_e32 v6, 6, v7
	v_and_b32_e32 v2, 0xfffff, v36
	v_add_u32_e32 v2, v2, v30
	v_cmp_ne_u32_e32 vcc, 0, v6
                                        ; implicit-def: $vgpr30_vgpr31
                                        ; implicit-def: $vgpr5
	s_and_saveexec_b64 s[18:19], vcc
	s_xor_b64 s[18:19], exec, s[18:19]
; %bb.3868:                             ;   in Loop: Header=BB6_3598 Depth=2
	v_cmp_lt_u64_e32 vcc, s[58:59], v[2:3]
	v_add_u32_e32 v5, 7, v7
	v_cndmask_b32_e32 v5, v6, v5, vcc
	v_cndmask_b32_e64 v6, 0, 1, vcc
	v_lshrrev_b64 v[30:31], v6, v[2:3]
; %bb.3869:                             ;   in Loop: Header=BB6_3598 Depth=2
	s_andn2_saveexec_b64 s[18:19], s[18:19]
; %bb.3870:                             ;   in Loop: Header=BB6_3598 Depth=2
	v_mov_b32_e32 v31, v3
	v_bfe_u32 v5, v2, 23, 1
	v_mov_b32_e32 v30, v2
; %bb.3871:                             ;   in Loop: Header=BB6_3598 Depth=2
	s_or_b64 exec, exec, s[18:19]
	v_lshrrev_b64 v[6:7], 20, v[30:31]
	v_cmp_gt_i32_e32 vcc, 16, v5
	v_cndmask_b32_e32 v7, 0, v7, vcc
	v_cndmask_b32_e32 v6, 7, v6, vcc
	v_min_i32_e32 v2, 15, v5
	v_cmp_eq_u64_e64 s[18:19], 0, v[6:7]
	v_lshlrev_b32_e32 v2, 3, v2
	v_cmp_eq_u32_e32 vcc, 0, v5
	v_and_b32_e32 v2, 0xf8, v2
	v_and_or_b32 v2, v6, 7, v2
	s_and_b64 s[18:19], vcc, s[18:19]
	v_cndmask_b32_e64 v2, v2, 0, s[18:19]
	v_or_b32_e32 v2, v2, v4
	buffer_store_dword v2, off, s[0:3], s33 offset:124 ; 4-byte Folded Spill
.LBB6_3872:                             ;   in Loop: Header=BB6_3598 Depth=2
	s_or_b64 exec, exec, s[88:89]
                                        ; implicit-def: $vgpr4
.LBB6_3873:                             ;   in Loop: Header=BB6_3598 Depth=2
	s_andn2_saveexec_b64 s[18:19], s[78:79]
	s_cbranch_execz .LBB6_3875
; %bb.3874:                             ;   in Loop: Header=BB6_3598 Depth=2
	v_or_b32_e32 v2, 0x7e, v4
	buffer_store_dword v2, off, s[0:3], s33 offset:124 ; 4-byte Folded Spill
.LBB6_3875:                             ;   in Loop: Header=BB6_3598 Depth=2
	s_or_b64 exec, exec, s[18:19]
                                        ; implicit-def: $vgpr5
.LBB6_3876:                             ;   in Loop: Header=BB6_3598 Depth=2
	s_andn2_saveexec_b64 s[18:19], s[76:77]
	s_cbranch_execz .LBB6_3878
; %bb.3877:                             ;   in Loop: Header=BB6_3598 Depth=2
	v_or_b32_sdwa v2, v5, s50 dst_sel:DWORD dst_unused:UNUSED_PAD src0_sel:BYTE_3 src1_sel:DWORD
	buffer_store_dword v2, off, s[0:3], s33 offset:124 ; 4-byte Folded Spill
.LBB6_3878:                             ;   in Loop: Header=BB6_3598 Depth=2
	s_or_b64 exec, exec, s[18:19]
	v_lshrrev_b32_e32 v2, 16, v50
	v_cmp_ne_u16_sdwa s[76:77], v2, v3 src0_sel:BYTE_0 src1_sel:DWORD
	v_mov_b32_e32 v4, 0
	v_mov_b32_e32 v5, 0
	s_and_saveexec_b64 s[18:19], s[76:77]
	s_cbranch_execz .LBB6_3884
; %bb.3879:                             ;   in Loop: Header=BB6_3598 Depth=2
	v_cmp_ne_u16_sdwa s[78:79], v2, s49 src0_sel:BYTE_0 src1_sel:DWORD
	v_bfrev_b32_e32 v5, 1
	s_and_saveexec_b64 s[76:77], s[78:79]
	s_cbranch_execz .LBB6_3883
; %bb.3880:                             ;   in Loop: Header=BB6_3598 Depth=2
	v_bfe_u32 v6, v50, 16, 7
	v_cmp_ne_u32_e32 vcc, s50, v6
	v_mov_b32_e32 v5, 0x7f800001
	s_and_saveexec_b64 s[78:79], vcc
	s_cbranch_execz .LBB6_3882
; %bb.3881:                             ;   in Loop: Header=BB6_3598 Depth=2
	v_and_b32_e32 v7, 7, v2
	v_ffbh_u32_e32 v5, v7
	v_min_u32_e32 v9, 32, v5
	v_subrev_u32_e32 v5, 28, v9
	v_lshrrev_b32_e32 v8, 3, v6
	v_cmp_gt_u32_e32 vcc, 8, v6
	v_lshlrev_b64 v[5:6], v5, v[2:3]
	v_sub_u32_e32 v6, 29, v9
	v_and_b32_e32 v5, 7, v5
	v_cndmask_b32_e32 v6, v8, v6, vcc
	v_cndmask_b32_e32 v5, v7, v5, vcc
	v_lshlrev_b32_e32 v2, 24, v2
	v_lshlrev_b32_e32 v5, 20, v5
	v_and_b32_e32 v2, 0x80000000, v2
	v_lshl_add_u32 v6, v6, 23, v57
	v_or3_b32 v5, v2, v6, v5
.LBB6_3882:                             ;   in Loop: Header=BB6_3598 Depth=2
	s_or_b64 exec, exec, s[78:79]
.LBB6_3883:                             ;   in Loop: Header=BB6_3598 Depth=2
	s_or_b64 exec, exec, s[76:77]
.LBB6_3884:                             ;   in Loop: Header=BB6_3598 Depth=2
	s_or_b64 exec, exec, s[18:19]
	v_lshrrev_b32_e32 v2, 16, v38
	v_cmp_ne_u16_sdwa s[76:77], v2, v3 src0_sel:BYTE_0 src1_sel:DWORD
	s_and_saveexec_b64 s[18:19], s[76:77]
	s_cbranch_execz .LBB6_3890
; %bb.3885:                             ;   in Loop: Header=BB6_3598 Depth=2
	v_cmp_ne_u16_sdwa s[78:79], v2, s49 src0_sel:BYTE_0 src1_sel:DWORD
	v_bfrev_b32_e32 v4, 1
	s_and_saveexec_b64 s[76:77], s[78:79]
	s_cbranch_execz .LBB6_3889
; %bb.3886:                             ;   in Loop: Header=BB6_3598 Depth=2
	v_bfe_u32 v6, v38, 16, 7
	v_cmp_ne_u32_e32 vcc, s50, v6
	v_mov_b32_e32 v4, 0x7f800001
	s_and_saveexec_b64 s[78:79], vcc
	s_cbranch_execz .LBB6_3888
; %bb.3887:                             ;   in Loop: Header=BB6_3598 Depth=2
	v_and_b32_e32 v4, 7, v2
	v_lshrrev_b32_e32 v8, 3, v6
	v_cmp_gt_u32_e32 vcc, 8, v6
	v_ffbh_u32_e32 v6, v4
	v_min_u32_e32 v9, 32, v6
	v_subrev_u32_e32 v6, 28, v9
	v_lshlrev_b64 v[6:7], v6, v[2:3]
	v_sub_u32_e32 v2, 29, v9
	v_and_b32_e32 v6, 7, v6
	v_cndmask_b32_e32 v2, v8, v2, vcc
	v_cndmask_b32_e32 v4, v4, v6, vcc
	v_lshlrev_b32_e32 v6, 8, v38
	v_lshlrev_b32_e32 v4, 20, v4
	v_and_b32_e32 v6, 0x80000000, v6
	v_lshl_add_u32 v2, v2, 23, v57
	v_or3_b32 v4, v6, v2, v4
.LBB6_3888:                             ;   in Loop: Header=BB6_3598 Depth=2
	s_or_b64 exec, exec, s[78:79]
.LBB6_3889:                             ;   in Loop: Header=BB6_3598 Depth=2
	s_or_b64 exec, exec, s[76:77]
.LBB6_3890:                             ;   in Loop: Header=BB6_3598 Depth=2
	s_or_b64 exec, exec, s[18:19]
	v_add_f32_e32 v5, v5, v4
	v_and_b32_e32 v2, 0x7f800000, v5
	v_cmp_ne_u64_e32 vcc, s[46:47], v[2:3]
                                        ; implicit-def: $vgpr2
                                        ; kill: killed $vgpr2
	s_and_saveexec_b64 s[18:19], vcc
	s_xor_b64 s[76:77], exec, s[18:19]
	s_cbranch_execz .LBB6_3904
; %bb.3891:                             ;   in Loop: Header=BB6_3598 Depth=2
	v_and_b32_e32 v2, 0x7fffffff, v5
	v_cmp_gt_u64_e32 vcc, s[56:57], v[2:3]
	v_and_b32_sdwa v4, v5, s49 dst_sel:DWORD dst_unused:UNUSED_PAD src0_sel:BYTE_3 src1_sel:DWORD
                                        ; implicit-def: $vgpr2
                                        ; kill: killed $vgpr2
	s_and_saveexec_b64 s[18:19], vcc
	s_xor_b64 s[78:79], exec, s[18:19]
	s_cbranch_execz .LBB6_3901
; %bb.3892:                             ;   in Loop: Header=BB6_3598 Depth=2
	v_mov_b32_e32 v2, 0
	v_cmp_ne_u32_e32 vcc, 0, v5
	buffer_store_dword v2, off, s[0:3], s33 offset:128 ; 4-byte Folded Spill
	s_and_saveexec_b64 s[88:89], vcc
	s_cbranch_execz .LBB6_3900
; %bb.3893:                             ;   in Loop: Header=BB6_3598 Depth=2
	v_and_b32_e32 v2, 0x7fffff, v5
	v_bfe_u32 v5, v5, 23, 8
	v_cmp_gt_u32_e64 s[18:19], s51, v5
	v_sub_u32_e32 v6, 0x79, v5
	v_cmp_eq_u32_e32 vcc, 0, v5
	v_cndmask_b32_e64 v6, 0, v6, s[18:19]
	v_mov_b32_e32 v8, 0x78
	v_or_b32_e32 v7, 0x800000, v2
	v_cndmask_b32_e32 v6, v6, v8, vcc
	v_cndmask_b32_e32 v2, v7, v2, vcc
	v_add_u32_e32 v7, 20, v6
	v_lshlrev_b64 v[7:8], v7, -1
	v_add_u32_e32 v9, 19, v6
	v_lshlrev_b64 v[30:31], v9, 1
	v_bfi_b32 v8, v8, 0, 0
	v_bfi_b32 v7, v7, 0, v2
	v_cmp_eq_u64_e64 s[18:19], v[7:8], v[30:31]
	v_lshrrev_b64 v[30:31], v6, v[2:3]
	v_mov_b32_e32 v37, v31
	v_mov_b32_e32 v36, v30
	s_and_saveexec_b64 s[90:91], s[18:19]
; %bb.3894:                             ;   in Loop: Header=BB6_3598 Depth=2
	v_bfe_u32 v2, v30, 20, 1
	v_add_co_u32_e64 v2, s[18:19], v30, v2
	v_add_co_u32_e64 v36, s[18:19], -1, v2
; %bb.3895:                             ;   in Loop: Header=BB6_3598 Depth=2
	s_or_b64 exec, exec, s[90:91]
	v_add_u32_e32 v2, 0xffffff81, v5
	v_mov_b32_e32 v5, 0xffffff82
	v_cndmask_b32_e32 v2, v2, v5, vcc
	v_lshrrev_b32_e32 v5, 23, v30
	v_add3_u32 v7, v6, v2, v5
	v_add_u32_e32 v6, 6, v7
	v_and_b32_e32 v2, 0xfffff, v36
	v_add_u32_e32 v2, v2, v30
	v_cmp_ne_u32_e32 vcc, 0, v6
                                        ; implicit-def: $vgpr30_vgpr31
                                        ; implicit-def: $vgpr5
	s_and_saveexec_b64 s[18:19], vcc
	s_xor_b64 s[18:19], exec, s[18:19]
; %bb.3896:                             ;   in Loop: Header=BB6_3598 Depth=2
	v_cmp_lt_u64_e32 vcc, s[58:59], v[2:3]
	v_add_u32_e32 v5, 7, v7
	v_cndmask_b32_e32 v5, v6, v5, vcc
	v_cndmask_b32_e64 v6, 0, 1, vcc
	v_lshrrev_b64 v[30:31], v6, v[2:3]
; %bb.3897:                             ;   in Loop: Header=BB6_3598 Depth=2
	s_andn2_saveexec_b64 s[18:19], s[18:19]
; %bb.3898:                             ;   in Loop: Header=BB6_3598 Depth=2
	v_mov_b32_e32 v31, v3
	v_bfe_u32 v5, v2, 23, 1
	v_mov_b32_e32 v30, v2
; %bb.3899:                             ;   in Loop: Header=BB6_3598 Depth=2
	s_or_b64 exec, exec, s[18:19]
	v_lshrrev_b64 v[6:7], 20, v[30:31]
	v_cmp_gt_i32_e32 vcc, 16, v5
	v_cndmask_b32_e32 v7, 0, v7, vcc
	v_cndmask_b32_e32 v6, 7, v6, vcc
	v_min_i32_e32 v2, 15, v5
	v_cmp_eq_u64_e64 s[18:19], 0, v[6:7]
	v_lshlrev_b32_e32 v2, 3, v2
	v_cmp_eq_u32_e32 vcc, 0, v5
	v_and_b32_e32 v2, 0xf8, v2
	v_and_or_b32 v2, v6, 7, v2
	s_and_b64 s[18:19], vcc, s[18:19]
	v_cndmask_b32_e64 v2, v2, 0, s[18:19]
	v_or_b32_e32 v2, v2, v4
	buffer_store_dword v2, off, s[0:3], s33 offset:128 ; 4-byte Folded Spill
.LBB6_3900:                             ;   in Loop: Header=BB6_3598 Depth=2
	s_or_b64 exec, exec, s[88:89]
                                        ; implicit-def: $vgpr4
.LBB6_3901:                             ;   in Loop: Header=BB6_3598 Depth=2
	s_andn2_saveexec_b64 s[18:19], s[78:79]
	s_cbranch_execz .LBB6_3903
; %bb.3902:                             ;   in Loop: Header=BB6_3598 Depth=2
	v_or_b32_e32 v2, 0x7e, v4
	buffer_store_dword v2, off, s[0:3], s33 offset:128 ; 4-byte Folded Spill
.LBB6_3903:                             ;   in Loop: Header=BB6_3598 Depth=2
	s_or_b64 exec, exec, s[18:19]
                                        ; implicit-def: $vgpr5
.LBB6_3904:                             ;   in Loop: Header=BB6_3598 Depth=2
	s_andn2_saveexec_b64 s[18:19], s[76:77]
	s_cbranch_execz .LBB6_3906
; %bb.3905:                             ;   in Loop: Header=BB6_3598 Depth=2
	v_or_b32_sdwa v2, v5, s50 dst_sel:DWORD dst_unused:UNUSED_PAD src0_sel:BYTE_3 src1_sel:DWORD
	buffer_store_dword v2, off, s[0:3], s33 offset:128 ; 4-byte Folded Spill
.LBB6_3906:                             ;   in Loop: Header=BB6_3598 Depth=2
	s_or_b64 exec, exec, s[18:19]
	v_cmp_lt_u32_e32 vcc, s61, v50
	v_mov_b32_e32 v4, 0
	v_mov_b32_e32 v5, 0
	s_and_saveexec_b64 s[18:19], vcc
	s_cbranch_execz .LBB6_3912
; %bb.3907:                             ;   in Loop: Header=BB6_3598 Depth=2
	v_lshrrev_b32_e32 v2, 24, v50
	v_cmp_ne_u32_e32 vcc, s49, v2
	v_bfrev_b32_e32 v5, 1
	s_and_saveexec_b64 s[76:77], vcc
	s_cbranch_execz .LBB6_3911
; %bb.3908:                             ;   in Loop: Header=BB6_3598 Depth=2
	v_bfe_u32 v6, v50, 24, 7
	v_cmp_ne_u32_e32 vcc, s50, v6
	v_mov_b32_e32 v5, 0x7f800001
	s_and_saveexec_b64 s[78:79], vcc
	s_cbranch_execz .LBB6_3910
; %bb.3909:                             ;   in Loop: Header=BB6_3598 Depth=2
	v_and_b32_e32 v7, 7, v2
	v_ffbh_u32_e32 v5, v7
	v_min_u32_e32 v9, 32, v5
	v_subrev_u32_e32 v5, 28, v9
	v_lshrrev_b32_e32 v8, 3, v6
	v_cmp_gt_u32_e32 vcc, 8, v6
	v_lshlrev_b64 v[5:6], v5, v[2:3]
	v_sub_u32_e32 v6, 29, v9
	v_and_b32_e32 v5, 7, v5
	v_cndmask_b32_e32 v6, v8, v6, vcc
	v_cndmask_b32_e32 v5, v7, v5, vcc
	v_lshlrev_b32_e32 v2, 24, v2
	v_lshlrev_b32_e32 v5, 20, v5
	v_and_b32_e32 v2, 0x80000000, v2
	v_lshl_add_u32 v6, v6, 23, v57
	v_or3_b32 v5, v2, v6, v5
.LBB6_3910:                             ;   in Loop: Header=BB6_3598 Depth=2
	s_or_b64 exec, exec, s[78:79]
.LBB6_3911:                             ;   in Loop: Header=BB6_3598 Depth=2
	s_or_b64 exec, exec, s[76:77]
.LBB6_3912:                             ;   in Loop: Header=BB6_3598 Depth=2
	s_or_b64 exec, exec, s[18:19]
	v_cmp_lt_u32_e32 vcc, s61, v38
	s_and_saveexec_b64 s[18:19], vcc
	s_cbranch_execz .LBB6_3918
; %bb.3913:                             ;   in Loop: Header=BB6_3598 Depth=2
	v_lshrrev_b32_e32 v2, 24, v38
	v_cmp_ne_u32_e32 vcc, s49, v2
	v_bfrev_b32_e32 v4, 1
	s_and_saveexec_b64 s[76:77], vcc
	s_cbranch_execz .LBB6_3917
; %bb.3914:                             ;   in Loop: Header=BB6_3598 Depth=2
	v_bfe_u32 v6, v38, 24, 7
	v_cmp_ne_u32_e32 vcc, s50, v6
	v_mov_b32_e32 v4, 0x7f800001
	s_and_saveexec_b64 s[78:79], vcc
	s_cbranch_execz .LBB6_3916
; %bb.3915:                             ;   in Loop: Header=BB6_3598 Depth=2
	v_and_b32_e32 v4, 7, v2
	v_lshrrev_b32_e32 v8, 3, v6
	v_cmp_gt_u32_e32 vcc, 8, v6
	v_ffbh_u32_e32 v6, v4
	v_min_u32_e32 v9, 32, v6
	v_subrev_u32_e32 v6, 28, v9
	v_lshlrev_b64 v[6:7], v6, v[2:3]
	v_sub_u32_e32 v7, 29, v9
	v_and_b32_e32 v6, 7, v6
	v_cndmask_b32_e32 v7, v8, v7, vcc
	v_cndmask_b32_e32 v4, v4, v6, vcc
	v_lshlrev_b32_e32 v2, 24, v2
	v_lshlrev_b32_e32 v4, 20, v4
	v_and_b32_e32 v2, 0x80000000, v2
	v_lshl_add_u32 v6, v7, 23, v57
	v_or3_b32 v4, v2, v6, v4
.LBB6_3916:                             ;   in Loop: Header=BB6_3598 Depth=2
	s_or_b64 exec, exec, s[78:79]
.LBB6_3917:                             ;   in Loop: Header=BB6_3598 Depth=2
	s_or_b64 exec, exec, s[76:77]
.LBB6_3918:                             ;   in Loop: Header=BB6_3598 Depth=2
	s_or_b64 exec, exec, s[18:19]
	v_add_f32_e32 v5, v5, v4
	v_and_b32_e32 v2, 0x7f800000, v5
	v_cmp_ne_u64_e32 vcc, s[46:47], v[2:3]
                                        ; implicit-def: $vgpr2
                                        ; kill: killed $vgpr2
	s_and_saveexec_b64 s[18:19], vcc
	s_xor_b64 s[76:77], exec, s[18:19]
	s_cbranch_execz .LBB6_3932
; %bb.3919:                             ;   in Loop: Header=BB6_3598 Depth=2
	v_and_b32_e32 v2, 0x7fffffff, v5
	v_cmp_gt_u64_e32 vcc, s[56:57], v[2:3]
	v_and_b32_sdwa v4, v5, s49 dst_sel:DWORD dst_unused:UNUSED_PAD src0_sel:BYTE_3 src1_sel:DWORD
                                        ; implicit-def: $vgpr2
                                        ; kill: killed $vgpr2
	s_and_saveexec_b64 s[18:19], vcc
	s_xor_b64 s[78:79], exec, s[18:19]
	s_cbranch_execz .LBB6_3929
; %bb.3920:                             ;   in Loop: Header=BB6_3598 Depth=2
	v_mov_b32_e32 v2, 0
	v_cmp_ne_u32_e32 vcc, 0, v5
	buffer_store_dword v2, off, s[0:3], s33 offset:132 ; 4-byte Folded Spill
	s_and_saveexec_b64 s[88:89], vcc
	s_cbranch_execz .LBB6_3928
; %bb.3921:                             ;   in Loop: Header=BB6_3598 Depth=2
	v_and_b32_e32 v2, 0x7fffff, v5
	v_bfe_u32 v5, v5, 23, 8
	v_cmp_gt_u32_e64 s[18:19], s51, v5
	v_sub_u32_e32 v6, 0x79, v5
	v_cmp_eq_u32_e32 vcc, 0, v5
	v_cndmask_b32_e64 v6, 0, v6, s[18:19]
	v_mov_b32_e32 v8, 0x78
	v_or_b32_e32 v7, 0x800000, v2
	v_cndmask_b32_e32 v6, v6, v8, vcc
	v_cndmask_b32_e32 v2, v7, v2, vcc
	v_add_u32_e32 v7, 20, v6
	v_lshlrev_b64 v[7:8], v7, -1
	v_add_u32_e32 v9, 19, v6
	v_lshlrev_b64 v[30:31], v9, 1
	v_bfi_b32 v8, v8, 0, 0
	v_bfi_b32 v7, v7, 0, v2
	v_cmp_eq_u64_e64 s[18:19], v[7:8], v[30:31]
	v_lshrrev_b64 v[30:31], v6, v[2:3]
	v_mov_b32_e32 v37, v31
	v_mov_b32_e32 v36, v30
	s_and_saveexec_b64 s[90:91], s[18:19]
; %bb.3922:                             ;   in Loop: Header=BB6_3598 Depth=2
	v_bfe_u32 v2, v30, 20, 1
	v_add_co_u32_e64 v2, s[18:19], v30, v2
	v_add_co_u32_e64 v36, s[18:19], -1, v2
; %bb.3923:                             ;   in Loop: Header=BB6_3598 Depth=2
	s_or_b64 exec, exec, s[90:91]
	v_add_u32_e32 v2, 0xffffff81, v5
	v_mov_b32_e32 v5, 0xffffff82
	v_cndmask_b32_e32 v2, v2, v5, vcc
	v_lshrrev_b32_e32 v5, 23, v30
	v_add3_u32 v7, v6, v2, v5
	v_add_u32_e32 v6, 6, v7
	v_and_b32_e32 v2, 0xfffff, v36
	v_add_u32_e32 v2, v2, v30
	v_cmp_ne_u32_e32 vcc, 0, v6
                                        ; implicit-def: $vgpr30_vgpr31
                                        ; implicit-def: $vgpr5
	s_and_saveexec_b64 s[18:19], vcc
	s_xor_b64 s[18:19], exec, s[18:19]
; %bb.3924:                             ;   in Loop: Header=BB6_3598 Depth=2
	v_cmp_lt_u64_e32 vcc, s[58:59], v[2:3]
	v_add_u32_e32 v5, 7, v7
	v_cndmask_b32_e32 v5, v6, v5, vcc
	v_cndmask_b32_e64 v6, 0, 1, vcc
	v_lshrrev_b64 v[30:31], v6, v[2:3]
; %bb.3925:                             ;   in Loop: Header=BB6_3598 Depth=2
	s_andn2_saveexec_b64 s[18:19], s[18:19]
; %bb.3926:                             ;   in Loop: Header=BB6_3598 Depth=2
	v_mov_b32_e32 v31, v3
	v_bfe_u32 v5, v2, 23, 1
	v_mov_b32_e32 v30, v2
; %bb.3927:                             ;   in Loop: Header=BB6_3598 Depth=2
	s_or_b64 exec, exec, s[18:19]
	v_lshrrev_b64 v[6:7], 20, v[30:31]
	v_cmp_gt_i32_e32 vcc, 16, v5
	v_cndmask_b32_e32 v7, 0, v7, vcc
	v_cndmask_b32_e32 v6, 7, v6, vcc
	v_min_i32_e32 v2, 15, v5
	v_cmp_eq_u64_e64 s[18:19], 0, v[6:7]
	v_lshlrev_b32_e32 v2, 3, v2
	v_cmp_eq_u32_e32 vcc, 0, v5
	v_and_b32_e32 v2, 0xf8, v2
	v_and_or_b32 v2, v6, 7, v2
	s_and_b64 s[18:19], vcc, s[18:19]
	v_cndmask_b32_e64 v2, v2, 0, s[18:19]
	v_or_b32_e32 v2, v2, v4
	buffer_store_dword v2, off, s[0:3], s33 offset:132 ; 4-byte Folded Spill
.LBB6_3928:                             ;   in Loop: Header=BB6_3598 Depth=2
	s_or_b64 exec, exec, s[88:89]
                                        ; implicit-def: $vgpr4
.LBB6_3929:                             ;   in Loop: Header=BB6_3598 Depth=2
	s_andn2_saveexec_b64 s[18:19], s[78:79]
	s_cbranch_execz .LBB6_3931
; %bb.3930:                             ;   in Loop: Header=BB6_3598 Depth=2
	v_or_b32_e32 v2, 0x7e, v4
	buffer_store_dword v2, off, s[0:3], s33 offset:132 ; 4-byte Folded Spill
.LBB6_3931:                             ;   in Loop: Header=BB6_3598 Depth=2
	s_or_b64 exec, exec, s[18:19]
                                        ; implicit-def: $vgpr5
.LBB6_3932:                             ;   in Loop: Header=BB6_3598 Depth=2
	s_andn2_saveexec_b64 s[18:19], s[76:77]
	s_cbranch_execz .LBB6_3934
; %bb.3933:                             ;   in Loop: Header=BB6_3598 Depth=2
	v_or_b32_sdwa v2, v5, s50 dst_sel:DWORD dst_unused:UNUSED_PAD src0_sel:BYTE_3 src1_sel:DWORD
	buffer_store_dword v2, off, s[0:3], s33 offset:132 ; 4-byte Folded Spill
.LBB6_3934:                             ;   in Loop: Header=BB6_3598 Depth=2
	s_or_b64 exec, exec, s[18:19]
	v_mov_b32_e32 v2, v51
	v_cmp_ne_u16_sdwa s[76:77], v51, v3 src0_sel:BYTE_0 src1_sel:DWORD
	v_mov_b32_e32 v5, 0
	v_mov_b32_e32 v4, 0
	s_and_saveexec_b64 s[18:19], s[76:77]
	s_cbranch_execz .LBB6_3940
; %bb.3935:                             ;   in Loop: Header=BB6_3598 Depth=2
	v_cmp_ne_u16_sdwa s[78:79], v51, s49 src0_sel:BYTE_0 src1_sel:DWORD
	v_bfrev_b32_e32 v4, 1
	s_and_saveexec_b64 s[76:77], s[78:79]
	s_cbranch_execz .LBB6_3939
; %bb.3936:                             ;   in Loop: Header=BB6_3598 Depth=2
	v_and_b32_e32 v6, 0x7f, v51
	v_cmp_ne_u32_e32 vcc, s50, v6
	v_mov_b32_e32 v4, 0x7f800001
	s_and_saveexec_b64 s[78:79], vcc
	s_cbranch_execz .LBB6_3938
; %bb.3937:                             ;   in Loop: Header=BB6_3598 Depth=2
	v_and_b32_e32 v4, 7, v51
	v_ffbh_u32_e32 v4, v4
	v_min_u32_e32 v4, 32, v4
	v_lshrrev_b32_e32 v7, 3, v6
	v_cmp_gt_u32_e32 vcc, 8, v6
	v_subrev_u32_e32 v6, 28, v4
	v_sub_u32_e32 v4, 29, v4
	v_cndmask_b32_e32 v6, 0, v6, vcc
	v_cndmask_b32_e32 v4, v7, v4, vcc
	v_lshlrev_b64 v[6:7], v6, v[2:3]
	v_lshlrev_b32_e32 v7, 24, v2
	v_lshlrev_b32_e32 v6, 20, v6
	v_and_b32_e32 v6, 0x700000, v6
	v_and_b32_e32 v7, 0x80000000, v7
	v_lshl_add_u32 v4, v4, 23, v57
	v_or3_b32 v4, v7, v4, v6
.LBB6_3938:                             ;   in Loop: Header=BB6_3598 Depth=2
	s_or_b64 exec, exec, s[78:79]
.LBB6_3939:                             ;   in Loop: Header=BB6_3598 Depth=2
	s_or_b64 exec, exec, s[76:77]
.LBB6_3940:                             ;   in Loop: Header=BB6_3598 Depth=2
	s_or_b64 exec, exec, s[18:19]
	v_cmp_ne_u16_sdwa s[76:77], v39, v3 src0_sel:BYTE_0 src1_sel:DWORD
	s_and_saveexec_b64 s[18:19], s[76:77]
	s_cbranch_execz .LBB6_3946
; %bb.3941:                             ;   in Loop: Header=BB6_3598 Depth=2
	v_cmp_ne_u16_sdwa s[78:79], v39, s49 src0_sel:BYTE_0 src1_sel:DWORD
	v_bfrev_b32_e32 v5, 1
	s_and_saveexec_b64 s[76:77], s[78:79]
	s_cbranch_execz .LBB6_3945
; %bb.3942:                             ;   in Loop: Header=BB6_3598 Depth=2
	v_and_b32_e32 v6, 0x7f, v39
	v_cmp_ne_u32_e32 vcc, s50, v6
	v_mov_b32_e32 v5, 0x7f800001
	s_and_saveexec_b64 s[78:79], vcc
	s_cbranch_execz .LBB6_3944
; %bb.3943:                             ;   in Loop: Header=BB6_3598 Depth=2
	v_and_b32_e32 v5, 7, v39
	v_ffbh_u32_e32 v5, v5
	v_min_u32_e32 v5, 32, v5
	v_lshrrev_b32_e32 v9, 3, v6
	v_cmp_gt_u32_e32 vcc, 8, v6
	v_subrev_u32_e32 v6, 28, v5
	v_sub_u32_e32 v5, 29, v5
	v_mov_b32_e32 v7, v39
	v_mov_b32_e32 v8, v3
	v_cndmask_b32_e32 v9, v9, v5, vcc
	v_cndmask_b32_e32 v5, 0, v6, vcc
	v_lshlrev_b64 v[5:6], v5, v[7:8]
	v_lshlrev_b32_e32 v6, 24, v7
	v_lshlrev_b32_e32 v5, 20, v5
	v_and_b32_e32 v5, 0x700000, v5
	v_and_b32_e32 v6, 0x80000000, v6
	v_lshl_add_u32 v7, v9, 23, v57
	v_or3_b32 v5, v6, v7, v5
.LBB6_3944:                             ;   in Loop: Header=BB6_3598 Depth=2
	s_or_b64 exec, exec, s[78:79]
.LBB6_3945:                             ;   in Loop: Header=BB6_3598 Depth=2
	s_or_b64 exec, exec, s[76:77]
.LBB6_3946:                             ;   in Loop: Header=BB6_3598 Depth=2
	s_or_b64 exec, exec, s[18:19]
	v_add_f32_e32 v5, v4, v5
	v_and_b32_e32 v6, 0x7f800000, v5
	v_mov_b32_e32 v7, v3
	v_cmp_ne_u64_e32 vcc, s[46:47], v[6:7]
                                        ; implicit-def: $vgpr4
                                        ; kill: killed $vgpr4
	s_and_saveexec_b64 s[18:19], vcc
	s_xor_b64 s[76:77], exec, s[18:19]
	s_cbranch_execz .LBB6_3960
; %bb.3947:                             ;   in Loop: Header=BB6_3598 Depth=2
	v_and_b32_e32 v6, 0x7fffffff, v5
	v_mov_b32_e32 v7, v3
	v_cmp_gt_u64_e32 vcc, s[56:57], v[6:7]
	v_and_b32_sdwa v4, v5, s49 dst_sel:DWORD dst_unused:UNUSED_PAD src0_sel:BYTE_3 src1_sel:DWORD
                                        ; implicit-def: $vgpr6
                                        ; kill: killed $vgpr6
	s_and_saveexec_b64 s[18:19], vcc
	s_xor_b64 s[78:79], exec, s[18:19]
	s_cbranch_execz .LBB6_3957
; %bb.3948:                             ;   in Loop: Header=BB6_3598 Depth=2
	v_mov_b32_e32 v6, 0
	v_cmp_ne_u32_e32 vcc, 0, v5
	buffer_store_dword v6, off, s[0:3], s33 offset:136 ; 4-byte Folded Spill
	s_and_saveexec_b64 s[88:89], vcc
	s_cbranch_execz .LBB6_3956
; %bb.3949:                             ;   in Loop: Header=BB6_3598 Depth=2
	v_and_b32_e32 v7, 0x7fffff, v5
	v_bfe_u32 v5, v5, 23, 8
	v_cmp_gt_u32_e64 s[18:19], s51, v5
	v_sub_u32_e32 v6, 0x79, v5
	v_cmp_eq_u32_e32 vcc, 0, v5
	v_cndmask_b32_e64 v6, 0, v6, s[18:19]
	v_mov_b32_e32 v9, 0x78
	v_cndmask_b32_e32 v6, v6, v9, vcc
	v_add_u32_e32 v9, 20, v6
	v_or_b32_e32 v8, 0x800000, v7
	v_lshlrev_b64 v[30:31], v9, -1
	v_add_u32_e32 v9, 19, v6
	v_cndmask_b32_e32 v7, v8, v7, vcc
	v_lshlrev_b64 v[36:37], v9, 1
	v_mov_b32_e32 v8, v3
	v_bfi_b32 v31, v31, 0, 0
	v_bfi_b32 v30, v30, 0, v7
	v_cmp_eq_u64_e64 s[18:19], v[30:31], v[36:37]
	v_lshrrev_b64 v[30:31], v6, v[7:8]
	v_mov_b32_e32 v37, v31
	v_mov_b32_e32 v36, v30
	s_and_saveexec_b64 s[90:91], s[18:19]
; %bb.3950:                             ;   in Loop: Header=BB6_3598 Depth=2
	v_bfe_u32 v7, v30, 20, 1
	v_add_co_u32_e64 v7, s[18:19], v30, v7
	v_add_co_u32_e64 v36, s[18:19], -1, v7
; %bb.3951:                             ;   in Loop: Header=BB6_3598 Depth=2
	s_or_b64 exec, exec, s[90:91]
	v_add_u32_e32 v5, 0xffffff81, v5
	v_mov_b32_e32 v7, 0xffffff82
	v_cndmask_b32_e32 v5, v5, v7, vcc
	v_lshrrev_b32_e32 v7, 23, v30
	v_add3_u32 v7, v6, v5, v7
	v_add_u32_e32 v6, 6, v7
	v_and_b32_e32 v5, 0xfffff, v36
	v_add_u32_e32 v30, v5, v30
	v_mov_b32_e32 v31, v3
	v_cmp_ne_u32_e32 vcc, 0, v6
                                        ; implicit-def: $vgpr5
	s_and_saveexec_b64 s[18:19], vcc
	s_xor_b64 s[18:19], exec, s[18:19]
; %bb.3952:                             ;   in Loop: Header=BB6_3598 Depth=2
	v_cmp_lt_u64_e32 vcc, s[58:59], v[30:31]
	v_add_u32_e32 v5, 7, v7
	v_cndmask_b32_e32 v5, v6, v5, vcc
	v_cndmask_b32_e64 v6, 0, 1, vcc
	v_lshrrev_b64 v[30:31], v6, v[30:31]
; %bb.3953:                             ;   in Loop: Header=BB6_3598 Depth=2
	s_andn2_saveexec_b64 s[18:19], s[18:19]
; %bb.3954:                             ;   in Loop: Header=BB6_3598 Depth=2
	v_bfe_u32 v5, v30, 23, 1
; %bb.3955:                             ;   in Loop: Header=BB6_3598 Depth=2
	s_or_b64 exec, exec, s[18:19]
	v_lshrrev_b64 v[6:7], 20, v[30:31]
	v_cmp_gt_i32_e32 vcc, 16, v5
	v_cndmask_b32_e32 v7, 0, v7, vcc
	v_cndmask_b32_e32 v6, 7, v6, vcc
	v_cmp_eq_u32_e32 vcc, 0, v5
	v_min_i32_e32 v5, 15, v5
	v_cmp_eq_u64_e64 s[18:19], 0, v[6:7]
	v_lshlrev_b32_e32 v5, 3, v5
	v_and_b32_e32 v5, 0xf8, v5
	v_and_or_b32 v5, v6, 7, v5
	s_and_b64 s[18:19], vcc, s[18:19]
	v_cndmask_b32_e64 v5, v5, 0, s[18:19]
	v_or_b32_e32 v4, v5, v4
	buffer_store_dword v4, off, s[0:3], s33 offset:136 ; 4-byte Folded Spill
.LBB6_3956:                             ;   in Loop: Header=BB6_3598 Depth=2
	s_or_b64 exec, exec, s[88:89]
                                        ; implicit-def: $vgpr4
.LBB6_3957:                             ;   in Loop: Header=BB6_3598 Depth=2
	s_andn2_saveexec_b64 s[18:19], s[78:79]
	s_cbranch_execz .LBB6_3959
; %bb.3958:                             ;   in Loop: Header=BB6_3598 Depth=2
	v_or_b32_e32 v4, 0x7e, v4
	buffer_store_dword v4, off, s[0:3], s33 offset:136 ; 4-byte Folded Spill
.LBB6_3959:                             ;   in Loop: Header=BB6_3598 Depth=2
	s_or_b64 exec, exec, s[18:19]
                                        ; implicit-def: $vgpr5
.LBB6_3960:                             ;   in Loop: Header=BB6_3598 Depth=2
	s_andn2_saveexec_b64 s[18:19], s[76:77]
	s_cbranch_execz .LBB6_3962
; %bb.3961:                             ;   in Loop: Header=BB6_3598 Depth=2
	v_or_b32_sdwa v4, v5, s50 dst_sel:DWORD dst_unused:UNUSED_PAD src0_sel:BYTE_3 src1_sel:DWORD
	buffer_store_dword v4, off, s[0:3], s33 offset:136 ; 4-byte Folded Spill
.LBB6_3962:                             ;   in Loop: Header=BB6_3598 Depth=2
	s_or_b64 exec, exec, s[18:19]
	v_lshrrev_b16_e32 v30, 8, v2
	v_cmp_ne_u16_e32 vcc, 0, v30
	v_mov_b32_e32 v4, 0
	v_mov_b32_e32 v5, 0
	s_and_saveexec_b64 s[18:19], vcc
	s_cbranch_execz .LBB6_3968
; %bb.3963:                             ;   in Loop: Header=BB6_3598 Depth=2
	v_cmp_ne_u16_e32 vcc, s49, v30
	v_bfrev_b32_e32 v5, 1
	s_and_saveexec_b64 s[76:77], vcc
	s_cbranch_execz .LBB6_3967
; %bb.3964:                             ;   in Loop: Header=BB6_3598 Depth=2
	v_and_b32_e32 v6, 0x7f, v30
	v_cmp_ne_u32_e32 vcc, s50, v6
	v_mov_b32_e32 v5, 0x7f800001
	s_and_saveexec_b64 s[78:79], vcc
	s_cbranch_execz .LBB6_3966
; %bb.3965:                             ;   in Loop: Header=BB6_3598 Depth=2
	v_and_b32_e32 v7, 7, v30
	v_ffbh_u32_e32 v5, v7
	v_min_u32_e32 v9, 32, v5
	v_subrev_u32_e32 v5, 28, v9
	v_lshrrev_b32_e32 v8, 3, v6
	v_cmp_gt_u32_e32 vcc, 8, v6
	v_lshlrev_b64 v[5:6], v5, v[30:31]
	v_sub_u32_e32 v6, 29, v9
	v_and_b32_e32 v5, 7, v5
	v_cndmask_b32_e32 v6, v8, v6, vcc
	v_cndmask_b32_e32 v5, v7, v5, vcc
	v_lshlrev_b32_e32 v2, 16, v2
	v_lshlrev_b32_e32 v5, 20, v5
	v_and_b32_e32 v2, 0x80000000, v2
	v_lshl_add_u32 v6, v6, 23, v57
	v_or3_b32 v5, v2, v6, v5
.LBB6_3966:                             ;   in Loop: Header=BB6_3598 Depth=2
	s_or_b64 exec, exec, s[78:79]
.LBB6_3967:                             ;   in Loop: Header=BB6_3598 Depth=2
	s_or_b64 exec, exec, s[76:77]
.LBB6_3968:                             ;   in Loop: Header=BB6_3598 Depth=2
	s_or_b64 exec, exec, s[18:19]
	v_lshrrev_b16_e32 v2, 8, v39
	v_cmp_ne_u16_e32 vcc, 0, v2
	s_and_saveexec_b64 s[18:19], vcc
	s_cbranch_execz .LBB6_3974
; %bb.3969:                             ;   in Loop: Header=BB6_3598 Depth=2
	v_cmp_ne_u16_e32 vcc, s49, v2
	v_bfrev_b32_e32 v4, 1
	s_and_saveexec_b64 s[76:77], vcc
	s_cbranch_execz .LBB6_3973
; %bb.3970:                             ;   in Loop: Header=BB6_3598 Depth=2
	v_and_b32_e32 v6, 0x7f, v2
	v_cmp_ne_u32_e32 vcc, s50, v6
	v_mov_b32_e32 v4, 0x7f800001
	s_and_saveexec_b64 s[78:79], vcc
	s_cbranch_execz .LBB6_3972
; %bb.3971:                             ;   in Loop: Header=BB6_3598 Depth=2
	v_and_b32_e32 v4, 7, v2
	v_lshrrev_b32_e32 v8, 3, v6
	v_cmp_gt_u32_e32 vcc, 8, v6
	v_ffbh_u32_e32 v6, v4
	v_min_u32_e32 v9, 32, v6
	v_subrev_u32_e32 v6, 28, v9
	v_lshlrev_b64 v[6:7], v6, v[2:3]
	v_sub_u32_e32 v2, 29, v9
	v_and_b32_e32 v6, 7, v6
	v_cndmask_b32_e32 v2, v8, v2, vcc
	v_cndmask_b32_e32 v4, v4, v6, vcc
	v_lshlrev_b32_e32 v6, 16, v39
	v_lshlrev_b32_e32 v4, 20, v4
	v_and_b32_e32 v6, 0x80000000, v6
	v_lshl_add_u32 v2, v2, 23, v57
	v_or3_b32 v4, v6, v2, v4
.LBB6_3972:                             ;   in Loop: Header=BB6_3598 Depth=2
	s_or_b64 exec, exec, s[78:79]
.LBB6_3973:                             ;   in Loop: Header=BB6_3598 Depth=2
	s_or_b64 exec, exec, s[76:77]
.LBB6_3974:                             ;   in Loop: Header=BB6_3598 Depth=2
	s_or_b64 exec, exec, s[18:19]
	v_add_f32_e32 v5, v5, v4
	v_and_b32_e32 v2, 0x7f800000, v5
	v_cmp_ne_u64_e32 vcc, s[46:47], v[2:3]
                                        ; implicit-def: $vgpr2
                                        ; kill: killed $vgpr2
	s_and_saveexec_b64 s[18:19], vcc
	s_xor_b64 s[76:77], exec, s[18:19]
	s_cbranch_execz .LBB6_3988
; %bb.3975:                             ;   in Loop: Header=BB6_3598 Depth=2
	v_and_b32_e32 v2, 0x7fffffff, v5
	v_cmp_gt_u64_e32 vcc, s[56:57], v[2:3]
	v_and_b32_sdwa v4, v5, s49 dst_sel:DWORD dst_unused:UNUSED_PAD src0_sel:BYTE_3 src1_sel:DWORD
                                        ; implicit-def: $vgpr2
                                        ; kill: killed $vgpr2
	s_and_saveexec_b64 s[18:19], vcc
	s_xor_b64 s[78:79], exec, s[18:19]
	s_cbranch_execz .LBB6_3985
; %bb.3976:                             ;   in Loop: Header=BB6_3598 Depth=2
	v_mov_b32_e32 v2, 0
	v_cmp_ne_u32_e32 vcc, 0, v5
	buffer_store_dword v2, off, s[0:3], s33 offset:140 ; 4-byte Folded Spill
	s_and_saveexec_b64 s[88:89], vcc
	s_cbranch_execz .LBB6_3984
; %bb.3977:                             ;   in Loop: Header=BB6_3598 Depth=2
	v_and_b32_e32 v2, 0x7fffff, v5
	v_bfe_u32 v5, v5, 23, 8
	v_cmp_gt_u32_e64 s[18:19], s51, v5
	v_sub_u32_e32 v6, 0x79, v5
	v_cmp_eq_u32_e32 vcc, 0, v5
	v_cndmask_b32_e64 v6, 0, v6, s[18:19]
	v_mov_b32_e32 v8, 0x78
	v_or_b32_e32 v7, 0x800000, v2
	v_cndmask_b32_e32 v6, v6, v8, vcc
	v_cndmask_b32_e32 v2, v7, v2, vcc
	v_add_u32_e32 v7, 20, v6
	v_lshlrev_b64 v[7:8], v7, -1
	v_add_u32_e32 v9, 19, v6
	v_lshlrev_b64 v[30:31], v9, 1
	v_bfi_b32 v8, v8, 0, 0
	v_bfi_b32 v7, v7, 0, v2
	v_cmp_eq_u64_e64 s[18:19], v[7:8], v[30:31]
	v_lshrrev_b64 v[30:31], v6, v[2:3]
	v_mov_b32_e32 v37, v31
	v_mov_b32_e32 v36, v30
	s_and_saveexec_b64 s[90:91], s[18:19]
; %bb.3978:                             ;   in Loop: Header=BB6_3598 Depth=2
	v_bfe_u32 v2, v30, 20, 1
	v_add_co_u32_e64 v2, s[18:19], v30, v2
	v_add_co_u32_e64 v36, s[18:19], -1, v2
; %bb.3979:                             ;   in Loop: Header=BB6_3598 Depth=2
	s_or_b64 exec, exec, s[90:91]
	v_add_u32_e32 v2, 0xffffff81, v5
	v_mov_b32_e32 v5, 0xffffff82
	v_cndmask_b32_e32 v2, v2, v5, vcc
	v_lshrrev_b32_e32 v5, 23, v30
	v_add3_u32 v7, v6, v2, v5
	v_add_u32_e32 v6, 6, v7
	v_and_b32_e32 v2, 0xfffff, v36
	v_add_u32_e32 v2, v2, v30
	v_cmp_ne_u32_e32 vcc, 0, v6
                                        ; implicit-def: $vgpr30_vgpr31
                                        ; implicit-def: $vgpr5
	s_and_saveexec_b64 s[18:19], vcc
	s_xor_b64 s[18:19], exec, s[18:19]
; %bb.3980:                             ;   in Loop: Header=BB6_3598 Depth=2
	v_cmp_lt_u64_e32 vcc, s[58:59], v[2:3]
	v_add_u32_e32 v5, 7, v7
	v_cndmask_b32_e32 v5, v6, v5, vcc
	v_cndmask_b32_e64 v6, 0, 1, vcc
	v_lshrrev_b64 v[30:31], v6, v[2:3]
; %bb.3981:                             ;   in Loop: Header=BB6_3598 Depth=2
	s_andn2_saveexec_b64 s[18:19], s[18:19]
; %bb.3982:                             ;   in Loop: Header=BB6_3598 Depth=2
	v_mov_b32_e32 v31, v3
	v_bfe_u32 v5, v2, 23, 1
	v_mov_b32_e32 v30, v2
; %bb.3983:                             ;   in Loop: Header=BB6_3598 Depth=2
	s_or_b64 exec, exec, s[18:19]
	v_lshrrev_b64 v[6:7], 20, v[30:31]
	v_cmp_gt_i32_e32 vcc, 16, v5
	v_cndmask_b32_e32 v7, 0, v7, vcc
	v_cndmask_b32_e32 v6, 7, v6, vcc
	v_min_i32_e32 v2, 15, v5
	v_cmp_eq_u64_e64 s[18:19], 0, v[6:7]
	v_lshlrev_b32_e32 v2, 3, v2
	v_cmp_eq_u32_e32 vcc, 0, v5
	v_and_b32_e32 v2, 0xf8, v2
	v_and_or_b32 v2, v6, 7, v2
	s_and_b64 s[18:19], vcc, s[18:19]
	v_cndmask_b32_e64 v2, v2, 0, s[18:19]
	v_or_b32_e32 v2, v2, v4
	buffer_store_dword v2, off, s[0:3], s33 offset:140 ; 4-byte Folded Spill
.LBB6_3984:                             ;   in Loop: Header=BB6_3598 Depth=2
	s_or_b64 exec, exec, s[88:89]
                                        ; implicit-def: $vgpr4
.LBB6_3985:                             ;   in Loop: Header=BB6_3598 Depth=2
	s_andn2_saveexec_b64 s[18:19], s[78:79]
	s_cbranch_execz .LBB6_3987
; %bb.3986:                             ;   in Loop: Header=BB6_3598 Depth=2
	v_or_b32_e32 v2, 0x7e, v4
	buffer_store_dword v2, off, s[0:3], s33 offset:140 ; 4-byte Folded Spill
.LBB6_3987:                             ;   in Loop: Header=BB6_3598 Depth=2
	s_or_b64 exec, exec, s[18:19]
                                        ; implicit-def: $vgpr5
.LBB6_3988:                             ;   in Loop: Header=BB6_3598 Depth=2
	s_andn2_saveexec_b64 s[18:19], s[76:77]
	s_cbranch_execz .LBB6_3990
; %bb.3989:                             ;   in Loop: Header=BB6_3598 Depth=2
	v_or_b32_sdwa v2, v5, s50 dst_sel:DWORD dst_unused:UNUSED_PAD src0_sel:BYTE_3 src1_sel:DWORD
	buffer_store_dword v2, off, s[0:3], s33 offset:140 ; 4-byte Folded Spill
.LBB6_3990:                             ;   in Loop: Header=BB6_3598 Depth=2
	s_or_b64 exec, exec, s[18:19]
	v_lshrrev_b32_e32 v2, 16, v51
	v_cmp_ne_u16_sdwa s[76:77], v2, v3 src0_sel:BYTE_0 src1_sel:DWORD
	v_mov_b32_e32 v4, 0
	v_mov_b32_e32 v5, 0
	s_and_saveexec_b64 s[18:19], s[76:77]
	s_cbranch_execz .LBB6_3996
; %bb.3991:                             ;   in Loop: Header=BB6_3598 Depth=2
	v_cmp_ne_u16_sdwa s[78:79], v2, s49 src0_sel:BYTE_0 src1_sel:DWORD
	v_bfrev_b32_e32 v5, 1
	s_and_saveexec_b64 s[76:77], s[78:79]
	s_cbranch_execz .LBB6_3995
; %bb.3992:                             ;   in Loop: Header=BB6_3598 Depth=2
	v_bfe_u32 v6, v51, 16, 7
	v_cmp_ne_u32_e32 vcc, s50, v6
	v_mov_b32_e32 v5, 0x7f800001
	s_and_saveexec_b64 s[78:79], vcc
	s_cbranch_execz .LBB6_3994
; %bb.3993:                             ;   in Loop: Header=BB6_3598 Depth=2
	v_and_b32_e32 v7, 7, v2
	v_ffbh_u32_e32 v5, v7
	v_min_u32_e32 v9, 32, v5
	v_subrev_u32_e32 v5, 28, v9
	v_lshrrev_b32_e32 v8, 3, v6
	v_cmp_gt_u32_e32 vcc, 8, v6
	v_lshlrev_b64 v[5:6], v5, v[2:3]
	v_sub_u32_e32 v6, 29, v9
	v_and_b32_e32 v5, 7, v5
	v_cndmask_b32_e32 v6, v8, v6, vcc
	v_cndmask_b32_e32 v5, v7, v5, vcc
	v_lshlrev_b32_e32 v2, 24, v2
	v_lshlrev_b32_e32 v5, 20, v5
	v_and_b32_e32 v2, 0x80000000, v2
	v_lshl_add_u32 v6, v6, 23, v57
	v_or3_b32 v5, v2, v6, v5
.LBB6_3994:                             ;   in Loop: Header=BB6_3598 Depth=2
	s_or_b64 exec, exec, s[78:79]
.LBB6_3995:                             ;   in Loop: Header=BB6_3598 Depth=2
	s_or_b64 exec, exec, s[76:77]
.LBB6_3996:                             ;   in Loop: Header=BB6_3598 Depth=2
	s_or_b64 exec, exec, s[18:19]
	v_lshrrev_b32_e32 v2, 16, v39
	v_cmp_ne_u16_sdwa s[76:77], v2, v3 src0_sel:BYTE_0 src1_sel:DWORD
	s_and_saveexec_b64 s[18:19], s[76:77]
	s_cbranch_execz .LBB6_4002
; %bb.3997:                             ;   in Loop: Header=BB6_3598 Depth=2
	v_cmp_ne_u16_sdwa s[78:79], v2, s49 src0_sel:BYTE_0 src1_sel:DWORD
	v_bfrev_b32_e32 v4, 1
	s_and_saveexec_b64 s[76:77], s[78:79]
	s_cbranch_execz .LBB6_4001
; %bb.3998:                             ;   in Loop: Header=BB6_3598 Depth=2
	v_bfe_u32 v6, v39, 16, 7
	v_cmp_ne_u32_e32 vcc, s50, v6
	v_mov_b32_e32 v4, 0x7f800001
	s_and_saveexec_b64 s[78:79], vcc
	s_cbranch_execz .LBB6_4000
; %bb.3999:                             ;   in Loop: Header=BB6_3598 Depth=2
	v_and_b32_e32 v4, 7, v2
	v_lshrrev_b32_e32 v8, 3, v6
	v_cmp_gt_u32_e32 vcc, 8, v6
	v_ffbh_u32_e32 v6, v4
	v_min_u32_e32 v9, 32, v6
	v_subrev_u32_e32 v6, 28, v9
	v_lshlrev_b64 v[6:7], v6, v[2:3]
	v_sub_u32_e32 v2, 29, v9
	v_and_b32_e32 v6, 7, v6
	v_cndmask_b32_e32 v2, v8, v2, vcc
	v_cndmask_b32_e32 v4, v4, v6, vcc
	v_lshlrev_b32_e32 v6, 8, v39
	v_lshlrev_b32_e32 v4, 20, v4
	v_and_b32_e32 v6, 0x80000000, v6
	v_lshl_add_u32 v2, v2, 23, v57
	v_or3_b32 v4, v6, v2, v4
.LBB6_4000:                             ;   in Loop: Header=BB6_3598 Depth=2
	s_or_b64 exec, exec, s[78:79]
.LBB6_4001:                             ;   in Loop: Header=BB6_3598 Depth=2
	s_or_b64 exec, exec, s[76:77]
.LBB6_4002:                             ;   in Loop: Header=BB6_3598 Depth=2
	s_or_b64 exec, exec, s[18:19]
	v_add_f32_e32 v5, v5, v4
	v_and_b32_e32 v2, 0x7f800000, v5
	v_cmp_ne_u64_e32 vcc, s[46:47], v[2:3]
                                        ; implicit-def: $vgpr2
                                        ; kill: killed $vgpr2
	s_and_saveexec_b64 s[18:19], vcc
	s_xor_b64 s[76:77], exec, s[18:19]
	s_cbranch_execz .LBB6_4016
; %bb.4003:                             ;   in Loop: Header=BB6_3598 Depth=2
	v_and_b32_e32 v2, 0x7fffffff, v5
	v_cmp_gt_u64_e32 vcc, s[56:57], v[2:3]
	v_and_b32_sdwa v4, v5, s49 dst_sel:DWORD dst_unused:UNUSED_PAD src0_sel:BYTE_3 src1_sel:DWORD
                                        ; implicit-def: $vgpr2
                                        ; kill: killed $vgpr2
	s_and_saveexec_b64 s[18:19], vcc
	s_xor_b64 s[78:79], exec, s[18:19]
	s_cbranch_execz .LBB6_4013
; %bb.4004:                             ;   in Loop: Header=BB6_3598 Depth=2
	v_mov_b32_e32 v2, 0
	v_cmp_ne_u32_e32 vcc, 0, v5
	buffer_store_dword v2, off, s[0:3], s33 offset:144 ; 4-byte Folded Spill
	s_and_saveexec_b64 s[88:89], vcc
	s_cbranch_execz .LBB6_4012
; %bb.4005:                             ;   in Loop: Header=BB6_3598 Depth=2
	v_and_b32_e32 v2, 0x7fffff, v5
	v_bfe_u32 v5, v5, 23, 8
	v_cmp_gt_u32_e64 s[18:19], s51, v5
	v_sub_u32_e32 v6, 0x79, v5
	v_cmp_eq_u32_e32 vcc, 0, v5
	v_cndmask_b32_e64 v6, 0, v6, s[18:19]
	v_mov_b32_e32 v8, 0x78
	v_or_b32_e32 v7, 0x800000, v2
	v_cndmask_b32_e32 v6, v6, v8, vcc
	v_cndmask_b32_e32 v2, v7, v2, vcc
	v_add_u32_e32 v7, 20, v6
	v_lshlrev_b64 v[7:8], v7, -1
	v_add_u32_e32 v9, 19, v6
	v_lshlrev_b64 v[30:31], v9, 1
	v_bfi_b32 v8, v8, 0, 0
	v_bfi_b32 v7, v7, 0, v2
	v_cmp_eq_u64_e64 s[18:19], v[7:8], v[30:31]
	v_lshrrev_b64 v[30:31], v6, v[2:3]
	v_mov_b32_e32 v37, v31
	v_mov_b32_e32 v36, v30
	s_and_saveexec_b64 s[90:91], s[18:19]
; %bb.4006:                             ;   in Loop: Header=BB6_3598 Depth=2
	v_bfe_u32 v2, v30, 20, 1
	v_add_co_u32_e64 v2, s[18:19], v30, v2
	v_add_co_u32_e64 v36, s[18:19], -1, v2
; %bb.4007:                             ;   in Loop: Header=BB6_3598 Depth=2
	s_or_b64 exec, exec, s[90:91]
	v_add_u32_e32 v2, 0xffffff81, v5
	v_mov_b32_e32 v5, 0xffffff82
	v_cndmask_b32_e32 v2, v2, v5, vcc
	v_lshrrev_b32_e32 v5, 23, v30
	v_add3_u32 v7, v6, v2, v5
	v_add_u32_e32 v6, 6, v7
	v_and_b32_e32 v2, 0xfffff, v36
	v_add_u32_e32 v2, v2, v30
	v_cmp_ne_u32_e32 vcc, 0, v6
                                        ; implicit-def: $vgpr30_vgpr31
                                        ; implicit-def: $vgpr5
	s_and_saveexec_b64 s[18:19], vcc
	s_xor_b64 s[18:19], exec, s[18:19]
; %bb.4008:                             ;   in Loop: Header=BB6_3598 Depth=2
	v_cmp_lt_u64_e32 vcc, s[58:59], v[2:3]
	v_add_u32_e32 v5, 7, v7
	v_cndmask_b32_e32 v5, v6, v5, vcc
	v_cndmask_b32_e64 v6, 0, 1, vcc
	v_lshrrev_b64 v[30:31], v6, v[2:3]
; %bb.4009:                             ;   in Loop: Header=BB6_3598 Depth=2
	s_andn2_saveexec_b64 s[18:19], s[18:19]
; %bb.4010:                             ;   in Loop: Header=BB6_3598 Depth=2
	v_mov_b32_e32 v31, v3
	v_bfe_u32 v5, v2, 23, 1
	v_mov_b32_e32 v30, v2
; %bb.4011:                             ;   in Loop: Header=BB6_3598 Depth=2
	s_or_b64 exec, exec, s[18:19]
	v_lshrrev_b64 v[6:7], 20, v[30:31]
	v_cmp_gt_i32_e32 vcc, 16, v5
	v_cndmask_b32_e32 v7, 0, v7, vcc
	v_cndmask_b32_e32 v6, 7, v6, vcc
	v_min_i32_e32 v2, 15, v5
	v_cmp_eq_u64_e64 s[18:19], 0, v[6:7]
	v_lshlrev_b32_e32 v2, 3, v2
	v_cmp_eq_u32_e32 vcc, 0, v5
	v_and_b32_e32 v2, 0xf8, v2
	v_and_or_b32 v2, v6, 7, v2
	s_and_b64 s[18:19], vcc, s[18:19]
	v_cndmask_b32_e64 v2, v2, 0, s[18:19]
	v_or_b32_e32 v2, v2, v4
	buffer_store_dword v2, off, s[0:3], s33 offset:144 ; 4-byte Folded Spill
.LBB6_4012:                             ;   in Loop: Header=BB6_3598 Depth=2
	s_or_b64 exec, exec, s[88:89]
                                        ; implicit-def: $vgpr4
.LBB6_4013:                             ;   in Loop: Header=BB6_3598 Depth=2
	s_andn2_saveexec_b64 s[18:19], s[78:79]
	s_cbranch_execz .LBB6_4015
; %bb.4014:                             ;   in Loop: Header=BB6_3598 Depth=2
	v_or_b32_e32 v2, 0x7e, v4
	buffer_store_dword v2, off, s[0:3], s33 offset:144 ; 4-byte Folded Spill
.LBB6_4015:                             ;   in Loop: Header=BB6_3598 Depth=2
	s_or_b64 exec, exec, s[18:19]
                                        ; implicit-def: $vgpr5
.LBB6_4016:                             ;   in Loop: Header=BB6_3598 Depth=2
	s_andn2_saveexec_b64 s[18:19], s[76:77]
	s_cbranch_execz .LBB6_4018
; %bb.4017:                             ;   in Loop: Header=BB6_3598 Depth=2
	v_or_b32_sdwa v2, v5, s50 dst_sel:DWORD dst_unused:UNUSED_PAD src0_sel:BYTE_3 src1_sel:DWORD
	buffer_store_dword v2, off, s[0:3], s33 offset:144 ; 4-byte Folded Spill
.LBB6_4018:                             ;   in Loop: Header=BB6_3598 Depth=2
	s_or_b64 exec, exec, s[18:19]
	v_cmp_lt_u64_e32 vcc, s[60:61], v[50:51]
	v_mov_b32_e32 v4, 0
	v_mov_b32_e32 v5, 0
	s_and_saveexec_b64 s[18:19], vcc
	s_cbranch_execz .LBB6_4024
; %bb.4019:                             ;   in Loop: Header=BB6_3598 Depth=2
	v_lshrrev_b32_e32 v2, 24, v51
	v_cmp_ne_u32_e32 vcc, s49, v2
	v_bfrev_b32_e32 v5, 1
	s_and_saveexec_b64 s[76:77], vcc
	s_cbranch_execz .LBB6_4023
; %bb.4020:                             ;   in Loop: Header=BB6_3598 Depth=2
	v_bfe_u32 v6, v51, 24, 7
	v_cmp_ne_u32_e32 vcc, s50, v6
	v_mov_b32_e32 v5, 0x7f800001
	s_and_saveexec_b64 s[78:79], vcc
	s_cbranch_execz .LBB6_4022
; %bb.4021:                             ;   in Loop: Header=BB6_3598 Depth=2
	v_and_b32_e32 v7, 7, v2
	v_ffbh_u32_e32 v5, v7
	v_min_u32_e32 v9, 32, v5
	v_subrev_u32_e32 v5, 28, v9
	v_lshrrev_b32_e32 v8, 3, v6
	v_cmp_gt_u32_e32 vcc, 8, v6
	v_lshlrev_b64 v[5:6], v5, v[2:3]
	v_sub_u32_e32 v6, 29, v9
	v_and_b32_e32 v5, 7, v5
	v_cndmask_b32_e32 v6, v8, v6, vcc
	v_cndmask_b32_e32 v5, v7, v5, vcc
	v_lshlrev_b32_e32 v2, 24, v2
	v_lshlrev_b32_e32 v5, 20, v5
	v_and_b32_e32 v2, 0x80000000, v2
	v_lshl_add_u32 v6, v6, 23, v57
	v_or3_b32 v5, v2, v6, v5
.LBB6_4022:                             ;   in Loop: Header=BB6_3598 Depth=2
	s_or_b64 exec, exec, s[78:79]
.LBB6_4023:                             ;   in Loop: Header=BB6_3598 Depth=2
	s_or_b64 exec, exec, s[76:77]
.LBB6_4024:                             ;   in Loop: Header=BB6_3598 Depth=2
	s_or_b64 exec, exec, s[18:19]
	v_cmp_lt_u64_e32 vcc, s[60:61], v[38:39]
	s_and_saveexec_b64 s[18:19], vcc
	s_cbranch_execz .LBB6_4030
; %bb.4025:                             ;   in Loop: Header=BB6_3598 Depth=2
	v_lshrrev_b32_e32 v2, 24, v39
	v_cmp_ne_u32_e32 vcc, s49, v2
	v_bfrev_b32_e32 v4, 1
	s_and_saveexec_b64 s[76:77], vcc
	s_cbranch_execz .LBB6_4029
; %bb.4026:                             ;   in Loop: Header=BB6_3598 Depth=2
	v_bfe_u32 v6, v39, 24, 7
	v_cmp_ne_u32_e32 vcc, s50, v6
	v_mov_b32_e32 v4, 0x7f800001
	s_and_saveexec_b64 s[78:79], vcc
	s_cbranch_execz .LBB6_4028
; %bb.4027:                             ;   in Loop: Header=BB6_3598 Depth=2
	v_and_b32_e32 v4, 7, v2
	v_lshrrev_b32_e32 v8, 3, v6
	v_cmp_gt_u32_e32 vcc, 8, v6
	v_ffbh_u32_e32 v6, v4
	v_min_u32_e32 v9, 32, v6
	v_subrev_u32_e32 v6, 28, v9
	v_lshlrev_b64 v[6:7], v6, v[2:3]
	v_sub_u32_e32 v7, 29, v9
	v_and_b32_e32 v6, 7, v6
	v_cndmask_b32_e32 v7, v8, v7, vcc
	v_cndmask_b32_e32 v4, v4, v6, vcc
	v_lshlrev_b32_e32 v2, 24, v2
	v_lshlrev_b32_e32 v4, 20, v4
	v_and_b32_e32 v2, 0x80000000, v2
	v_lshl_add_u32 v6, v7, 23, v57
	v_or3_b32 v4, v2, v6, v4
.LBB6_4028:                             ;   in Loop: Header=BB6_3598 Depth=2
	s_or_b64 exec, exec, s[78:79]
.LBB6_4029:                             ;   in Loop: Header=BB6_3598 Depth=2
	s_or_b64 exec, exec, s[76:77]
.LBB6_4030:                             ;   in Loop: Header=BB6_3598 Depth=2
	s_or_b64 exec, exec, s[18:19]
	v_add_f32_e32 v5, v5, v4
	v_and_b32_e32 v2, 0x7f800000, v5
	v_cmp_ne_u64_e32 vcc, s[46:47], v[2:3]
                                        ; implicit-def: $vgpr2
                                        ; kill: killed $vgpr2
	s_and_saveexec_b64 s[18:19], vcc
	s_xor_b64 s[76:77], exec, s[18:19]
	s_cbranch_execz .LBB6_4044
; %bb.4031:                             ;   in Loop: Header=BB6_3598 Depth=2
	v_and_b32_e32 v2, 0x7fffffff, v5
	v_cmp_gt_u64_e32 vcc, s[56:57], v[2:3]
	v_and_b32_sdwa v4, v5, s49 dst_sel:DWORD dst_unused:UNUSED_PAD src0_sel:BYTE_3 src1_sel:DWORD
                                        ; implicit-def: $vgpr2
                                        ; kill: killed $vgpr2
	s_and_saveexec_b64 s[18:19], vcc
	s_xor_b64 s[78:79], exec, s[18:19]
	s_cbranch_execz .LBB6_4041
; %bb.4032:                             ;   in Loop: Header=BB6_3598 Depth=2
	v_mov_b32_e32 v2, 0
	v_cmp_ne_u32_e32 vcc, 0, v5
	buffer_store_dword v2, off, s[0:3], s33 offset:148 ; 4-byte Folded Spill
	s_and_saveexec_b64 s[88:89], vcc
	s_cbranch_execz .LBB6_4040
; %bb.4033:                             ;   in Loop: Header=BB6_3598 Depth=2
	v_and_b32_e32 v2, 0x7fffff, v5
	v_bfe_u32 v5, v5, 23, 8
	v_cmp_gt_u32_e64 s[18:19], s51, v5
	v_sub_u32_e32 v6, 0x79, v5
	v_cmp_eq_u32_e32 vcc, 0, v5
	v_cndmask_b32_e64 v6, 0, v6, s[18:19]
	v_mov_b32_e32 v8, 0x78
	v_or_b32_e32 v7, 0x800000, v2
	v_cndmask_b32_e32 v6, v6, v8, vcc
	v_cndmask_b32_e32 v2, v7, v2, vcc
	v_add_u32_e32 v7, 20, v6
	v_lshlrev_b64 v[7:8], v7, -1
	v_add_u32_e32 v9, 19, v6
	v_lshlrev_b64 v[30:31], v9, 1
	v_bfi_b32 v8, v8, 0, 0
	v_bfi_b32 v7, v7, 0, v2
	v_cmp_eq_u64_e64 s[18:19], v[7:8], v[30:31]
	v_lshrrev_b64 v[30:31], v6, v[2:3]
	v_mov_b32_e32 v37, v31
	v_mov_b32_e32 v36, v30
	s_and_saveexec_b64 s[90:91], s[18:19]
; %bb.4034:                             ;   in Loop: Header=BB6_3598 Depth=2
	v_bfe_u32 v2, v30, 20, 1
	v_add_co_u32_e64 v2, s[18:19], v30, v2
	v_add_co_u32_e64 v36, s[18:19], -1, v2
; %bb.4035:                             ;   in Loop: Header=BB6_3598 Depth=2
	s_or_b64 exec, exec, s[90:91]
	v_add_u32_e32 v2, 0xffffff81, v5
	v_mov_b32_e32 v5, 0xffffff82
	v_cndmask_b32_e32 v2, v2, v5, vcc
	v_lshrrev_b32_e32 v5, 23, v30
	v_add3_u32 v7, v6, v2, v5
	v_add_u32_e32 v6, 6, v7
	v_and_b32_e32 v2, 0xfffff, v36
	v_add_u32_e32 v2, v2, v30
	v_cmp_ne_u32_e32 vcc, 0, v6
                                        ; implicit-def: $vgpr30_vgpr31
                                        ; implicit-def: $vgpr5
	s_and_saveexec_b64 s[18:19], vcc
	s_xor_b64 s[18:19], exec, s[18:19]
; %bb.4036:                             ;   in Loop: Header=BB6_3598 Depth=2
	v_cmp_lt_u64_e32 vcc, s[58:59], v[2:3]
	v_add_u32_e32 v5, 7, v7
	v_cndmask_b32_e32 v5, v6, v5, vcc
	v_cndmask_b32_e64 v6, 0, 1, vcc
	v_lshrrev_b64 v[30:31], v6, v[2:3]
; %bb.4037:                             ;   in Loop: Header=BB6_3598 Depth=2
	s_andn2_saveexec_b64 s[18:19], s[18:19]
; %bb.4038:                             ;   in Loop: Header=BB6_3598 Depth=2
	v_mov_b32_e32 v31, v3
	v_bfe_u32 v5, v2, 23, 1
	v_mov_b32_e32 v30, v2
; %bb.4039:                             ;   in Loop: Header=BB6_3598 Depth=2
	s_or_b64 exec, exec, s[18:19]
	v_lshrrev_b64 v[6:7], 20, v[30:31]
	v_cmp_gt_i32_e32 vcc, 16, v5
	v_cndmask_b32_e32 v7, 0, v7, vcc
	v_cndmask_b32_e32 v6, 7, v6, vcc
	v_min_i32_e32 v2, 15, v5
	v_cmp_eq_u64_e64 s[18:19], 0, v[6:7]
	v_lshlrev_b32_e32 v2, 3, v2
	v_cmp_eq_u32_e32 vcc, 0, v5
	v_and_b32_e32 v2, 0xf8, v2
	v_and_or_b32 v2, v6, 7, v2
	s_and_b64 s[18:19], vcc, s[18:19]
	v_cndmask_b32_e64 v2, v2, 0, s[18:19]
	v_or_b32_e32 v2, v2, v4
	buffer_store_dword v2, off, s[0:3], s33 offset:148 ; 4-byte Folded Spill
.LBB6_4040:                             ;   in Loop: Header=BB6_3598 Depth=2
	s_or_b64 exec, exec, s[88:89]
                                        ; implicit-def: $vgpr4
.LBB6_4041:                             ;   in Loop: Header=BB6_3598 Depth=2
	s_andn2_saveexec_b64 s[18:19], s[78:79]
	s_cbranch_execz .LBB6_4043
; %bb.4042:                             ;   in Loop: Header=BB6_3598 Depth=2
	v_or_b32_e32 v2, 0x7e, v4
	buffer_store_dword v2, off, s[0:3], s33 offset:148 ; 4-byte Folded Spill
.LBB6_4043:                             ;   in Loop: Header=BB6_3598 Depth=2
	s_or_b64 exec, exec, s[18:19]
                                        ; implicit-def: $vgpr5
.LBB6_4044:                             ;   in Loop: Header=BB6_3598 Depth=2
	s_andn2_saveexec_b64 s[18:19], s[76:77]
	s_cbranch_execz .LBB6_4046
; %bb.4045:                             ;   in Loop: Header=BB6_3598 Depth=2
	v_or_b32_sdwa v2, v5, s50 dst_sel:DWORD dst_unused:UNUSED_PAD src0_sel:BYTE_3 src1_sel:DWORD
	buffer_store_dword v2, off, s[0:3], s33 offset:148 ; 4-byte Folded Spill
.LBB6_4046:                             ;   in Loop: Header=BB6_3598 Depth=2
	s_or_b64 exec, exec, s[18:19]
	v_cmp_ne_u16_sdwa s[76:77], v32, v3 src0_sel:BYTE_0 src1_sel:DWORD
	v_mov_b32_e32 v2, 0
	v_mov_b32_e32 v4, 0
	s_and_saveexec_b64 s[18:19], s[76:77]
	s_cbranch_execz .LBB6_4052
; %bb.4047:                             ;   in Loop: Header=BB6_3598 Depth=2
	v_cmp_ne_u16_sdwa s[78:79], v32, s49 src0_sel:BYTE_0 src1_sel:DWORD
	v_bfrev_b32_e32 v4, 1
	s_and_saveexec_b64 s[76:77], s[78:79]
	s_cbranch_execz .LBB6_4051
; %bb.4048:                             ;   in Loop: Header=BB6_3598 Depth=2
	v_and_b32_e32 v5, 0x7f, v32
	v_cmp_ne_u32_e32 vcc, s50, v5
	v_mov_b32_e32 v4, 0x7f800001
	s_and_saveexec_b64 s[78:79], vcc
	s_cbranch_execz .LBB6_4050
; %bb.4049:                             ;   in Loop: Header=BB6_3598 Depth=2
	v_and_b32_e32 v4, 7, v32
	v_ffbh_u32_e32 v4, v4
	v_min_u32_e32 v4, 32, v4
	v_lshrrev_b32_e32 v6, 3, v5
	v_cmp_gt_u32_e32 vcc, 8, v5
	v_subrev_u32_e32 v5, 28, v4
	v_sub_u32_e32 v4, 29, v4
	v_cndmask_b32_e32 v6, v6, v4, vcc
	v_cndmask_b32_e32 v4, 0, v5, vcc
	v_lshlrev_b64 v[4:5], v4, v[32:33]
	v_lshlrev_b32_e32 v5, 24, v32
	v_lshlrev_b32_e32 v4, 20, v4
	v_and_b32_e32 v4, 0x700000, v4
	v_and_b32_e32 v5, 0x80000000, v5
	v_lshl_add_u32 v6, v6, 23, v57
	v_or3_b32 v4, v5, v6, v4
.LBB6_4050:                             ;   in Loop: Header=BB6_3598 Depth=2
	s_or_b64 exec, exec, s[78:79]
.LBB6_4051:                             ;   in Loop: Header=BB6_3598 Depth=2
	s_or_b64 exec, exec, s[76:77]
.LBB6_4052:                             ;   in Loop: Header=BB6_3598 Depth=2
	s_or_b64 exec, exec, s[18:19]
	s_waitcnt vmcnt(2)
	v_cmp_ne_u16_sdwa s[76:77], v26, v3 src0_sel:BYTE_0 src1_sel:DWORD
	s_and_saveexec_b64 s[18:19], s[76:77]
	s_cbranch_execz .LBB6_4058
; %bb.4053:                             ;   in Loop: Header=BB6_3598 Depth=2
	v_cmp_ne_u16_sdwa s[78:79], v26, s49 src0_sel:BYTE_0 src1_sel:DWORD
	v_bfrev_b32_e32 v2, 1
	s_and_saveexec_b64 s[76:77], s[78:79]
	s_cbranch_execz .LBB6_4057
; %bb.4054:                             ;   in Loop: Header=BB6_3598 Depth=2
	v_and_b32_e32 v5, 0x7f, v26
	v_cmp_ne_u32_e32 vcc, s50, v5
	v_mov_b32_e32 v2, 0x7f800001
	s_and_saveexec_b64 s[78:79], vcc
	s_cbranch_execz .LBB6_4056
; %bb.4055:                             ;   in Loop: Header=BB6_3598 Depth=2
	v_and_b32_e32 v2, 7, v26
	v_ffbh_u32_e32 v2, v2
	v_min_u32_e32 v2, 32, v2
	v_lshrrev_b32_e32 v6, 3, v5
	v_cmp_gt_u32_e32 vcc, 8, v5
	v_subrev_u32_e32 v5, 28, v2
	v_sub_u32_e32 v2, 29, v2
	v_cndmask_b32_e32 v5, 0, v5, vcc
	v_cndmask_b32_e32 v2, v6, v2, vcc
	v_lshlrev_b64 v[5:6], v5, v[26:27]
	v_lshlrev_b32_e32 v6, 24, v26
	v_lshlrev_b32_e32 v5, 20, v5
	v_and_b32_e32 v5, 0x700000, v5
	v_and_b32_e32 v6, 0x80000000, v6
	v_lshl_add_u32 v2, v2, 23, v57
	v_or3_b32 v2, v6, v2, v5
.LBB6_4056:                             ;   in Loop: Header=BB6_3598 Depth=2
	s_or_b64 exec, exec, s[78:79]
.LBB6_4057:                             ;   in Loop: Header=BB6_3598 Depth=2
	s_or_b64 exec, exec, s[76:77]
.LBB6_4058:                             ;   in Loop: Header=BB6_3598 Depth=2
	s_or_b64 exec, exec, s[18:19]
	v_add_f32_e32 v5, v4, v2
	v_and_b32_e32 v2, 0x7f800000, v5
	v_cmp_ne_u64_e32 vcc, s[46:47], v[2:3]
                                        ; implicit-def: $vgpr2
                                        ; kill: killed $vgpr2
	s_and_saveexec_b64 s[18:19], vcc
	s_xor_b64 s[76:77], exec, s[18:19]
	s_cbranch_execz .LBB6_4072
; %bb.4059:                             ;   in Loop: Header=BB6_3598 Depth=2
	v_and_b32_e32 v2, 0x7fffffff, v5
	v_cmp_gt_u64_e32 vcc, s[56:57], v[2:3]
	v_and_b32_sdwa v4, v5, s49 dst_sel:DWORD dst_unused:UNUSED_PAD src0_sel:BYTE_3 src1_sel:DWORD
                                        ; implicit-def: $vgpr2
                                        ; kill: killed $vgpr2
	s_and_saveexec_b64 s[18:19], vcc
	s_xor_b64 s[78:79], exec, s[18:19]
	s_cbranch_execz .LBB6_4069
; %bb.4060:                             ;   in Loop: Header=BB6_3598 Depth=2
	v_mov_b32_e32 v2, 0
	v_cmp_ne_u32_e32 vcc, 0, v5
	buffer_store_dword v2, off, s[0:3], s33 offset:152 ; 4-byte Folded Spill
	s_and_saveexec_b64 s[88:89], vcc
	s_cbranch_execz .LBB6_4068
; %bb.4061:                             ;   in Loop: Header=BB6_3598 Depth=2
	v_and_b32_e32 v2, 0x7fffff, v5
	v_bfe_u32 v5, v5, 23, 8
	v_cmp_gt_u32_e64 s[18:19], s51, v5
	v_sub_u32_e32 v6, 0x79, v5
	v_cmp_eq_u32_e32 vcc, 0, v5
	v_cndmask_b32_e64 v6, 0, v6, s[18:19]
	v_mov_b32_e32 v8, 0x78
	v_or_b32_e32 v7, 0x800000, v2
	v_cndmask_b32_e32 v6, v6, v8, vcc
	v_cndmask_b32_e32 v2, v7, v2, vcc
	v_add_u32_e32 v7, 20, v6
	v_lshlrev_b64 v[7:8], v7, -1
	v_add_u32_e32 v9, 19, v6
	v_lshlrev_b64 v[30:31], v9, 1
	v_bfi_b32 v8, v8, 0, 0
	v_bfi_b32 v7, v7, 0, v2
	v_cmp_eq_u64_e64 s[18:19], v[7:8], v[30:31]
	v_lshrrev_b64 v[30:31], v6, v[2:3]
	v_mov_b32_e32 v37, v31
	v_mov_b32_e32 v36, v30
	s_and_saveexec_b64 s[90:91], s[18:19]
; %bb.4062:                             ;   in Loop: Header=BB6_3598 Depth=2
	v_bfe_u32 v2, v30, 20, 1
	v_add_co_u32_e64 v2, s[18:19], v30, v2
	v_add_co_u32_e64 v36, s[18:19], -1, v2
; %bb.4063:                             ;   in Loop: Header=BB6_3598 Depth=2
	s_or_b64 exec, exec, s[90:91]
	v_add_u32_e32 v2, 0xffffff81, v5
	v_mov_b32_e32 v5, 0xffffff82
	v_cndmask_b32_e32 v2, v2, v5, vcc
	v_lshrrev_b32_e32 v5, 23, v30
	v_add3_u32 v7, v6, v2, v5
	v_add_u32_e32 v6, 6, v7
	v_and_b32_e32 v2, 0xfffff, v36
	v_add_u32_e32 v2, v2, v30
	v_cmp_ne_u32_e32 vcc, 0, v6
                                        ; implicit-def: $vgpr30_vgpr31
                                        ; implicit-def: $vgpr5
	s_and_saveexec_b64 s[18:19], vcc
	s_xor_b64 s[18:19], exec, s[18:19]
; %bb.4064:                             ;   in Loop: Header=BB6_3598 Depth=2
	v_cmp_lt_u64_e32 vcc, s[58:59], v[2:3]
	v_add_u32_e32 v5, 7, v7
	v_cndmask_b32_e32 v5, v6, v5, vcc
	v_cndmask_b32_e64 v6, 0, 1, vcc
	v_lshrrev_b64 v[30:31], v6, v[2:3]
; %bb.4065:                             ;   in Loop: Header=BB6_3598 Depth=2
	s_andn2_saveexec_b64 s[18:19], s[18:19]
; %bb.4066:                             ;   in Loop: Header=BB6_3598 Depth=2
	v_mov_b32_e32 v31, v3
	v_bfe_u32 v5, v2, 23, 1
	v_mov_b32_e32 v30, v2
; %bb.4067:                             ;   in Loop: Header=BB6_3598 Depth=2
	s_or_b64 exec, exec, s[18:19]
	v_lshrrev_b64 v[6:7], 20, v[30:31]
	v_cmp_gt_i32_e32 vcc, 16, v5
	v_cndmask_b32_e32 v7, 0, v7, vcc
	v_cndmask_b32_e32 v6, 7, v6, vcc
	v_min_i32_e32 v2, 15, v5
	v_cmp_eq_u64_e64 s[18:19], 0, v[6:7]
	v_lshlrev_b32_e32 v2, 3, v2
	v_cmp_eq_u32_e32 vcc, 0, v5
	v_and_b32_e32 v2, 0xf8, v2
	v_and_or_b32 v2, v6, 7, v2
	s_and_b64 s[18:19], vcc, s[18:19]
	v_cndmask_b32_e64 v2, v2, 0, s[18:19]
	v_or_b32_e32 v2, v2, v4
	buffer_store_dword v2, off, s[0:3], s33 offset:152 ; 4-byte Folded Spill
.LBB6_4068:                             ;   in Loop: Header=BB6_3598 Depth=2
	s_or_b64 exec, exec, s[88:89]
                                        ; implicit-def: $vgpr4
.LBB6_4069:                             ;   in Loop: Header=BB6_3598 Depth=2
	s_andn2_saveexec_b64 s[18:19], s[78:79]
	s_cbranch_execz .LBB6_4071
; %bb.4070:                             ;   in Loop: Header=BB6_3598 Depth=2
	v_or_b32_e32 v2, 0x7e, v4
	buffer_store_dword v2, off, s[0:3], s33 offset:152 ; 4-byte Folded Spill
.LBB6_4071:                             ;   in Loop: Header=BB6_3598 Depth=2
	s_or_b64 exec, exec, s[18:19]
                                        ; implicit-def: $vgpr5
.LBB6_4072:                             ;   in Loop: Header=BB6_3598 Depth=2
	s_andn2_saveexec_b64 s[18:19], s[76:77]
	s_cbranch_execz .LBB6_4074
; %bb.4073:                             ;   in Loop: Header=BB6_3598 Depth=2
	v_or_b32_sdwa v2, v5, s50 dst_sel:DWORD dst_unused:UNUSED_PAD src0_sel:BYTE_3 src1_sel:DWORD
	buffer_store_dword v2, off, s[0:3], s33 offset:152 ; 4-byte Folded Spill
.LBB6_4074:                             ;   in Loop: Header=BB6_3598 Depth=2
	s_or_b64 exec, exec, s[18:19]
	v_lshrrev_b16_e32 v2, 8, v32
	v_cmp_ne_u16_e32 vcc, 0, v2
	v_mov_b32_e32 v4, 0
	v_mov_b32_e32 v5, 0
	s_and_saveexec_b64 s[18:19], vcc
	s_cbranch_execz .LBB6_4080
; %bb.4075:                             ;   in Loop: Header=BB6_3598 Depth=2
	v_cmp_ne_u16_e32 vcc, s49, v2
	v_bfrev_b32_e32 v5, 1
	s_and_saveexec_b64 s[76:77], vcc
	s_cbranch_execz .LBB6_4079
; %bb.4076:                             ;   in Loop: Header=BB6_3598 Depth=2
	v_and_b32_e32 v6, 0x7f, v2
	v_cmp_ne_u32_e32 vcc, s50, v6
	v_mov_b32_e32 v5, 0x7f800001
	s_and_saveexec_b64 s[78:79], vcc
	s_cbranch_execz .LBB6_4078
; %bb.4077:                             ;   in Loop: Header=BB6_3598 Depth=2
	v_and_b32_e32 v7, 7, v2
	v_ffbh_u32_e32 v5, v7
	v_min_u32_e32 v9, 32, v5
	v_subrev_u32_e32 v5, 28, v9
	v_lshrrev_b32_e32 v8, 3, v6
	v_cmp_gt_u32_e32 vcc, 8, v6
	v_lshlrev_b64 v[5:6], v5, v[2:3]
	v_sub_u32_e32 v2, 29, v9
	v_and_b32_e32 v5, 7, v5
	v_cndmask_b32_e32 v2, v8, v2, vcc
	v_cndmask_b32_e32 v5, v7, v5, vcc
	v_lshlrev_b32_e32 v6, 16, v32
	v_lshlrev_b32_e32 v5, 20, v5
	v_and_b32_e32 v6, 0x80000000, v6
	v_lshl_add_u32 v2, v2, 23, v57
	v_or3_b32 v5, v6, v2, v5
.LBB6_4078:                             ;   in Loop: Header=BB6_3598 Depth=2
	s_or_b64 exec, exec, s[78:79]
.LBB6_4079:                             ;   in Loop: Header=BB6_3598 Depth=2
	s_or_b64 exec, exec, s[76:77]
.LBB6_4080:                             ;   in Loop: Header=BB6_3598 Depth=2
	s_or_b64 exec, exec, s[18:19]
	v_lshrrev_b16_e32 v2, 8, v26
	v_cmp_ne_u16_e32 vcc, 0, v2
	s_and_saveexec_b64 s[18:19], vcc
	s_cbranch_execz .LBB6_4086
; %bb.4081:                             ;   in Loop: Header=BB6_3598 Depth=2
	v_cmp_ne_u16_e32 vcc, s49, v2
	v_bfrev_b32_e32 v4, 1
	s_and_saveexec_b64 s[76:77], vcc
	s_cbranch_execz .LBB6_4085
; %bb.4082:                             ;   in Loop: Header=BB6_3598 Depth=2
	v_and_b32_e32 v6, 0x7f, v2
	v_cmp_ne_u32_e32 vcc, s50, v6
	v_mov_b32_e32 v4, 0x7f800001
	s_and_saveexec_b64 s[78:79], vcc
	s_cbranch_execz .LBB6_4084
; %bb.4083:                             ;   in Loop: Header=BB6_3598 Depth=2
	v_and_b32_e32 v4, 7, v2
	v_lshrrev_b32_e32 v8, 3, v6
	v_cmp_gt_u32_e32 vcc, 8, v6
	v_ffbh_u32_e32 v6, v4
	v_min_u32_e32 v9, 32, v6
	v_subrev_u32_e32 v6, 28, v9
	v_lshlrev_b64 v[6:7], v6, v[2:3]
	v_sub_u32_e32 v2, 29, v9
	v_and_b32_e32 v6, 7, v6
	v_cndmask_b32_e32 v2, v8, v2, vcc
	v_cndmask_b32_e32 v4, v4, v6, vcc
	v_lshlrev_b32_e32 v6, 16, v26
	v_lshlrev_b32_e32 v4, 20, v4
	v_and_b32_e32 v6, 0x80000000, v6
	v_lshl_add_u32 v2, v2, 23, v57
	v_or3_b32 v4, v6, v2, v4
.LBB6_4084:                             ;   in Loop: Header=BB6_3598 Depth=2
	s_or_b64 exec, exec, s[78:79]
.LBB6_4085:                             ;   in Loop: Header=BB6_3598 Depth=2
	s_or_b64 exec, exec, s[76:77]
.LBB6_4086:                             ;   in Loop: Header=BB6_3598 Depth=2
	s_or_b64 exec, exec, s[18:19]
	v_add_f32_e32 v5, v5, v4
	v_and_b32_e32 v2, 0x7f800000, v5
	v_cmp_ne_u64_e32 vcc, s[46:47], v[2:3]
                                        ; implicit-def: $vgpr2
                                        ; kill: killed $vgpr2
	s_and_saveexec_b64 s[18:19], vcc
	s_xor_b64 s[76:77], exec, s[18:19]
	s_cbranch_execz .LBB6_4100
; %bb.4087:                             ;   in Loop: Header=BB6_3598 Depth=2
	v_and_b32_e32 v2, 0x7fffffff, v5
	v_cmp_gt_u64_e32 vcc, s[56:57], v[2:3]
	v_and_b32_sdwa v4, v5, s49 dst_sel:DWORD dst_unused:UNUSED_PAD src0_sel:BYTE_3 src1_sel:DWORD
                                        ; implicit-def: $vgpr2
                                        ; kill: killed $vgpr2
	s_and_saveexec_b64 s[18:19], vcc
	s_xor_b64 s[78:79], exec, s[18:19]
	s_cbranch_execz .LBB6_4097
; %bb.4088:                             ;   in Loop: Header=BB6_3598 Depth=2
	v_mov_b32_e32 v2, 0
	v_cmp_ne_u32_e32 vcc, 0, v5
	buffer_store_dword v2, off, s[0:3], s33 offset:172 ; 4-byte Folded Spill
	s_and_saveexec_b64 s[88:89], vcc
	s_cbranch_execz .LBB6_4096
; %bb.4089:                             ;   in Loop: Header=BB6_3598 Depth=2
	v_and_b32_e32 v2, 0x7fffff, v5
	v_bfe_u32 v5, v5, 23, 8
	v_cmp_gt_u32_e64 s[18:19], s51, v5
	v_sub_u32_e32 v6, 0x79, v5
	v_cmp_eq_u32_e32 vcc, 0, v5
	v_cndmask_b32_e64 v6, 0, v6, s[18:19]
	v_mov_b32_e32 v8, 0x78
	v_or_b32_e32 v7, 0x800000, v2
	v_cndmask_b32_e32 v6, v6, v8, vcc
	v_cndmask_b32_e32 v2, v7, v2, vcc
	v_add_u32_e32 v7, 20, v6
	v_lshlrev_b64 v[7:8], v7, -1
	v_add_u32_e32 v9, 19, v6
	v_lshlrev_b64 v[30:31], v9, 1
	v_bfi_b32 v8, v8, 0, 0
	v_bfi_b32 v7, v7, 0, v2
	v_cmp_eq_u64_e64 s[18:19], v[7:8], v[30:31]
	v_lshrrev_b64 v[30:31], v6, v[2:3]
	v_mov_b32_e32 v37, v31
	v_mov_b32_e32 v36, v30
	s_and_saveexec_b64 s[90:91], s[18:19]
; %bb.4090:                             ;   in Loop: Header=BB6_3598 Depth=2
	v_bfe_u32 v2, v30, 20, 1
	v_add_co_u32_e64 v2, s[18:19], v30, v2
	v_add_co_u32_e64 v36, s[18:19], -1, v2
; %bb.4091:                             ;   in Loop: Header=BB6_3598 Depth=2
	s_or_b64 exec, exec, s[90:91]
	v_add_u32_e32 v2, 0xffffff81, v5
	v_mov_b32_e32 v5, 0xffffff82
	v_cndmask_b32_e32 v2, v2, v5, vcc
	v_lshrrev_b32_e32 v5, 23, v30
	v_add3_u32 v7, v6, v2, v5
	v_add_u32_e32 v6, 6, v7
	v_and_b32_e32 v2, 0xfffff, v36
	v_add_u32_e32 v2, v2, v30
	v_cmp_ne_u32_e32 vcc, 0, v6
                                        ; implicit-def: $vgpr30_vgpr31
                                        ; implicit-def: $vgpr5
	s_and_saveexec_b64 s[18:19], vcc
	s_xor_b64 s[18:19], exec, s[18:19]
; %bb.4092:                             ;   in Loop: Header=BB6_3598 Depth=2
	v_cmp_lt_u64_e32 vcc, s[58:59], v[2:3]
	v_add_u32_e32 v5, 7, v7
	v_cndmask_b32_e32 v5, v6, v5, vcc
	v_cndmask_b32_e64 v6, 0, 1, vcc
	v_lshrrev_b64 v[30:31], v6, v[2:3]
; %bb.4093:                             ;   in Loop: Header=BB6_3598 Depth=2
	s_andn2_saveexec_b64 s[18:19], s[18:19]
; %bb.4094:                             ;   in Loop: Header=BB6_3598 Depth=2
	v_mov_b32_e32 v31, v3
	v_bfe_u32 v5, v2, 23, 1
	v_mov_b32_e32 v30, v2
; %bb.4095:                             ;   in Loop: Header=BB6_3598 Depth=2
	s_or_b64 exec, exec, s[18:19]
	v_lshrrev_b64 v[6:7], 20, v[30:31]
	v_cmp_gt_i32_e32 vcc, 16, v5
	v_cndmask_b32_e32 v7, 0, v7, vcc
	v_cndmask_b32_e32 v6, 7, v6, vcc
	v_min_i32_e32 v2, 15, v5
	v_cmp_eq_u64_e64 s[18:19], 0, v[6:7]
	v_lshlrev_b32_e32 v2, 3, v2
	v_cmp_eq_u32_e32 vcc, 0, v5
	v_and_b32_e32 v2, 0xf8, v2
	v_and_or_b32 v2, v6, 7, v2
	s_and_b64 s[18:19], vcc, s[18:19]
	v_cndmask_b32_e64 v2, v2, 0, s[18:19]
	v_or_b32_e32 v2, v2, v4
	buffer_store_dword v2, off, s[0:3], s33 offset:172 ; 4-byte Folded Spill
.LBB6_4096:                             ;   in Loop: Header=BB6_3598 Depth=2
	s_or_b64 exec, exec, s[88:89]
                                        ; implicit-def: $vgpr4
.LBB6_4097:                             ;   in Loop: Header=BB6_3598 Depth=2
	s_andn2_saveexec_b64 s[18:19], s[78:79]
	s_cbranch_execz .LBB6_4099
; %bb.4098:                             ;   in Loop: Header=BB6_3598 Depth=2
	v_or_b32_e32 v2, 0x7e, v4
	buffer_store_dword v2, off, s[0:3], s33 offset:172 ; 4-byte Folded Spill
.LBB6_4099:                             ;   in Loop: Header=BB6_3598 Depth=2
	s_or_b64 exec, exec, s[18:19]
                                        ; implicit-def: $vgpr5
.LBB6_4100:                             ;   in Loop: Header=BB6_3598 Depth=2
	s_andn2_saveexec_b64 s[18:19], s[76:77]
	s_cbranch_execz .LBB6_4102
; %bb.4101:                             ;   in Loop: Header=BB6_3598 Depth=2
	v_or_b32_sdwa v2, v5, s50 dst_sel:DWORD dst_unused:UNUSED_PAD src0_sel:BYTE_3 src1_sel:DWORD
	buffer_store_dword v2, off, s[0:3], s33 offset:172 ; 4-byte Folded Spill
.LBB6_4102:                             ;   in Loop: Header=BB6_3598 Depth=2
	s_or_b64 exec, exec, s[18:19]
	v_lshrrev_b32_e32 v2, 16, v32
	v_cmp_ne_u16_sdwa s[76:77], v2, v3 src0_sel:BYTE_0 src1_sel:DWORD
	v_mov_b32_e32 v4, 0
	v_mov_b32_e32 v5, 0
	s_and_saveexec_b64 s[18:19], s[76:77]
	s_cbranch_execz .LBB6_4108
; %bb.4103:                             ;   in Loop: Header=BB6_3598 Depth=2
	v_cmp_ne_u16_sdwa s[78:79], v2, s49 src0_sel:BYTE_0 src1_sel:DWORD
	v_bfrev_b32_e32 v5, 1
	s_and_saveexec_b64 s[76:77], s[78:79]
	s_cbranch_execz .LBB6_4107
; %bb.4104:                             ;   in Loop: Header=BB6_3598 Depth=2
	v_bfe_u32 v6, v32, 16, 7
	v_cmp_ne_u32_e32 vcc, s50, v6
	v_mov_b32_e32 v5, 0x7f800001
	s_and_saveexec_b64 s[78:79], vcc
	s_cbranch_execz .LBB6_4106
; %bb.4105:                             ;   in Loop: Header=BB6_3598 Depth=2
	v_and_b32_e32 v7, 7, v2
	v_ffbh_u32_e32 v5, v7
	v_min_u32_e32 v9, 32, v5
	v_subrev_u32_e32 v5, 28, v9
	v_lshrrev_b32_e32 v8, 3, v6
	v_cmp_gt_u32_e32 vcc, 8, v6
	v_lshlrev_b64 v[5:6], v5, v[2:3]
	v_sub_u32_e32 v6, 29, v9
	v_and_b32_e32 v5, 7, v5
	v_cndmask_b32_e32 v6, v8, v6, vcc
	v_cndmask_b32_e32 v5, v7, v5, vcc
	v_lshlrev_b32_e32 v2, 24, v2
	v_lshlrev_b32_e32 v5, 20, v5
	v_and_b32_e32 v2, 0x80000000, v2
	v_lshl_add_u32 v6, v6, 23, v57
	v_or3_b32 v5, v2, v6, v5
.LBB6_4106:                             ;   in Loop: Header=BB6_3598 Depth=2
	s_or_b64 exec, exec, s[78:79]
.LBB6_4107:                             ;   in Loop: Header=BB6_3598 Depth=2
	s_or_b64 exec, exec, s[76:77]
.LBB6_4108:                             ;   in Loop: Header=BB6_3598 Depth=2
	s_or_b64 exec, exec, s[18:19]
	v_lshrrev_b32_e32 v2, 16, v26
	v_cmp_ne_u16_sdwa s[76:77], v2, v3 src0_sel:BYTE_0 src1_sel:DWORD
	s_and_saveexec_b64 s[18:19], s[76:77]
	s_cbranch_execz .LBB6_4114
; %bb.4109:                             ;   in Loop: Header=BB6_3598 Depth=2
	v_cmp_ne_u16_sdwa s[78:79], v2, s49 src0_sel:BYTE_0 src1_sel:DWORD
	v_bfrev_b32_e32 v4, 1
	s_and_saveexec_b64 s[76:77], s[78:79]
	s_cbranch_execz .LBB6_4113
; %bb.4110:                             ;   in Loop: Header=BB6_3598 Depth=2
	v_bfe_u32 v6, v26, 16, 7
	v_cmp_ne_u32_e32 vcc, s50, v6
	v_mov_b32_e32 v4, 0x7f800001
	s_and_saveexec_b64 s[78:79], vcc
	s_cbranch_execz .LBB6_4112
; %bb.4111:                             ;   in Loop: Header=BB6_3598 Depth=2
	v_and_b32_e32 v4, 7, v2
	v_lshrrev_b32_e32 v8, 3, v6
	v_cmp_gt_u32_e32 vcc, 8, v6
	v_ffbh_u32_e32 v6, v4
	v_min_u32_e32 v9, 32, v6
	v_subrev_u32_e32 v6, 28, v9
	v_lshlrev_b64 v[6:7], v6, v[2:3]
	v_sub_u32_e32 v2, 29, v9
	v_and_b32_e32 v6, 7, v6
	v_cndmask_b32_e32 v2, v8, v2, vcc
	v_cndmask_b32_e32 v4, v4, v6, vcc
	v_lshlrev_b32_e32 v6, 8, v26
	v_lshlrev_b32_e32 v4, 20, v4
	v_and_b32_e32 v6, 0x80000000, v6
	v_lshl_add_u32 v2, v2, 23, v57
	v_or3_b32 v4, v6, v2, v4
.LBB6_4112:                             ;   in Loop: Header=BB6_3598 Depth=2
	s_or_b64 exec, exec, s[78:79]
.LBB6_4113:                             ;   in Loop: Header=BB6_3598 Depth=2
	s_or_b64 exec, exec, s[76:77]
.LBB6_4114:                             ;   in Loop: Header=BB6_3598 Depth=2
	s_or_b64 exec, exec, s[18:19]
	v_add_f32_e32 v5, v5, v4
	v_and_b32_e32 v2, 0x7f800000, v5
	v_cmp_ne_u64_e32 vcc, s[46:47], v[2:3]
                                        ; implicit-def: $vgpr2
                                        ; kill: killed $vgpr2
	s_and_saveexec_b64 s[18:19], vcc
	s_xor_b64 s[76:77], exec, s[18:19]
	s_cbranch_execz .LBB6_4128
; %bb.4115:                             ;   in Loop: Header=BB6_3598 Depth=2
	v_and_b32_e32 v2, 0x7fffffff, v5
	v_cmp_gt_u64_e32 vcc, s[56:57], v[2:3]
	v_and_b32_sdwa v4, v5, s49 dst_sel:DWORD dst_unused:UNUSED_PAD src0_sel:BYTE_3 src1_sel:DWORD
                                        ; implicit-def: $vgpr2
                                        ; kill: killed $vgpr2
	s_and_saveexec_b64 s[18:19], vcc
	s_xor_b64 s[78:79], exec, s[18:19]
	s_cbranch_execz .LBB6_4125
; %bb.4116:                             ;   in Loop: Header=BB6_3598 Depth=2
	v_mov_b32_e32 v2, 0
	v_cmp_ne_u32_e32 vcc, 0, v5
	buffer_store_dword v2, off, s[0:3], s33 offset:176 ; 4-byte Folded Spill
	s_and_saveexec_b64 s[88:89], vcc
	s_cbranch_execz .LBB6_4124
; %bb.4117:                             ;   in Loop: Header=BB6_3598 Depth=2
	v_and_b32_e32 v2, 0x7fffff, v5
	v_bfe_u32 v5, v5, 23, 8
	v_cmp_gt_u32_e64 s[18:19], s51, v5
	v_sub_u32_e32 v6, 0x79, v5
	v_cmp_eq_u32_e32 vcc, 0, v5
	v_cndmask_b32_e64 v6, 0, v6, s[18:19]
	v_mov_b32_e32 v8, 0x78
	v_or_b32_e32 v7, 0x800000, v2
	v_cndmask_b32_e32 v6, v6, v8, vcc
	v_cndmask_b32_e32 v2, v7, v2, vcc
	v_add_u32_e32 v7, 20, v6
	v_lshlrev_b64 v[7:8], v7, -1
	v_add_u32_e32 v9, 19, v6
	v_lshlrev_b64 v[30:31], v9, 1
	v_bfi_b32 v8, v8, 0, 0
	v_bfi_b32 v7, v7, 0, v2
	v_cmp_eq_u64_e64 s[18:19], v[7:8], v[30:31]
	v_lshrrev_b64 v[30:31], v6, v[2:3]
	v_mov_b32_e32 v37, v31
	v_mov_b32_e32 v36, v30
	s_and_saveexec_b64 s[90:91], s[18:19]
; %bb.4118:                             ;   in Loop: Header=BB6_3598 Depth=2
	v_bfe_u32 v2, v30, 20, 1
	v_add_co_u32_e64 v2, s[18:19], v30, v2
	v_add_co_u32_e64 v36, s[18:19], -1, v2
; %bb.4119:                             ;   in Loop: Header=BB6_3598 Depth=2
	s_or_b64 exec, exec, s[90:91]
	v_add_u32_e32 v2, 0xffffff81, v5
	v_mov_b32_e32 v5, 0xffffff82
	v_cndmask_b32_e32 v2, v2, v5, vcc
	v_lshrrev_b32_e32 v5, 23, v30
	v_add3_u32 v7, v6, v2, v5
	v_add_u32_e32 v6, 6, v7
	v_and_b32_e32 v2, 0xfffff, v36
	v_add_u32_e32 v2, v2, v30
	v_cmp_ne_u32_e32 vcc, 0, v6
                                        ; implicit-def: $vgpr30_vgpr31
                                        ; implicit-def: $vgpr5
	s_and_saveexec_b64 s[18:19], vcc
	s_xor_b64 s[18:19], exec, s[18:19]
; %bb.4120:                             ;   in Loop: Header=BB6_3598 Depth=2
	v_cmp_lt_u64_e32 vcc, s[58:59], v[2:3]
	v_add_u32_e32 v5, 7, v7
	v_cndmask_b32_e32 v5, v6, v5, vcc
	v_cndmask_b32_e64 v6, 0, 1, vcc
	v_lshrrev_b64 v[30:31], v6, v[2:3]
; %bb.4121:                             ;   in Loop: Header=BB6_3598 Depth=2
	s_andn2_saveexec_b64 s[18:19], s[18:19]
; %bb.4122:                             ;   in Loop: Header=BB6_3598 Depth=2
	v_mov_b32_e32 v31, v3
	v_bfe_u32 v5, v2, 23, 1
	v_mov_b32_e32 v30, v2
; %bb.4123:                             ;   in Loop: Header=BB6_3598 Depth=2
	s_or_b64 exec, exec, s[18:19]
	v_lshrrev_b64 v[6:7], 20, v[30:31]
	v_cmp_gt_i32_e32 vcc, 16, v5
	v_cndmask_b32_e32 v7, 0, v7, vcc
	v_cndmask_b32_e32 v6, 7, v6, vcc
	v_min_i32_e32 v2, 15, v5
	v_cmp_eq_u64_e64 s[18:19], 0, v[6:7]
	v_lshlrev_b32_e32 v2, 3, v2
	v_cmp_eq_u32_e32 vcc, 0, v5
	v_and_b32_e32 v2, 0xf8, v2
	v_and_or_b32 v2, v6, 7, v2
	s_and_b64 s[18:19], vcc, s[18:19]
	v_cndmask_b32_e64 v2, v2, 0, s[18:19]
	v_or_b32_e32 v2, v2, v4
	buffer_store_dword v2, off, s[0:3], s33 offset:176 ; 4-byte Folded Spill
.LBB6_4124:                             ;   in Loop: Header=BB6_3598 Depth=2
	s_or_b64 exec, exec, s[88:89]
                                        ; implicit-def: $vgpr4
.LBB6_4125:                             ;   in Loop: Header=BB6_3598 Depth=2
	s_andn2_saveexec_b64 s[18:19], s[78:79]
	s_cbranch_execz .LBB6_4127
; %bb.4126:                             ;   in Loop: Header=BB6_3598 Depth=2
	v_or_b32_e32 v2, 0x7e, v4
	buffer_store_dword v2, off, s[0:3], s33 offset:176 ; 4-byte Folded Spill
.LBB6_4127:                             ;   in Loop: Header=BB6_3598 Depth=2
	s_or_b64 exec, exec, s[18:19]
                                        ; implicit-def: $vgpr5
.LBB6_4128:                             ;   in Loop: Header=BB6_3598 Depth=2
	s_andn2_saveexec_b64 s[18:19], s[76:77]
	s_cbranch_execz .LBB6_4130
; %bb.4129:                             ;   in Loop: Header=BB6_3598 Depth=2
	v_or_b32_sdwa v2, v5, s50 dst_sel:DWORD dst_unused:UNUSED_PAD src0_sel:BYTE_3 src1_sel:DWORD
	buffer_store_dword v2, off, s[0:3], s33 offset:176 ; 4-byte Folded Spill
.LBB6_4130:                             ;   in Loop: Header=BB6_3598 Depth=2
	s_or_b64 exec, exec, s[18:19]
	v_cmp_lt_u32_e32 vcc, s61, v32
	v_mov_b32_e32 v4, 0
	v_mov_b32_e32 v5, 0
	s_and_saveexec_b64 s[18:19], vcc
	s_cbranch_execz .LBB6_4136
; %bb.4131:                             ;   in Loop: Header=BB6_3598 Depth=2
	v_lshrrev_b32_e32 v2, 24, v32
	v_cmp_ne_u32_e32 vcc, s49, v2
	v_bfrev_b32_e32 v5, 1
	s_and_saveexec_b64 s[76:77], vcc
	s_cbranch_execz .LBB6_4135
; %bb.4132:                             ;   in Loop: Header=BB6_3598 Depth=2
	v_bfe_u32 v6, v32, 24, 7
	v_cmp_ne_u32_e32 vcc, s50, v6
	v_mov_b32_e32 v5, 0x7f800001
	s_and_saveexec_b64 s[78:79], vcc
	s_cbranch_execz .LBB6_4134
; %bb.4133:                             ;   in Loop: Header=BB6_3598 Depth=2
	v_and_b32_e32 v7, 7, v2
	v_ffbh_u32_e32 v5, v7
	v_min_u32_e32 v9, 32, v5
	v_subrev_u32_e32 v5, 28, v9
	v_lshrrev_b32_e32 v8, 3, v6
	v_cmp_gt_u32_e32 vcc, 8, v6
	v_lshlrev_b64 v[5:6], v5, v[2:3]
	v_sub_u32_e32 v6, 29, v9
	v_and_b32_e32 v5, 7, v5
	v_cndmask_b32_e32 v6, v8, v6, vcc
	v_cndmask_b32_e32 v5, v7, v5, vcc
	v_lshlrev_b32_e32 v2, 24, v2
	v_lshlrev_b32_e32 v5, 20, v5
	v_and_b32_e32 v2, 0x80000000, v2
	v_lshl_add_u32 v6, v6, 23, v57
	v_or3_b32 v5, v2, v6, v5
.LBB6_4134:                             ;   in Loop: Header=BB6_3598 Depth=2
	s_or_b64 exec, exec, s[78:79]
.LBB6_4135:                             ;   in Loop: Header=BB6_3598 Depth=2
	s_or_b64 exec, exec, s[76:77]
.LBB6_4136:                             ;   in Loop: Header=BB6_3598 Depth=2
	s_or_b64 exec, exec, s[18:19]
	v_cmp_lt_u32_e32 vcc, s61, v26
	s_and_saveexec_b64 s[18:19], vcc
	s_cbranch_execz .LBB6_4142
; %bb.4137:                             ;   in Loop: Header=BB6_3598 Depth=2
	v_lshrrev_b32_e32 v2, 24, v26
	v_cmp_ne_u32_e32 vcc, s49, v2
	v_bfrev_b32_e32 v4, 1
	s_and_saveexec_b64 s[76:77], vcc
	s_cbranch_execz .LBB6_4141
; %bb.4138:                             ;   in Loop: Header=BB6_3598 Depth=2
	v_bfe_u32 v6, v26, 24, 7
	v_cmp_ne_u32_e32 vcc, s50, v6
	v_mov_b32_e32 v4, 0x7f800001
	s_and_saveexec_b64 s[78:79], vcc
	s_cbranch_execz .LBB6_4140
; %bb.4139:                             ;   in Loop: Header=BB6_3598 Depth=2
	v_and_b32_e32 v4, 7, v2
	v_lshrrev_b32_e32 v8, 3, v6
	v_cmp_gt_u32_e32 vcc, 8, v6
	v_ffbh_u32_e32 v6, v4
	v_min_u32_e32 v9, 32, v6
	v_subrev_u32_e32 v6, 28, v9
	v_lshlrev_b64 v[6:7], v6, v[2:3]
	v_sub_u32_e32 v7, 29, v9
	v_and_b32_e32 v6, 7, v6
	v_cndmask_b32_e32 v7, v8, v7, vcc
	v_cndmask_b32_e32 v4, v4, v6, vcc
	v_lshlrev_b32_e32 v2, 24, v2
	v_lshlrev_b32_e32 v4, 20, v4
	v_and_b32_e32 v2, 0x80000000, v2
	v_lshl_add_u32 v6, v7, 23, v57
	v_or3_b32 v4, v2, v6, v4
.LBB6_4140:                             ;   in Loop: Header=BB6_3598 Depth=2
	s_or_b64 exec, exec, s[78:79]
.LBB6_4141:                             ;   in Loop: Header=BB6_3598 Depth=2
	s_or_b64 exec, exec, s[76:77]
.LBB6_4142:                             ;   in Loop: Header=BB6_3598 Depth=2
	s_or_b64 exec, exec, s[18:19]
	v_add_f32_e32 v5, v5, v4
	v_and_b32_e32 v2, 0x7f800000, v5
	v_cmp_ne_u64_e32 vcc, s[46:47], v[2:3]
                                        ; implicit-def: $vgpr2
                                        ; kill: killed $vgpr2
	s_and_saveexec_b64 s[18:19], vcc
	s_xor_b64 s[76:77], exec, s[18:19]
	s_cbranch_execz .LBB6_4156
; %bb.4143:                             ;   in Loop: Header=BB6_3598 Depth=2
	v_and_b32_e32 v2, 0x7fffffff, v5
	v_cmp_gt_u64_e32 vcc, s[56:57], v[2:3]
	v_and_b32_sdwa v4, v5, s49 dst_sel:DWORD dst_unused:UNUSED_PAD src0_sel:BYTE_3 src1_sel:DWORD
                                        ; implicit-def: $vgpr2
                                        ; kill: killed $vgpr2
	s_and_saveexec_b64 s[18:19], vcc
	s_xor_b64 s[78:79], exec, s[18:19]
	s_cbranch_execz .LBB6_4153
; %bb.4144:                             ;   in Loop: Header=BB6_3598 Depth=2
	v_mov_b32_e32 v2, 0
	v_cmp_ne_u32_e32 vcc, 0, v5
	buffer_store_dword v2, off, s[0:3], s33 offset:180 ; 4-byte Folded Spill
	s_and_saveexec_b64 s[88:89], vcc
	s_cbranch_execz .LBB6_4152
; %bb.4145:                             ;   in Loop: Header=BB6_3598 Depth=2
	v_and_b32_e32 v2, 0x7fffff, v5
	v_bfe_u32 v5, v5, 23, 8
	v_cmp_gt_u32_e64 s[18:19], s51, v5
	v_sub_u32_e32 v6, 0x79, v5
	v_cmp_eq_u32_e32 vcc, 0, v5
	v_cndmask_b32_e64 v6, 0, v6, s[18:19]
	v_mov_b32_e32 v8, 0x78
	v_or_b32_e32 v7, 0x800000, v2
	v_cndmask_b32_e32 v6, v6, v8, vcc
	v_cndmask_b32_e32 v2, v7, v2, vcc
	v_add_u32_e32 v7, 20, v6
	v_lshlrev_b64 v[7:8], v7, -1
	v_add_u32_e32 v9, 19, v6
	v_lshlrev_b64 v[30:31], v9, 1
	v_bfi_b32 v8, v8, 0, 0
	v_bfi_b32 v7, v7, 0, v2
	v_cmp_eq_u64_e64 s[18:19], v[7:8], v[30:31]
	v_lshrrev_b64 v[30:31], v6, v[2:3]
	v_mov_b32_e32 v37, v31
	v_mov_b32_e32 v36, v30
	s_and_saveexec_b64 s[90:91], s[18:19]
; %bb.4146:                             ;   in Loop: Header=BB6_3598 Depth=2
	v_bfe_u32 v2, v30, 20, 1
	v_add_co_u32_e64 v2, s[18:19], v30, v2
	v_add_co_u32_e64 v36, s[18:19], -1, v2
; %bb.4147:                             ;   in Loop: Header=BB6_3598 Depth=2
	s_or_b64 exec, exec, s[90:91]
	v_add_u32_e32 v2, 0xffffff81, v5
	v_mov_b32_e32 v5, 0xffffff82
	v_cndmask_b32_e32 v2, v2, v5, vcc
	v_lshrrev_b32_e32 v5, 23, v30
	v_add3_u32 v7, v6, v2, v5
	v_add_u32_e32 v6, 6, v7
	v_and_b32_e32 v2, 0xfffff, v36
	v_add_u32_e32 v2, v2, v30
	v_cmp_ne_u32_e32 vcc, 0, v6
                                        ; implicit-def: $vgpr30_vgpr31
                                        ; implicit-def: $vgpr5
	s_and_saveexec_b64 s[18:19], vcc
	s_xor_b64 s[18:19], exec, s[18:19]
; %bb.4148:                             ;   in Loop: Header=BB6_3598 Depth=2
	v_cmp_lt_u64_e32 vcc, s[58:59], v[2:3]
	v_add_u32_e32 v5, 7, v7
	v_cndmask_b32_e32 v5, v6, v5, vcc
	v_cndmask_b32_e64 v6, 0, 1, vcc
	v_lshrrev_b64 v[30:31], v6, v[2:3]
; %bb.4149:                             ;   in Loop: Header=BB6_3598 Depth=2
	s_andn2_saveexec_b64 s[18:19], s[18:19]
; %bb.4150:                             ;   in Loop: Header=BB6_3598 Depth=2
	v_mov_b32_e32 v31, v3
	v_bfe_u32 v5, v2, 23, 1
	v_mov_b32_e32 v30, v2
; %bb.4151:                             ;   in Loop: Header=BB6_3598 Depth=2
	s_or_b64 exec, exec, s[18:19]
	v_lshrrev_b64 v[6:7], 20, v[30:31]
	v_cmp_gt_i32_e32 vcc, 16, v5
	v_cndmask_b32_e32 v7, 0, v7, vcc
	v_cndmask_b32_e32 v6, 7, v6, vcc
	v_min_i32_e32 v2, 15, v5
	v_cmp_eq_u64_e64 s[18:19], 0, v[6:7]
	v_lshlrev_b32_e32 v2, 3, v2
	v_cmp_eq_u32_e32 vcc, 0, v5
	v_and_b32_e32 v2, 0xf8, v2
	v_and_or_b32 v2, v6, 7, v2
	s_and_b64 s[18:19], vcc, s[18:19]
	v_cndmask_b32_e64 v2, v2, 0, s[18:19]
	v_or_b32_e32 v2, v2, v4
	buffer_store_dword v2, off, s[0:3], s33 offset:180 ; 4-byte Folded Spill
.LBB6_4152:                             ;   in Loop: Header=BB6_3598 Depth=2
	s_or_b64 exec, exec, s[88:89]
                                        ; implicit-def: $vgpr4
.LBB6_4153:                             ;   in Loop: Header=BB6_3598 Depth=2
	s_andn2_saveexec_b64 s[18:19], s[78:79]
	s_cbranch_execz .LBB6_4155
; %bb.4154:                             ;   in Loop: Header=BB6_3598 Depth=2
	v_or_b32_e32 v2, 0x7e, v4
	buffer_store_dword v2, off, s[0:3], s33 offset:180 ; 4-byte Folded Spill
.LBB6_4155:                             ;   in Loop: Header=BB6_3598 Depth=2
	s_or_b64 exec, exec, s[18:19]
                                        ; implicit-def: $vgpr5
.LBB6_4156:                             ;   in Loop: Header=BB6_3598 Depth=2
	s_andn2_saveexec_b64 s[18:19], s[76:77]
	s_cbranch_execz .LBB6_4158
; %bb.4157:                             ;   in Loop: Header=BB6_3598 Depth=2
	v_or_b32_sdwa v2, v5, s50 dst_sel:DWORD dst_unused:UNUSED_PAD src0_sel:BYTE_3 src1_sel:DWORD
	buffer_store_dword v2, off, s[0:3], s33 offset:180 ; 4-byte Folded Spill
.LBB6_4158:                             ;   in Loop: Header=BB6_3598 Depth=2
	s_or_b64 exec, exec, s[18:19]
	v_mov_b32_e32 v2, v33
	v_cmp_ne_u16_sdwa s[76:77], v33, v3 src0_sel:BYTE_0 src1_sel:DWORD
	v_mov_b32_e32 v5, 0
	v_mov_b32_e32 v4, 0
	s_and_saveexec_b64 s[18:19], s[76:77]
	s_cbranch_execz .LBB6_4164
; %bb.4159:                             ;   in Loop: Header=BB6_3598 Depth=2
	v_cmp_ne_u16_sdwa s[78:79], v33, s49 src0_sel:BYTE_0 src1_sel:DWORD
	v_bfrev_b32_e32 v4, 1
	s_and_saveexec_b64 s[76:77], s[78:79]
	s_cbranch_execz .LBB6_4163
; %bb.4160:                             ;   in Loop: Header=BB6_3598 Depth=2
	v_and_b32_e32 v6, 0x7f, v33
	v_cmp_ne_u32_e32 vcc, s50, v6
	v_mov_b32_e32 v4, 0x7f800001
	s_and_saveexec_b64 s[78:79], vcc
	s_cbranch_execz .LBB6_4162
; %bb.4161:                             ;   in Loop: Header=BB6_3598 Depth=2
	v_and_b32_e32 v4, 7, v33
	v_ffbh_u32_e32 v4, v4
	v_min_u32_e32 v4, 32, v4
	v_lshrrev_b32_e32 v7, 3, v6
	v_cmp_gt_u32_e32 vcc, 8, v6
	v_subrev_u32_e32 v6, 28, v4
	v_sub_u32_e32 v4, 29, v4
	v_cndmask_b32_e32 v6, 0, v6, vcc
	v_cndmask_b32_e32 v4, v7, v4, vcc
	v_lshlrev_b64 v[6:7], v6, v[2:3]
	v_lshlrev_b32_e32 v7, 24, v2
	v_lshlrev_b32_e32 v6, 20, v6
	v_and_b32_e32 v6, 0x700000, v6
	v_and_b32_e32 v7, 0x80000000, v7
	v_lshl_add_u32 v4, v4, 23, v57
	v_or3_b32 v4, v7, v4, v6
.LBB6_4162:                             ;   in Loop: Header=BB6_3598 Depth=2
	s_or_b64 exec, exec, s[78:79]
.LBB6_4163:                             ;   in Loop: Header=BB6_3598 Depth=2
	s_or_b64 exec, exec, s[76:77]
.LBB6_4164:                             ;   in Loop: Header=BB6_3598 Depth=2
	s_or_b64 exec, exec, s[18:19]
	v_cmp_ne_u16_sdwa s[76:77], v27, v3 src0_sel:BYTE_0 src1_sel:DWORD
	s_and_saveexec_b64 s[18:19], s[76:77]
	s_cbranch_execz .LBB6_4170
; %bb.4165:                             ;   in Loop: Header=BB6_3598 Depth=2
	v_cmp_ne_u16_sdwa s[78:79], v27, s49 src0_sel:BYTE_0 src1_sel:DWORD
	v_bfrev_b32_e32 v5, 1
	s_and_saveexec_b64 s[76:77], s[78:79]
	s_cbranch_execz .LBB6_4169
; %bb.4166:                             ;   in Loop: Header=BB6_3598 Depth=2
	v_and_b32_e32 v6, 0x7f, v27
	v_cmp_ne_u32_e32 vcc, s50, v6
	v_mov_b32_e32 v5, 0x7f800001
	s_and_saveexec_b64 s[78:79], vcc
	s_cbranch_execz .LBB6_4168
; %bb.4167:                             ;   in Loop: Header=BB6_3598 Depth=2
	v_and_b32_e32 v5, 7, v27
	v_ffbh_u32_e32 v5, v5
	v_min_u32_e32 v5, 32, v5
	v_lshrrev_b32_e32 v9, 3, v6
	v_cmp_gt_u32_e32 vcc, 8, v6
	v_subrev_u32_e32 v6, 28, v5
	v_sub_u32_e32 v5, 29, v5
	v_mov_b32_e32 v7, v27
	v_mov_b32_e32 v8, v3
	v_cndmask_b32_e32 v9, v9, v5, vcc
	v_cndmask_b32_e32 v5, 0, v6, vcc
	v_lshlrev_b64 v[5:6], v5, v[7:8]
	v_lshlrev_b32_e32 v6, 24, v7
	v_lshlrev_b32_e32 v5, 20, v5
	v_and_b32_e32 v5, 0x700000, v5
	v_and_b32_e32 v6, 0x80000000, v6
	v_lshl_add_u32 v7, v9, 23, v57
	v_or3_b32 v5, v6, v7, v5
.LBB6_4168:                             ;   in Loop: Header=BB6_3598 Depth=2
	s_or_b64 exec, exec, s[78:79]
.LBB6_4169:                             ;   in Loop: Header=BB6_3598 Depth=2
	s_or_b64 exec, exec, s[76:77]
.LBB6_4170:                             ;   in Loop: Header=BB6_3598 Depth=2
	s_or_b64 exec, exec, s[18:19]
	v_add_f32_e32 v5, v4, v5
	v_and_b32_e32 v6, 0x7f800000, v5
	v_mov_b32_e32 v7, v3
	v_cmp_ne_u64_e32 vcc, s[46:47], v[6:7]
                                        ; implicit-def: $vgpr4
                                        ; kill: killed $vgpr4
	s_and_saveexec_b64 s[18:19], vcc
	s_xor_b64 s[76:77], exec, s[18:19]
	s_cbranch_execz .LBB6_4184
; %bb.4171:                             ;   in Loop: Header=BB6_3598 Depth=2
	v_and_b32_e32 v6, 0x7fffffff, v5
	v_mov_b32_e32 v7, v3
	v_cmp_gt_u64_e32 vcc, s[56:57], v[6:7]
	v_and_b32_sdwa v4, v5, s49 dst_sel:DWORD dst_unused:UNUSED_PAD src0_sel:BYTE_3 src1_sel:DWORD
                                        ; implicit-def: $vgpr6
                                        ; kill: killed $vgpr6
	s_and_saveexec_b64 s[18:19], vcc
	s_xor_b64 s[78:79], exec, s[18:19]
	s_cbranch_execz .LBB6_4181
; %bb.4172:                             ;   in Loop: Header=BB6_3598 Depth=2
	v_mov_b32_e32 v6, 0
	v_cmp_ne_u32_e32 vcc, 0, v5
	buffer_store_dword v6, off, s[0:3], s33 offset:184 ; 4-byte Folded Spill
	s_and_saveexec_b64 s[88:89], vcc
	s_cbranch_execz .LBB6_4180
; %bb.4173:                             ;   in Loop: Header=BB6_3598 Depth=2
	v_and_b32_e32 v7, 0x7fffff, v5
	v_bfe_u32 v5, v5, 23, 8
	v_cmp_gt_u32_e64 s[18:19], s51, v5
	v_sub_u32_e32 v6, 0x79, v5
	v_cmp_eq_u32_e32 vcc, 0, v5
	v_cndmask_b32_e64 v6, 0, v6, s[18:19]
	v_mov_b32_e32 v9, 0x78
	v_cndmask_b32_e32 v6, v6, v9, vcc
	v_add_u32_e32 v9, 20, v6
	v_or_b32_e32 v8, 0x800000, v7
	v_lshlrev_b64 v[30:31], v9, -1
	v_add_u32_e32 v9, 19, v6
	v_cndmask_b32_e32 v7, v8, v7, vcc
	v_lshlrev_b64 v[36:37], v9, 1
	v_mov_b32_e32 v8, v3
	v_bfi_b32 v31, v31, 0, 0
	v_bfi_b32 v30, v30, 0, v7
	v_cmp_eq_u64_e64 s[18:19], v[30:31], v[36:37]
	v_lshrrev_b64 v[30:31], v6, v[7:8]
	v_mov_b32_e32 v37, v31
	v_mov_b32_e32 v36, v30
	s_and_saveexec_b64 s[90:91], s[18:19]
; %bb.4174:                             ;   in Loop: Header=BB6_3598 Depth=2
	v_bfe_u32 v7, v30, 20, 1
	v_add_co_u32_e64 v7, s[18:19], v30, v7
	v_add_co_u32_e64 v36, s[18:19], -1, v7
; %bb.4175:                             ;   in Loop: Header=BB6_3598 Depth=2
	s_or_b64 exec, exec, s[90:91]
	v_add_u32_e32 v5, 0xffffff81, v5
	v_mov_b32_e32 v7, 0xffffff82
	v_cndmask_b32_e32 v5, v5, v7, vcc
	v_lshrrev_b32_e32 v7, 23, v30
	v_add3_u32 v7, v6, v5, v7
	v_add_u32_e32 v6, 6, v7
	v_and_b32_e32 v5, 0xfffff, v36
	v_add_u32_e32 v30, v5, v30
	v_mov_b32_e32 v31, v3
	v_cmp_ne_u32_e32 vcc, 0, v6
                                        ; implicit-def: $vgpr5
	s_and_saveexec_b64 s[18:19], vcc
	s_xor_b64 s[18:19], exec, s[18:19]
; %bb.4176:                             ;   in Loop: Header=BB6_3598 Depth=2
	v_cmp_lt_u64_e32 vcc, s[58:59], v[30:31]
	v_add_u32_e32 v5, 7, v7
	v_cndmask_b32_e32 v5, v6, v5, vcc
	v_cndmask_b32_e64 v6, 0, 1, vcc
	v_lshrrev_b64 v[30:31], v6, v[30:31]
; %bb.4177:                             ;   in Loop: Header=BB6_3598 Depth=2
	s_andn2_saveexec_b64 s[18:19], s[18:19]
; %bb.4178:                             ;   in Loop: Header=BB6_3598 Depth=2
	v_bfe_u32 v5, v30, 23, 1
; %bb.4179:                             ;   in Loop: Header=BB6_3598 Depth=2
	s_or_b64 exec, exec, s[18:19]
	v_lshrrev_b64 v[6:7], 20, v[30:31]
	v_cmp_gt_i32_e32 vcc, 16, v5
	v_cndmask_b32_e32 v7, 0, v7, vcc
	v_cndmask_b32_e32 v6, 7, v6, vcc
	v_cmp_eq_u32_e32 vcc, 0, v5
	v_min_i32_e32 v5, 15, v5
	v_cmp_eq_u64_e64 s[18:19], 0, v[6:7]
	v_lshlrev_b32_e32 v5, 3, v5
	v_and_b32_e32 v5, 0xf8, v5
	v_and_or_b32 v5, v6, 7, v5
	s_and_b64 s[18:19], vcc, s[18:19]
	v_cndmask_b32_e64 v5, v5, 0, s[18:19]
	v_or_b32_e32 v4, v5, v4
	buffer_store_dword v4, off, s[0:3], s33 offset:184 ; 4-byte Folded Spill
.LBB6_4180:                             ;   in Loop: Header=BB6_3598 Depth=2
	s_or_b64 exec, exec, s[88:89]
                                        ; implicit-def: $vgpr4
.LBB6_4181:                             ;   in Loop: Header=BB6_3598 Depth=2
	s_andn2_saveexec_b64 s[18:19], s[78:79]
	s_cbranch_execz .LBB6_4183
; %bb.4182:                             ;   in Loop: Header=BB6_3598 Depth=2
	v_or_b32_e32 v4, 0x7e, v4
	buffer_store_dword v4, off, s[0:3], s33 offset:184 ; 4-byte Folded Spill
.LBB6_4183:                             ;   in Loop: Header=BB6_3598 Depth=2
	s_or_b64 exec, exec, s[18:19]
                                        ; implicit-def: $vgpr5
.LBB6_4184:                             ;   in Loop: Header=BB6_3598 Depth=2
	s_andn2_saveexec_b64 s[18:19], s[76:77]
	s_cbranch_execz .LBB6_4186
; %bb.4185:                             ;   in Loop: Header=BB6_3598 Depth=2
	v_or_b32_sdwa v4, v5, s50 dst_sel:DWORD dst_unused:UNUSED_PAD src0_sel:BYTE_3 src1_sel:DWORD
	buffer_store_dword v4, off, s[0:3], s33 offset:184 ; 4-byte Folded Spill
.LBB6_4186:                             ;   in Loop: Header=BB6_3598 Depth=2
	s_or_b64 exec, exec, s[18:19]
	v_lshrrev_b16_e32 v30, 8, v2
	v_cmp_ne_u16_e32 vcc, 0, v30
	v_mov_b32_e32 v4, 0
	v_mov_b32_e32 v5, 0
	s_and_saveexec_b64 s[18:19], vcc
	s_cbranch_execz .LBB6_4192
; %bb.4187:                             ;   in Loop: Header=BB6_3598 Depth=2
	v_cmp_ne_u16_e32 vcc, s49, v30
	v_bfrev_b32_e32 v5, 1
	s_and_saveexec_b64 s[76:77], vcc
	s_cbranch_execz .LBB6_4191
; %bb.4188:                             ;   in Loop: Header=BB6_3598 Depth=2
	v_and_b32_e32 v6, 0x7f, v30
	v_cmp_ne_u32_e32 vcc, s50, v6
	v_mov_b32_e32 v5, 0x7f800001
	s_and_saveexec_b64 s[78:79], vcc
	s_cbranch_execz .LBB6_4190
; %bb.4189:                             ;   in Loop: Header=BB6_3598 Depth=2
	v_and_b32_e32 v7, 7, v30
	v_ffbh_u32_e32 v5, v7
	v_min_u32_e32 v9, 32, v5
	v_subrev_u32_e32 v5, 28, v9
	v_lshrrev_b32_e32 v8, 3, v6
	v_cmp_gt_u32_e32 vcc, 8, v6
	v_lshlrev_b64 v[5:6], v5, v[30:31]
	v_sub_u32_e32 v6, 29, v9
	v_and_b32_e32 v5, 7, v5
	v_cndmask_b32_e32 v6, v8, v6, vcc
	v_cndmask_b32_e32 v5, v7, v5, vcc
	v_lshlrev_b32_e32 v2, 16, v2
	v_lshlrev_b32_e32 v5, 20, v5
	v_and_b32_e32 v2, 0x80000000, v2
	v_lshl_add_u32 v6, v6, 23, v57
	v_or3_b32 v5, v2, v6, v5
.LBB6_4190:                             ;   in Loop: Header=BB6_3598 Depth=2
	s_or_b64 exec, exec, s[78:79]
.LBB6_4191:                             ;   in Loop: Header=BB6_3598 Depth=2
	s_or_b64 exec, exec, s[76:77]
.LBB6_4192:                             ;   in Loop: Header=BB6_3598 Depth=2
	s_or_b64 exec, exec, s[18:19]
	v_lshrrev_b16_e32 v2, 8, v27
	v_cmp_ne_u16_e32 vcc, 0, v2
	s_and_saveexec_b64 s[18:19], vcc
	s_cbranch_execz .LBB6_4198
; %bb.4193:                             ;   in Loop: Header=BB6_3598 Depth=2
	v_cmp_ne_u16_e32 vcc, s49, v2
	v_bfrev_b32_e32 v4, 1
	s_and_saveexec_b64 s[76:77], vcc
	s_cbranch_execz .LBB6_4197
; %bb.4194:                             ;   in Loop: Header=BB6_3598 Depth=2
	v_and_b32_e32 v6, 0x7f, v2
	v_cmp_ne_u32_e32 vcc, s50, v6
	v_mov_b32_e32 v4, 0x7f800001
	s_and_saveexec_b64 s[78:79], vcc
	s_cbranch_execz .LBB6_4196
; %bb.4195:                             ;   in Loop: Header=BB6_3598 Depth=2
	v_and_b32_e32 v4, 7, v2
	v_lshrrev_b32_e32 v8, 3, v6
	v_cmp_gt_u32_e32 vcc, 8, v6
	v_ffbh_u32_e32 v6, v4
	v_min_u32_e32 v9, 32, v6
	v_subrev_u32_e32 v6, 28, v9
	v_lshlrev_b64 v[6:7], v6, v[2:3]
	v_sub_u32_e32 v2, 29, v9
	v_and_b32_e32 v6, 7, v6
	v_cndmask_b32_e32 v2, v8, v2, vcc
	v_cndmask_b32_e32 v4, v4, v6, vcc
	v_lshlrev_b32_e32 v6, 16, v27
	v_lshlrev_b32_e32 v4, 20, v4
	v_and_b32_e32 v6, 0x80000000, v6
	v_lshl_add_u32 v2, v2, 23, v57
	v_or3_b32 v4, v6, v2, v4
.LBB6_4196:                             ;   in Loop: Header=BB6_3598 Depth=2
	s_or_b64 exec, exec, s[78:79]
.LBB6_4197:                             ;   in Loop: Header=BB6_3598 Depth=2
	s_or_b64 exec, exec, s[76:77]
.LBB6_4198:                             ;   in Loop: Header=BB6_3598 Depth=2
	s_or_b64 exec, exec, s[18:19]
	v_add_f32_e32 v5, v5, v4
	v_and_b32_e32 v2, 0x7f800000, v5
	v_cmp_ne_u64_e32 vcc, s[46:47], v[2:3]
                                        ; implicit-def: $vgpr2
                                        ; kill: killed $vgpr2
	s_and_saveexec_b64 s[18:19], vcc
	s_xor_b64 s[76:77], exec, s[18:19]
	s_cbranch_execz .LBB6_4212
; %bb.4199:                             ;   in Loop: Header=BB6_3598 Depth=2
	v_and_b32_e32 v2, 0x7fffffff, v5
	v_cmp_gt_u64_e32 vcc, s[56:57], v[2:3]
	v_and_b32_sdwa v4, v5, s49 dst_sel:DWORD dst_unused:UNUSED_PAD src0_sel:BYTE_3 src1_sel:DWORD
                                        ; implicit-def: $vgpr2
                                        ; kill: killed $vgpr2
	s_and_saveexec_b64 s[18:19], vcc
	s_xor_b64 s[78:79], exec, s[18:19]
	s_cbranch_execz .LBB6_4209
; %bb.4200:                             ;   in Loop: Header=BB6_3598 Depth=2
	v_mov_b32_e32 v2, 0
	v_cmp_ne_u32_e32 vcc, 0, v5
	buffer_store_dword v2, off, s[0:3], s33 offset:188 ; 4-byte Folded Spill
	s_and_saveexec_b64 s[88:89], vcc
	s_cbranch_execz .LBB6_4208
; %bb.4201:                             ;   in Loop: Header=BB6_3598 Depth=2
	v_and_b32_e32 v2, 0x7fffff, v5
	v_bfe_u32 v5, v5, 23, 8
	v_cmp_gt_u32_e64 s[18:19], s51, v5
	v_sub_u32_e32 v6, 0x79, v5
	v_cmp_eq_u32_e32 vcc, 0, v5
	v_cndmask_b32_e64 v6, 0, v6, s[18:19]
	v_mov_b32_e32 v8, 0x78
	v_or_b32_e32 v7, 0x800000, v2
	v_cndmask_b32_e32 v6, v6, v8, vcc
	v_cndmask_b32_e32 v2, v7, v2, vcc
	v_add_u32_e32 v7, 20, v6
	v_lshlrev_b64 v[7:8], v7, -1
	v_add_u32_e32 v9, 19, v6
	v_lshlrev_b64 v[30:31], v9, 1
	v_bfi_b32 v8, v8, 0, 0
	v_bfi_b32 v7, v7, 0, v2
	v_cmp_eq_u64_e64 s[18:19], v[7:8], v[30:31]
	v_lshrrev_b64 v[30:31], v6, v[2:3]
	v_mov_b32_e32 v37, v31
	v_mov_b32_e32 v36, v30
	s_and_saveexec_b64 s[90:91], s[18:19]
; %bb.4202:                             ;   in Loop: Header=BB6_3598 Depth=2
	v_bfe_u32 v2, v30, 20, 1
	v_add_co_u32_e64 v2, s[18:19], v30, v2
	v_add_co_u32_e64 v36, s[18:19], -1, v2
; %bb.4203:                             ;   in Loop: Header=BB6_3598 Depth=2
	s_or_b64 exec, exec, s[90:91]
	v_add_u32_e32 v2, 0xffffff81, v5
	v_mov_b32_e32 v5, 0xffffff82
	v_cndmask_b32_e32 v2, v2, v5, vcc
	v_lshrrev_b32_e32 v5, 23, v30
	v_add3_u32 v7, v6, v2, v5
	v_add_u32_e32 v6, 6, v7
	v_and_b32_e32 v2, 0xfffff, v36
	v_add_u32_e32 v2, v2, v30
	v_cmp_ne_u32_e32 vcc, 0, v6
                                        ; implicit-def: $vgpr30_vgpr31
                                        ; implicit-def: $vgpr5
	s_and_saveexec_b64 s[18:19], vcc
	s_xor_b64 s[18:19], exec, s[18:19]
; %bb.4204:                             ;   in Loop: Header=BB6_3598 Depth=2
	v_cmp_lt_u64_e32 vcc, s[58:59], v[2:3]
	v_add_u32_e32 v5, 7, v7
	v_cndmask_b32_e32 v5, v6, v5, vcc
	v_cndmask_b32_e64 v6, 0, 1, vcc
	v_lshrrev_b64 v[30:31], v6, v[2:3]
; %bb.4205:                             ;   in Loop: Header=BB6_3598 Depth=2
	s_andn2_saveexec_b64 s[18:19], s[18:19]
; %bb.4206:                             ;   in Loop: Header=BB6_3598 Depth=2
	v_mov_b32_e32 v31, v3
	v_bfe_u32 v5, v2, 23, 1
	v_mov_b32_e32 v30, v2
; %bb.4207:                             ;   in Loop: Header=BB6_3598 Depth=2
	s_or_b64 exec, exec, s[18:19]
	v_lshrrev_b64 v[6:7], 20, v[30:31]
	v_cmp_gt_i32_e32 vcc, 16, v5
	v_cndmask_b32_e32 v7, 0, v7, vcc
	v_cndmask_b32_e32 v6, 7, v6, vcc
	v_min_i32_e32 v2, 15, v5
	v_cmp_eq_u64_e64 s[18:19], 0, v[6:7]
	v_lshlrev_b32_e32 v2, 3, v2
	v_cmp_eq_u32_e32 vcc, 0, v5
	v_and_b32_e32 v2, 0xf8, v2
	v_and_or_b32 v2, v6, 7, v2
	s_and_b64 s[18:19], vcc, s[18:19]
	v_cndmask_b32_e64 v2, v2, 0, s[18:19]
	v_or_b32_e32 v2, v2, v4
	buffer_store_dword v2, off, s[0:3], s33 offset:188 ; 4-byte Folded Spill
.LBB6_4208:                             ;   in Loop: Header=BB6_3598 Depth=2
	s_or_b64 exec, exec, s[88:89]
                                        ; implicit-def: $vgpr4
.LBB6_4209:                             ;   in Loop: Header=BB6_3598 Depth=2
	s_andn2_saveexec_b64 s[18:19], s[78:79]
	s_cbranch_execz .LBB6_4211
; %bb.4210:                             ;   in Loop: Header=BB6_3598 Depth=2
	v_or_b32_e32 v2, 0x7e, v4
	buffer_store_dword v2, off, s[0:3], s33 offset:188 ; 4-byte Folded Spill
.LBB6_4211:                             ;   in Loop: Header=BB6_3598 Depth=2
	s_or_b64 exec, exec, s[18:19]
                                        ; implicit-def: $vgpr5
.LBB6_4212:                             ;   in Loop: Header=BB6_3598 Depth=2
	s_andn2_saveexec_b64 s[18:19], s[76:77]
	s_cbranch_execz .LBB6_4214
; %bb.4213:                             ;   in Loop: Header=BB6_3598 Depth=2
	v_or_b32_sdwa v2, v5, s50 dst_sel:DWORD dst_unused:UNUSED_PAD src0_sel:BYTE_3 src1_sel:DWORD
	buffer_store_dword v2, off, s[0:3], s33 offset:188 ; 4-byte Folded Spill
.LBB6_4214:                             ;   in Loop: Header=BB6_3598 Depth=2
	s_or_b64 exec, exec, s[18:19]
	v_lshrrev_b32_e32 v2, 16, v33
	v_cmp_ne_u16_sdwa s[76:77], v2, v3 src0_sel:BYTE_0 src1_sel:DWORD
	v_mov_b32_e32 v4, 0
	v_mov_b32_e32 v5, 0
	s_and_saveexec_b64 s[18:19], s[76:77]
	s_cbranch_execz .LBB6_4220
; %bb.4215:                             ;   in Loop: Header=BB6_3598 Depth=2
	v_cmp_ne_u16_sdwa s[78:79], v2, s49 src0_sel:BYTE_0 src1_sel:DWORD
	v_bfrev_b32_e32 v5, 1
	s_and_saveexec_b64 s[76:77], s[78:79]
	s_cbranch_execz .LBB6_4219
; %bb.4216:                             ;   in Loop: Header=BB6_3598 Depth=2
	v_bfe_u32 v6, v33, 16, 7
	v_cmp_ne_u32_e32 vcc, s50, v6
	v_mov_b32_e32 v5, 0x7f800001
	s_and_saveexec_b64 s[78:79], vcc
	s_cbranch_execz .LBB6_4218
; %bb.4217:                             ;   in Loop: Header=BB6_3598 Depth=2
	v_and_b32_e32 v7, 7, v2
	v_ffbh_u32_e32 v5, v7
	v_min_u32_e32 v9, 32, v5
	v_subrev_u32_e32 v5, 28, v9
	v_lshrrev_b32_e32 v8, 3, v6
	v_cmp_gt_u32_e32 vcc, 8, v6
	v_lshlrev_b64 v[5:6], v5, v[2:3]
	v_sub_u32_e32 v6, 29, v9
	v_and_b32_e32 v5, 7, v5
	v_cndmask_b32_e32 v6, v8, v6, vcc
	v_cndmask_b32_e32 v5, v7, v5, vcc
	v_lshlrev_b32_e32 v2, 24, v2
	v_lshlrev_b32_e32 v5, 20, v5
	v_and_b32_e32 v2, 0x80000000, v2
	v_lshl_add_u32 v6, v6, 23, v57
	v_or3_b32 v5, v2, v6, v5
.LBB6_4218:                             ;   in Loop: Header=BB6_3598 Depth=2
	s_or_b64 exec, exec, s[78:79]
.LBB6_4219:                             ;   in Loop: Header=BB6_3598 Depth=2
	s_or_b64 exec, exec, s[76:77]
.LBB6_4220:                             ;   in Loop: Header=BB6_3598 Depth=2
	s_or_b64 exec, exec, s[18:19]
	v_lshrrev_b32_e32 v2, 16, v27
	v_cmp_ne_u16_sdwa s[76:77], v2, v3 src0_sel:BYTE_0 src1_sel:DWORD
	s_and_saveexec_b64 s[18:19], s[76:77]
	s_cbranch_execz .LBB6_4226
; %bb.4221:                             ;   in Loop: Header=BB6_3598 Depth=2
	v_cmp_ne_u16_sdwa s[78:79], v2, s49 src0_sel:BYTE_0 src1_sel:DWORD
	v_bfrev_b32_e32 v4, 1
	s_and_saveexec_b64 s[76:77], s[78:79]
	s_cbranch_execz .LBB6_4225
; %bb.4222:                             ;   in Loop: Header=BB6_3598 Depth=2
	v_bfe_u32 v6, v27, 16, 7
	v_cmp_ne_u32_e32 vcc, s50, v6
	v_mov_b32_e32 v4, 0x7f800001
	s_and_saveexec_b64 s[78:79], vcc
	s_cbranch_execz .LBB6_4224
; %bb.4223:                             ;   in Loop: Header=BB6_3598 Depth=2
	v_and_b32_e32 v4, 7, v2
	v_lshrrev_b32_e32 v8, 3, v6
	v_cmp_gt_u32_e32 vcc, 8, v6
	v_ffbh_u32_e32 v6, v4
	v_min_u32_e32 v9, 32, v6
	v_subrev_u32_e32 v6, 28, v9
	v_lshlrev_b64 v[6:7], v6, v[2:3]
	v_sub_u32_e32 v2, 29, v9
	v_and_b32_e32 v6, 7, v6
	v_cndmask_b32_e32 v2, v8, v2, vcc
	v_cndmask_b32_e32 v4, v4, v6, vcc
	v_lshlrev_b32_e32 v6, 8, v27
	v_lshlrev_b32_e32 v4, 20, v4
	v_and_b32_e32 v6, 0x80000000, v6
	v_lshl_add_u32 v2, v2, 23, v57
	v_or3_b32 v4, v6, v2, v4
.LBB6_4224:                             ;   in Loop: Header=BB6_3598 Depth=2
	s_or_b64 exec, exec, s[78:79]
.LBB6_4225:                             ;   in Loop: Header=BB6_3598 Depth=2
	s_or_b64 exec, exec, s[76:77]
.LBB6_4226:                             ;   in Loop: Header=BB6_3598 Depth=2
	s_or_b64 exec, exec, s[18:19]
	v_add_f32_e32 v5, v5, v4
	v_and_b32_e32 v2, 0x7f800000, v5
	v_cmp_ne_u64_e32 vcc, s[46:47], v[2:3]
                                        ; implicit-def: $vgpr2
                                        ; kill: killed $vgpr2
	s_and_saveexec_b64 s[18:19], vcc
	s_xor_b64 s[76:77], exec, s[18:19]
	s_cbranch_execz .LBB6_4240
; %bb.4227:                             ;   in Loop: Header=BB6_3598 Depth=2
	v_and_b32_e32 v2, 0x7fffffff, v5
	v_cmp_gt_u64_e32 vcc, s[56:57], v[2:3]
	v_and_b32_sdwa v4, v5, s49 dst_sel:DWORD dst_unused:UNUSED_PAD src0_sel:BYTE_3 src1_sel:DWORD
                                        ; implicit-def: $vgpr2
                                        ; kill: killed $vgpr2
	s_and_saveexec_b64 s[18:19], vcc
	s_xor_b64 s[78:79], exec, s[18:19]
	s_cbranch_execz .LBB6_4237
; %bb.4228:                             ;   in Loop: Header=BB6_3598 Depth=2
	v_mov_b32_e32 v2, 0
	v_cmp_ne_u32_e32 vcc, 0, v5
	buffer_store_dword v2, off, s[0:3], s33 offset:192 ; 4-byte Folded Spill
	s_and_saveexec_b64 s[88:89], vcc
	s_cbranch_execz .LBB6_4236
; %bb.4229:                             ;   in Loop: Header=BB6_3598 Depth=2
	v_and_b32_e32 v2, 0x7fffff, v5
	v_bfe_u32 v5, v5, 23, 8
	v_cmp_gt_u32_e64 s[18:19], s51, v5
	v_sub_u32_e32 v6, 0x79, v5
	v_cmp_eq_u32_e32 vcc, 0, v5
	v_cndmask_b32_e64 v6, 0, v6, s[18:19]
	v_mov_b32_e32 v8, 0x78
	v_or_b32_e32 v7, 0x800000, v2
	v_cndmask_b32_e32 v6, v6, v8, vcc
	v_cndmask_b32_e32 v2, v7, v2, vcc
	v_add_u32_e32 v7, 20, v6
	v_lshlrev_b64 v[7:8], v7, -1
	v_add_u32_e32 v9, 19, v6
	v_lshlrev_b64 v[30:31], v9, 1
	v_bfi_b32 v8, v8, 0, 0
	v_bfi_b32 v7, v7, 0, v2
	v_cmp_eq_u64_e64 s[18:19], v[7:8], v[30:31]
	v_lshrrev_b64 v[30:31], v6, v[2:3]
	v_mov_b32_e32 v37, v31
	v_mov_b32_e32 v36, v30
	s_and_saveexec_b64 s[90:91], s[18:19]
; %bb.4230:                             ;   in Loop: Header=BB6_3598 Depth=2
	v_bfe_u32 v2, v30, 20, 1
	v_add_co_u32_e64 v2, s[18:19], v30, v2
	v_add_co_u32_e64 v36, s[18:19], -1, v2
; %bb.4231:                             ;   in Loop: Header=BB6_3598 Depth=2
	s_or_b64 exec, exec, s[90:91]
	v_add_u32_e32 v2, 0xffffff81, v5
	v_mov_b32_e32 v5, 0xffffff82
	v_cndmask_b32_e32 v2, v2, v5, vcc
	v_lshrrev_b32_e32 v5, 23, v30
	v_add3_u32 v7, v6, v2, v5
	v_add_u32_e32 v6, 6, v7
	v_and_b32_e32 v2, 0xfffff, v36
	v_add_u32_e32 v2, v2, v30
	v_cmp_ne_u32_e32 vcc, 0, v6
                                        ; implicit-def: $vgpr30_vgpr31
                                        ; implicit-def: $vgpr5
	s_and_saveexec_b64 s[18:19], vcc
	s_xor_b64 s[18:19], exec, s[18:19]
; %bb.4232:                             ;   in Loop: Header=BB6_3598 Depth=2
	v_cmp_lt_u64_e32 vcc, s[58:59], v[2:3]
	v_add_u32_e32 v5, 7, v7
	v_cndmask_b32_e32 v5, v6, v5, vcc
	v_cndmask_b32_e64 v6, 0, 1, vcc
	v_lshrrev_b64 v[30:31], v6, v[2:3]
; %bb.4233:                             ;   in Loop: Header=BB6_3598 Depth=2
	s_andn2_saveexec_b64 s[18:19], s[18:19]
; %bb.4234:                             ;   in Loop: Header=BB6_3598 Depth=2
	v_mov_b32_e32 v31, v3
	v_bfe_u32 v5, v2, 23, 1
	v_mov_b32_e32 v30, v2
; %bb.4235:                             ;   in Loop: Header=BB6_3598 Depth=2
	s_or_b64 exec, exec, s[18:19]
	v_lshrrev_b64 v[6:7], 20, v[30:31]
	v_cmp_gt_i32_e32 vcc, 16, v5
	v_cndmask_b32_e32 v7, 0, v7, vcc
	v_cndmask_b32_e32 v6, 7, v6, vcc
	v_min_i32_e32 v2, 15, v5
	v_cmp_eq_u64_e64 s[18:19], 0, v[6:7]
	v_lshlrev_b32_e32 v2, 3, v2
	v_cmp_eq_u32_e32 vcc, 0, v5
	v_and_b32_e32 v2, 0xf8, v2
	v_and_or_b32 v2, v6, 7, v2
	s_and_b64 s[18:19], vcc, s[18:19]
	v_cndmask_b32_e64 v2, v2, 0, s[18:19]
	v_or_b32_e32 v2, v2, v4
	buffer_store_dword v2, off, s[0:3], s33 offset:192 ; 4-byte Folded Spill
.LBB6_4236:                             ;   in Loop: Header=BB6_3598 Depth=2
	s_or_b64 exec, exec, s[88:89]
                                        ; implicit-def: $vgpr4
.LBB6_4237:                             ;   in Loop: Header=BB6_3598 Depth=2
	s_andn2_saveexec_b64 s[18:19], s[78:79]
	s_cbranch_execz .LBB6_4239
; %bb.4238:                             ;   in Loop: Header=BB6_3598 Depth=2
	v_or_b32_e32 v2, 0x7e, v4
	buffer_store_dword v2, off, s[0:3], s33 offset:192 ; 4-byte Folded Spill
.LBB6_4239:                             ;   in Loop: Header=BB6_3598 Depth=2
	s_or_b64 exec, exec, s[18:19]
                                        ; implicit-def: $vgpr5
.LBB6_4240:                             ;   in Loop: Header=BB6_3598 Depth=2
	s_andn2_saveexec_b64 s[18:19], s[76:77]
	s_cbranch_execz .LBB6_4242
; %bb.4241:                             ;   in Loop: Header=BB6_3598 Depth=2
	v_or_b32_sdwa v2, v5, s50 dst_sel:DWORD dst_unused:UNUSED_PAD src0_sel:BYTE_3 src1_sel:DWORD
	buffer_store_dword v2, off, s[0:3], s33 offset:192 ; 4-byte Folded Spill
.LBB6_4242:                             ;   in Loop: Header=BB6_3598 Depth=2
	s_or_b64 exec, exec, s[18:19]
	v_cmp_lt_u64_e32 vcc, s[60:61], v[32:33]
	v_mov_b32_e32 v4, 0
	v_mov_b32_e32 v5, 0
	s_and_saveexec_b64 s[18:19], vcc
	s_cbranch_execz .LBB6_4248
; %bb.4243:                             ;   in Loop: Header=BB6_3598 Depth=2
	v_lshrrev_b32_e32 v2, 24, v33
	v_cmp_ne_u32_e32 vcc, s49, v2
	v_bfrev_b32_e32 v5, 1
	s_and_saveexec_b64 s[76:77], vcc
	s_cbranch_execz .LBB6_4247
; %bb.4244:                             ;   in Loop: Header=BB6_3598 Depth=2
	v_bfe_u32 v6, v33, 24, 7
	v_cmp_ne_u32_e32 vcc, s50, v6
	v_mov_b32_e32 v5, 0x7f800001
	s_and_saveexec_b64 s[78:79], vcc
	s_cbranch_execz .LBB6_4246
; %bb.4245:                             ;   in Loop: Header=BB6_3598 Depth=2
	v_and_b32_e32 v7, 7, v2
	v_ffbh_u32_e32 v5, v7
	v_min_u32_e32 v9, 32, v5
	v_subrev_u32_e32 v5, 28, v9
	v_lshrrev_b32_e32 v8, 3, v6
	v_cmp_gt_u32_e32 vcc, 8, v6
	v_lshlrev_b64 v[5:6], v5, v[2:3]
	v_sub_u32_e32 v6, 29, v9
	v_and_b32_e32 v5, 7, v5
	v_cndmask_b32_e32 v6, v8, v6, vcc
	v_cndmask_b32_e32 v5, v7, v5, vcc
	v_lshlrev_b32_e32 v2, 24, v2
	v_lshlrev_b32_e32 v5, 20, v5
	v_and_b32_e32 v2, 0x80000000, v2
	v_lshl_add_u32 v6, v6, 23, v57
	v_or3_b32 v5, v2, v6, v5
.LBB6_4246:                             ;   in Loop: Header=BB6_3598 Depth=2
	s_or_b64 exec, exec, s[78:79]
.LBB6_4247:                             ;   in Loop: Header=BB6_3598 Depth=2
	s_or_b64 exec, exec, s[76:77]
.LBB6_4248:                             ;   in Loop: Header=BB6_3598 Depth=2
	s_or_b64 exec, exec, s[18:19]
	v_cmp_lt_u64_e32 vcc, s[60:61], v[26:27]
	s_and_saveexec_b64 s[18:19], vcc
	s_cbranch_execz .LBB6_4254
; %bb.4249:                             ;   in Loop: Header=BB6_3598 Depth=2
	v_lshrrev_b32_e32 v2, 24, v27
	v_cmp_ne_u32_e32 vcc, s49, v2
	v_bfrev_b32_e32 v4, 1
	s_and_saveexec_b64 s[76:77], vcc
	s_cbranch_execz .LBB6_4253
; %bb.4250:                             ;   in Loop: Header=BB6_3598 Depth=2
	v_bfe_u32 v6, v27, 24, 7
	v_cmp_ne_u32_e32 vcc, s50, v6
	v_mov_b32_e32 v4, 0x7f800001
	s_and_saveexec_b64 s[78:79], vcc
	s_cbranch_execz .LBB6_4252
; %bb.4251:                             ;   in Loop: Header=BB6_3598 Depth=2
	v_and_b32_e32 v4, 7, v2
	v_lshrrev_b32_e32 v8, 3, v6
	v_cmp_gt_u32_e32 vcc, 8, v6
	v_ffbh_u32_e32 v6, v4
	v_min_u32_e32 v9, 32, v6
	v_subrev_u32_e32 v6, 28, v9
	v_lshlrev_b64 v[6:7], v6, v[2:3]
	v_sub_u32_e32 v7, 29, v9
	v_and_b32_e32 v6, 7, v6
	v_cndmask_b32_e32 v7, v8, v7, vcc
	v_cndmask_b32_e32 v4, v4, v6, vcc
	v_lshlrev_b32_e32 v2, 24, v2
	v_lshlrev_b32_e32 v4, 20, v4
	v_and_b32_e32 v2, 0x80000000, v2
	v_lshl_add_u32 v6, v7, 23, v57
	v_or3_b32 v4, v2, v6, v4
.LBB6_4252:                             ;   in Loop: Header=BB6_3598 Depth=2
	s_or_b64 exec, exec, s[78:79]
.LBB6_4253:                             ;   in Loop: Header=BB6_3598 Depth=2
	s_or_b64 exec, exec, s[76:77]
.LBB6_4254:                             ;   in Loop: Header=BB6_3598 Depth=2
	s_or_b64 exec, exec, s[18:19]
	v_add_f32_e32 v5, v5, v4
	v_and_b32_e32 v2, 0x7f800000, v5
	v_cmp_ne_u64_e32 vcc, s[46:47], v[2:3]
                                        ; implicit-def: $vgpr36
	s_and_saveexec_b64 s[18:19], vcc
	s_xor_b64 s[76:77], exec, s[18:19]
	s_cbranch_execz .LBB6_4268
; %bb.4255:                             ;   in Loop: Header=BB6_3598 Depth=2
	v_and_b32_e32 v2, 0x7fffffff, v5
	v_cmp_gt_u64_e32 vcc, s[56:57], v[2:3]
	v_and_b32_sdwa v4, v5, s49 dst_sel:DWORD dst_unused:UNUSED_PAD src0_sel:BYTE_3 src1_sel:DWORD
                                        ; implicit-def: $vgpr36
	s_and_saveexec_b64 s[18:19], vcc
	s_xor_b64 s[78:79], exec, s[18:19]
	s_cbranch_execz .LBB6_4265
; %bb.4256:                             ;   in Loop: Header=BB6_3598 Depth=2
	v_mov_b32_e32 v36, 0
	v_cmp_ne_u32_e32 vcc, 0, v5
	s_and_saveexec_b64 s[88:89], vcc
	s_cbranch_execz .LBB6_4264
; %bb.4257:                             ;   in Loop: Header=BB6_3598 Depth=2
	v_and_b32_e32 v2, 0x7fffff, v5
	v_bfe_u32 v5, v5, 23, 8
	v_cmp_gt_u32_e64 s[18:19], s51, v5
	v_sub_u32_e32 v6, 0x79, v5
	v_cmp_eq_u32_e32 vcc, 0, v5
	v_cndmask_b32_e64 v6, 0, v6, s[18:19]
	v_mov_b32_e32 v8, 0x78
	v_or_b32_e32 v7, 0x800000, v2
	v_cndmask_b32_e32 v6, v6, v8, vcc
	v_cndmask_b32_e32 v2, v7, v2, vcc
	v_add_u32_e32 v7, 20, v6
	v_lshlrev_b64 v[7:8], v7, -1
	v_add_u32_e32 v9, 19, v6
	v_lshlrev_b64 v[26:27], v9, 1
	v_bfi_b32 v8, v8, 0, 0
	v_bfi_b32 v7, v7, 0, v2
	v_cmp_eq_u64_e64 s[18:19], v[7:8], v[26:27]
	v_lshrrev_b64 v[26:27], v6, v[2:3]
	v_mov_b32_e32 v31, v27
	v_mov_b32_e32 v30, v26
	s_and_saveexec_b64 s[90:91], s[18:19]
; %bb.4258:                             ;   in Loop: Header=BB6_3598 Depth=2
	v_bfe_u32 v2, v26, 20, 1
	v_add_co_u32_e64 v2, s[18:19], v26, v2
	v_add_co_u32_e64 v30, s[18:19], -1, v2
; %bb.4259:                             ;   in Loop: Header=BB6_3598 Depth=2
	s_or_b64 exec, exec, s[90:91]
	v_add_u32_e32 v2, 0xffffff81, v5
	v_mov_b32_e32 v5, 0xffffff82
	v_cndmask_b32_e32 v2, v2, v5, vcc
	v_lshrrev_b32_e32 v5, 23, v26
	v_add3_u32 v7, v6, v2, v5
	v_add_u32_e32 v6, 6, v7
	v_and_b32_e32 v2, 0xfffff, v30
	v_add_u32_e32 v2, v2, v26
	v_cmp_ne_u32_e32 vcc, 0, v6
                                        ; implicit-def: $vgpr26_vgpr27
                                        ; implicit-def: $vgpr5
	s_and_saveexec_b64 s[18:19], vcc
	s_xor_b64 s[18:19], exec, s[18:19]
; %bb.4260:                             ;   in Loop: Header=BB6_3598 Depth=2
	v_cmp_lt_u64_e32 vcc, s[58:59], v[2:3]
	v_add_u32_e32 v5, 7, v7
	v_cndmask_b32_e32 v5, v6, v5, vcc
	v_cndmask_b32_e64 v6, 0, 1, vcc
	v_lshrrev_b64 v[26:27], v6, v[2:3]
; %bb.4261:                             ;   in Loop: Header=BB6_3598 Depth=2
	s_andn2_saveexec_b64 s[18:19], s[18:19]
; %bb.4262:                             ;   in Loop: Header=BB6_3598 Depth=2
	v_mov_b32_e32 v27, v3
	v_bfe_u32 v5, v2, 23, 1
	v_mov_b32_e32 v26, v2
; %bb.4263:                             ;   in Loop: Header=BB6_3598 Depth=2
	s_or_b64 exec, exec, s[18:19]
	v_lshrrev_b64 v[6:7], 20, v[26:27]
	v_cmp_gt_i32_e32 vcc, 16, v5
	v_cndmask_b32_e32 v7, 0, v7, vcc
	v_cndmask_b32_e32 v6, 7, v6, vcc
	v_min_i32_e32 v2, 15, v5
	v_cmp_eq_u64_e64 s[18:19], 0, v[6:7]
	v_lshlrev_b32_e32 v2, 3, v2
	v_cmp_eq_u32_e32 vcc, 0, v5
	v_and_b32_e32 v2, 0xf8, v2
	v_and_or_b32 v2, v6, 7, v2
	s_and_b64 s[18:19], vcc, s[18:19]
	v_cndmask_b32_e64 v2, v2, 0, s[18:19]
	v_or_b32_e32 v36, v2, v4
.LBB6_4264:                             ;   in Loop: Header=BB6_3598 Depth=2
	s_or_b64 exec, exec, s[88:89]
                                        ; implicit-def: $vgpr4
.LBB6_4265:                             ;   in Loop: Header=BB6_3598 Depth=2
	s_andn2_saveexec_b64 s[18:19], s[78:79]
; %bb.4266:                             ;   in Loop: Header=BB6_3598 Depth=2
	v_or_b32_e32 v36, 0x7e, v4
; %bb.4267:                             ;   in Loop: Header=BB6_3598 Depth=2
	s_or_b64 exec, exec, s[18:19]
                                        ; implicit-def: $vgpr5
.LBB6_4268:                             ;   in Loop: Header=BB6_3598 Depth=2
	s_andn2_saveexec_b64 s[18:19], s[76:77]
; %bb.4269:                             ;   in Loop: Header=BB6_3598 Depth=2
	v_or_b32_sdwa v36, v5, s50 dst_sel:DWORD dst_unused:UNUSED_PAD src0_sel:BYTE_3 src1_sel:DWORD
; %bb.4270:                             ;   in Loop: Header=BB6_3598 Depth=2
	s_or_b64 exec, exec, s[18:19]
	v_cmp_ne_u16_sdwa s[76:77], v34, v3 src0_sel:BYTE_0 src1_sel:DWORD
	v_mov_b32_e32 v2, 0
	v_mov_b32_e32 v4, 0
	s_and_saveexec_b64 s[18:19], s[76:77]
	s_cbranch_execz .LBB6_4276
; %bb.4271:                             ;   in Loop: Header=BB6_3598 Depth=2
	v_cmp_ne_u16_sdwa s[78:79], v34, s49 src0_sel:BYTE_0 src1_sel:DWORD
	v_bfrev_b32_e32 v4, 1
	s_and_saveexec_b64 s[76:77], s[78:79]
	s_cbranch_execz .LBB6_4275
; %bb.4272:                             ;   in Loop: Header=BB6_3598 Depth=2
	v_and_b32_e32 v5, 0x7f, v34
	v_cmp_ne_u32_e32 vcc, s50, v5
	v_mov_b32_e32 v4, 0x7f800001
	s_and_saveexec_b64 s[78:79], vcc
	s_cbranch_execz .LBB6_4274
; %bb.4273:                             ;   in Loop: Header=BB6_3598 Depth=2
	v_and_b32_e32 v4, 7, v34
	v_ffbh_u32_e32 v4, v4
	v_min_u32_e32 v4, 32, v4
	v_lshrrev_b32_e32 v6, 3, v5
	v_cmp_gt_u32_e32 vcc, 8, v5
	v_subrev_u32_e32 v5, 28, v4
	v_sub_u32_e32 v4, 29, v4
	v_cndmask_b32_e32 v6, v6, v4, vcc
	v_cndmask_b32_e32 v4, 0, v5, vcc
	v_lshlrev_b64 v[4:5], v4, v[34:35]
	v_lshlrev_b32_e32 v5, 24, v34
	v_lshlrev_b32_e32 v4, 20, v4
	v_and_b32_e32 v4, 0x700000, v4
	v_and_b32_e32 v5, 0x80000000, v5
	v_lshl_add_u32 v6, v6, 23, v57
	v_or3_b32 v4, v5, v6, v4
.LBB6_4274:                             ;   in Loop: Header=BB6_3598 Depth=2
	s_or_b64 exec, exec, s[78:79]
.LBB6_4275:                             ;   in Loop: Header=BB6_3598 Depth=2
	s_or_b64 exec, exec, s[76:77]
.LBB6_4276:                             ;   in Loop: Header=BB6_3598 Depth=2
	s_or_b64 exec, exec, s[18:19]
	v_cmp_ne_u16_sdwa s[76:77], v28, v3 src0_sel:BYTE_0 src1_sel:DWORD
	s_and_saveexec_b64 s[18:19], s[76:77]
	s_cbranch_execz .LBB6_4282
; %bb.4277:                             ;   in Loop: Header=BB6_3598 Depth=2
	v_cmp_ne_u16_sdwa s[78:79], v28, s49 src0_sel:BYTE_0 src1_sel:DWORD
	v_bfrev_b32_e32 v2, 1
	s_and_saveexec_b64 s[76:77], s[78:79]
	s_cbranch_execz .LBB6_4281
; %bb.4278:                             ;   in Loop: Header=BB6_3598 Depth=2
	v_and_b32_e32 v5, 0x7f, v28
	v_cmp_ne_u32_e32 vcc, s50, v5
	v_mov_b32_e32 v2, 0x7f800001
	s_and_saveexec_b64 s[78:79], vcc
	s_cbranch_execz .LBB6_4280
; %bb.4279:                             ;   in Loop: Header=BB6_3598 Depth=2
	v_and_b32_e32 v2, 7, v28
	v_ffbh_u32_e32 v2, v2
	v_min_u32_e32 v2, 32, v2
	v_lshrrev_b32_e32 v6, 3, v5
	v_cmp_gt_u32_e32 vcc, 8, v5
	v_subrev_u32_e32 v5, 28, v2
	v_sub_u32_e32 v2, 29, v2
	v_cndmask_b32_e32 v5, 0, v5, vcc
	v_cndmask_b32_e32 v2, v6, v2, vcc
	v_lshlrev_b64 v[5:6], v5, v[28:29]
	v_lshlrev_b32_e32 v6, 24, v28
	v_lshlrev_b32_e32 v5, 20, v5
	v_and_b32_e32 v5, 0x700000, v5
	v_and_b32_e32 v6, 0x80000000, v6
	v_lshl_add_u32 v2, v2, 23, v57
	v_or3_b32 v2, v6, v2, v5
.LBB6_4280:                             ;   in Loop: Header=BB6_3598 Depth=2
	s_or_b64 exec, exec, s[78:79]
.LBB6_4281:                             ;   in Loop: Header=BB6_3598 Depth=2
	s_or_b64 exec, exec, s[76:77]
.LBB6_4282:                             ;   in Loop: Header=BB6_3598 Depth=2
	s_or_b64 exec, exec, s[18:19]
	v_add_f32_e32 v5, v4, v2
	v_and_b32_e32 v2, 0x7f800000, v5
	v_cmp_ne_u64_e32 vcc, s[46:47], v[2:3]
                                        ; implicit-def: $vgpr2
                                        ; kill: killed $vgpr2
	s_and_saveexec_b64 s[18:19], vcc
	s_xor_b64 s[76:77], exec, s[18:19]
	s_cbranch_execz .LBB6_4296
; %bb.4283:                             ;   in Loop: Header=BB6_3598 Depth=2
	v_and_b32_e32 v2, 0x7fffffff, v5
	v_cmp_gt_u64_e32 vcc, s[56:57], v[2:3]
	v_and_b32_sdwa v4, v5, s49 dst_sel:DWORD dst_unused:UNUSED_PAD src0_sel:BYTE_3 src1_sel:DWORD
                                        ; implicit-def: $vgpr2
                                        ; kill: killed $vgpr2
	s_and_saveexec_b64 s[18:19], vcc
	s_xor_b64 s[78:79], exec, s[18:19]
	s_cbranch_execz .LBB6_4293
; %bb.4284:                             ;   in Loop: Header=BB6_3598 Depth=2
	v_mov_b32_e32 v2, 0
	v_cmp_ne_u32_e32 vcc, 0, v5
	buffer_store_dword v2, off, s[0:3], s33 offset:196 ; 4-byte Folded Spill
	s_and_saveexec_b64 s[88:89], vcc
	s_cbranch_execz .LBB6_4292
; %bb.4285:                             ;   in Loop: Header=BB6_3598 Depth=2
	v_and_b32_e32 v2, 0x7fffff, v5
	v_bfe_u32 v5, v5, 23, 8
	v_cmp_gt_u32_e64 s[18:19], s51, v5
	v_sub_u32_e32 v6, 0x79, v5
	v_cmp_eq_u32_e32 vcc, 0, v5
	v_cndmask_b32_e64 v6, 0, v6, s[18:19]
	v_mov_b32_e32 v8, 0x78
	v_or_b32_e32 v7, 0x800000, v2
	v_cndmask_b32_e32 v6, v6, v8, vcc
	v_cndmask_b32_e32 v2, v7, v2, vcc
	v_add_u32_e32 v7, 20, v6
	v_lshlrev_b64 v[7:8], v7, -1
	v_add_u32_e32 v9, 19, v6
	v_lshlrev_b64 v[26:27], v9, 1
	v_bfi_b32 v8, v8, 0, 0
	v_bfi_b32 v7, v7, 0, v2
	v_cmp_eq_u64_e64 s[18:19], v[7:8], v[26:27]
	v_lshrrev_b64 v[26:27], v6, v[2:3]
	v_mov_b32_e32 v31, v27
	v_mov_b32_e32 v30, v26
	s_and_saveexec_b64 s[90:91], s[18:19]
; %bb.4286:                             ;   in Loop: Header=BB6_3598 Depth=2
	v_bfe_u32 v2, v26, 20, 1
	v_add_co_u32_e64 v2, s[18:19], v26, v2
	v_add_co_u32_e64 v30, s[18:19], -1, v2
; %bb.4287:                             ;   in Loop: Header=BB6_3598 Depth=2
	s_or_b64 exec, exec, s[90:91]
	v_add_u32_e32 v2, 0xffffff81, v5
	v_mov_b32_e32 v5, 0xffffff82
	v_cndmask_b32_e32 v2, v2, v5, vcc
	v_lshrrev_b32_e32 v5, 23, v26
	v_add3_u32 v7, v6, v2, v5
	v_add_u32_e32 v6, 6, v7
	v_and_b32_e32 v2, 0xfffff, v30
	v_add_u32_e32 v2, v2, v26
	v_cmp_ne_u32_e32 vcc, 0, v6
                                        ; implicit-def: $vgpr26_vgpr27
                                        ; implicit-def: $vgpr5
	s_and_saveexec_b64 s[18:19], vcc
	s_xor_b64 s[18:19], exec, s[18:19]
; %bb.4288:                             ;   in Loop: Header=BB6_3598 Depth=2
	v_cmp_lt_u64_e32 vcc, s[58:59], v[2:3]
	v_add_u32_e32 v5, 7, v7
	v_cndmask_b32_e32 v5, v6, v5, vcc
	v_cndmask_b32_e64 v6, 0, 1, vcc
	v_lshrrev_b64 v[26:27], v6, v[2:3]
; %bb.4289:                             ;   in Loop: Header=BB6_3598 Depth=2
	s_andn2_saveexec_b64 s[18:19], s[18:19]
; %bb.4290:                             ;   in Loop: Header=BB6_3598 Depth=2
	v_mov_b32_e32 v27, v3
	v_bfe_u32 v5, v2, 23, 1
	v_mov_b32_e32 v26, v2
; %bb.4291:                             ;   in Loop: Header=BB6_3598 Depth=2
	s_or_b64 exec, exec, s[18:19]
	v_lshrrev_b64 v[6:7], 20, v[26:27]
	v_cmp_gt_i32_e32 vcc, 16, v5
	v_cndmask_b32_e32 v7, 0, v7, vcc
	v_cndmask_b32_e32 v6, 7, v6, vcc
	v_min_i32_e32 v2, 15, v5
	v_cmp_eq_u64_e64 s[18:19], 0, v[6:7]
	v_lshlrev_b32_e32 v2, 3, v2
	v_cmp_eq_u32_e32 vcc, 0, v5
	v_and_b32_e32 v2, 0xf8, v2
	v_and_or_b32 v2, v6, 7, v2
	s_and_b64 s[18:19], vcc, s[18:19]
	v_cndmask_b32_e64 v2, v2, 0, s[18:19]
	v_or_b32_e32 v2, v2, v4
	buffer_store_dword v2, off, s[0:3], s33 offset:196 ; 4-byte Folded Spill
.LBB6_4292:                             ;   in Loop: Header=BB6_3598 Depth=2
	s_or_b64 exec, exec, s[88:89]
                                        ; implicit-def: $vgpr4
.LBB6_4293:                             ;   in Loop: Header=BB6_3598 Depth=2
	s_andn2_saveexec_b64 s[18:19], s[78:79]
	s_cbranch_execz .LBB6_4295
; %bb.4294:                             ;   in Loop: Header=BB6_3598 Depth=2
	v_or_b32_e32 v2, 0x7e, v4
	buffer_store_dword v2, off, s[0:3], s33 offset:196 ; 4-byte Folded Spill
.LBB6_4295:                             ;   in Loop: Header=BB6_3598 Depth=2
	s_or_b64 exec, exec, s[18:19]
                                        ; implicit-def: $vgpr5
.LBB6_4296:                             ;   in Loop: Header=BB6_3598 Depth=2
	s_andn2_saveexec_b64 s[18:19], s[76:77]
	s_cbranch_execz .LBB6_4298
; %bb.4297:                             ;   in Loop: Header=BB6_3598 Depth=2
	v_or_b32_sdwa v2, v5, s50 dst_sel:DWORD dst_unused:UNUSED_PAD src0_sel:BYTE_3 src1_sel:DWORD
	buffer_store_dword v2, off, s[0:3], s33 offset:196 ; 4-byte Folded Spill
.LBB6_4298:                             ;   in Loop: Header=BB6_3598 Depth=2
	s_or_b64 exec, exec, s[18:19]
	v_lshrrev_b16_e32 v2, 8, v34
	v_cmp_ne_u16_e32 vcc, 0, v2
	v_mov_b32_e32 v4, 0
	v_mov_b32_e32 v5, 0
	s_and_saveexec_b64 s[18:19], vcc
	s_cbranch_execz .LBB6_4304
; %bb.4299:                             ;   in Loop: Header=BB6_3598 Depth=2
	v_cmp_ne_u16_e32 vcc, s49, v2
	v_bfrev_b32_e32 v5, 1
	s_and_saveexec_b64 s[76:77], vcc
	s_cbranch_execz .LBB6_4303
; %bb.4300:                             ;   in Loop: Header=BB6_3598 Depth=2
	v_and_b32_e32 v6, 0x7f, v2
	v_cmp_ne_u32_e32 vcc, s50, v6
	v_mov_b32_e32 v5, 0x7f800001
	s_and_saveexec_b64 s[78:79], vcc
	s_cbranch_execz .LBB6_4302
; %bb.4301:                             ;   in Loop: Header=BB6_3598 Depth=2
	v_and_b32_e32 v7, 7, v2
	v_ffbh_u32_e32 v5, v7
	v_min_u32_e32 v9, 32, v5
	v_subrev_u32_e32 v5, 28, v9
	v_lshrrev_b32_e32 v8, 3, v6
	v_cmp_gt_u32_e32 vcc, 8, v6
	v_lshlrev_b64 v[5:6], v5, v[2:3]
	v_sub_u32_e32 v2, 29, v9
	v_and_b32_e32 v5, 7, v5
	v_cndmask_b32_e32 v2, v8, v2, vcc
	v_cndmask_b32_e32 v5, v7, v5, vcc
	v_lshlrev_b32_e32 v6, 16, v34
	v_lshlrev_b32_e32 v5, 20, v5
	v_and_b32_e32 v6, 0x80000000, v6
	v_lshl_add_u32 v2, v2, 23, v57
	v_or3_b32 v5, v6, v2, v5
.LBB6_4302:                             ;   in Loop: Header=BB6_3598 Depth=2
	s_or_b64 exec, exec, s[78:79]
.LBB6_4303:                             ;   in Loop: Header=BB6_3598 Depth=2
	s_or_b64 exec, exec, s[76:77]
.LBB6_4304:                             ;   in Loop: Header=BB6_3598 Depth=2
	s_or_b64 exec, exec, s[18:19]
	v_lshrrev_b16_e32 v2, 8, v28
	v_cmp_ne_u16_e32 vcc, 0, v2
	s_and_saveexec_b64 s[18:19], vcc
	s_cbranch_execz .LBB6_4310
; %bb.4305:                             ;   in Loop: Header=BB6_3598 Depth=2
	v_cmp_ne_u16_e32 vcc, s49, v2
	v_bfrev_b32_e32 v4, 1
	s_and_saveexec_b64 s[76:77], vcc
	s_cbranch_execz .LBB6_4309
; %bb.4306:                             ;   in Loop: Header=BB6_3598 Depth=2
	v_and_b32_e32 v6, 0x7f, v2
	v_cmp_ne_u32_e32 vcc, s50, v6
	v_mov_b32_e32 v4, 0x7f800001
	s_and_saveexec_b64 s[78:79], vcc
	s_cbranch_execz .LBB6_4308
; %bb.4307:                             ;   in Loop: Header=BB6_3598 Depth=2
	v_and_b32_e32 v4, 7, v2
	v_lshrrev_b32_e32 v8, 3, v6
	v_cmp_gt_u32_e32 vcc, 8, v6
	v_ffbh_u32_e32 v6, v4
	v_min_u32_e32 v9, 32, v6
	v_subrev_u32_e32 v6, 28, v9
	v_lshlrev_b64 v[6:7], v6, v[2:3]
	v_sub_u32_e32 v2, 29, v9
	v_and_b32_e32 v6, 7, v6
	v_cndmask_b32_e32 v2, v8, v2, vcc
	v_cndmask_b32_e32 v4, v4, v6, vcc
	v_lshlrev_b32_e32 v6, 16, v28
	v_lshlrev_b32_e32 v4, 20, v4
	v_and_b32_e32 v6, 0x80000000, v6
	v_lshl_add_u32 v2, v2, 23, v57
	v_or3_b32 v4, v6, v2, v4
.LBB6_4308:                             ;   in Loop: Header=BB6_3598 Depth=2
	s_or_b64 exec, exec, s[78:79]
.LBB6_4309:                             ;   in Loop: Header=BB6_3598 Depth=2
	s_or_b64 exec, exec, s[76:77]
.LBB6_4310:                             ;   in Loop: Header=BB6_3598 Depth=2
	s_or_b64 exec, exec, s[18:19]
	v_add_f32_e32 v5, v5, v4
	v_and_b32_e32 v2, 0x7f800000, v5
	v_cmp_ne_u64_e32 vcc, s[46:47], v[2:3]
                                        ; implicit-def: $vgpr37
	s_and_saveexec_b64 s[18:19], vcc
	s_xor_b64 s[76:77], exec, s[18:19]
	s_cbranch_execz .LBB6_4324
; %bb.4311:                             ;   in Loop: Header=BB6_3598 Depth=2
	v_and_b32_e32 v2, 0x7fffffff, v5
	v_cmp_gt_u64_e32 vcc, s[56:57], v[2:3]
	v_and_b32_sdwa v4, v5, s49 dst_sel:DWORD dst_unused:UNUSED_PAD src0_sel:BYTE_3 src1_sel:DWORD
                                        ; implicit-def: $vgpr37
	s_and_saveexec_b64 s[18:19], vcc
	s_xor_b64 s[78:79], exec, s[18:19]
	s_cbranch_execz .LBB6_4321
; %bb.4312:                             ;   in Loop: Header=BB6_3598 Depth=2
	v_mov_b32_e32 v37, 0
	v_cmp_ne_u32_e32 vcc, 0, v5
	s_and_saveexec_b64 s[88:89], vcc
	s_cbranch_execz .LBB6_4320
; %bb.4313:                             ;   in Loop: Header=BB6_3598 Depth=2
	v_and_b32_e32 v2, 0x7fffff, v5
	v_bfe_u32 v5, v5, 23, 8
	v_cmp_gt_u32_e64 s[18:19], s51, v5
	v_sub_u32_e32 v6, 0x79, v5
	v_cmp_eq_u32_e32 vcc, 0, v5
	v_cndmask_b32_e64 v6, 0, v6, s[18:19]
	v_mov_b32_e32 v8, 0x78
	v_or_b32_e32 v7, 0x800000, v2
	v_cndmask_b32_e32 v6, v6, v8, vcc
	v_cndmask_b32_e32 v2, v7, v2, vcc
	v_add_u32_e32 v7, 20, v6
	v_lshlrev_b64 v[7:8], v7, -1
	v_add_u32_e32 v9, 19, v6
	v_lshlrev_b64 v[26:27], v9, 1
	v_bfi_b32 v8, v8, 0, 0
	v_bfi_b32 v7, v7, 0, v2
	v_cmp_eq_u64_e64 s[18:19], v[7:8], v[26:27]
	v_lshrrev_b64 v[26:27], v6, v[2:3]
	v_mov_b32_e32 v31, v27
	v_mov_b32_e32 v30, v26
	s_and_saveexec_b64 s[90:91], s[18:19]
; %bb.4314:                             ;   in Loop: Header=BB6_3598 Depth=2
	v_bfe_u32 v2, v26, 20, 1
	v_add_co_u32_e64 v2, s[18:19], v26, v2
	v_add_co_u32_e64 v30, s[18:19], -1, v2
; %bb.4315:                             ;   in Loop: Header=BB6_3598 Depth=2
	s_or_b64 exec, exec, s[90:91]
	v_add_u32_e32 v2, 0xffffff81, v5
	v_mov_b32_e32 v5, 0xffffff82
	v_cndmask_b32_e32 v2, v2, v5, vcc
	v_lshrrev_b32_e32 v5, 23, v26
	v_add3_u32 v7, v6, v2, v5
	v_add_u32_e32 v6, 6, v7
	v_and_b32_e32 v2, 0xfffff, v30
	v_add_u32_e32 v2, v2, v26
	v_cmp_ne_u32_e32 vcc, 0, v6
                                        ; implicit-def: $vgpr26_vgpr27
                                        ; implicit-def: $vgpr5
	s_and_saveexec_b64 s[18:19], vcc
	s_xor_b64 s[18:19], exec, s[18:19]
; %bb.4316:                             ;   in Loop: Header=BB6_3598 Depth=2
	v_cmp_lt_u64_e32 vcc, s[58:59], v[2:3]
	v_add_u32_e32 v5, 7, v7
	v_cndmask_b32_e32 v5, v6, v5, vcc
	v_cndmask_b32_e64 v6, 0, 1, vcc
	v_lshrrev_b64 v[26:27], v6, v[2:3]
; %bb.4317:                             ;   in Loop: Header=BB6_3598 Depth=2
	s_andn2_saveexec_b64 s[18:19], s[18:19]
; %bb.4318:                             ;   in Loop: Header=BB6_3598 Depth=2
	v_mov_b32_e32 v27, v3
	v_bfe_u32 v5, v2, 23, 1
	v_mov_b32_e32 v26, v2
; %bb.4319:                             ;   in Loop: Header=BB6_3598 Depth=2
	s_or_b64 exec, exec, s[18:19]
	v_lshrrev_b64 v[6:7], 20, v[26:27]
	v_cmp_gt_i32_e32 vcc, 16, v5
	v_cndmask_b32_e32 v7, 0, v7, vcc
	v_cndmask_b32_e32 v6, 7, v6, vcc
	v_min_i32_e32 v2, 15, v5
	v_cmp_eq_u64_e64 s[18:19], 0, v[6:7]
	v_lshlrev_b32_e32 v2, 3, v2
	v_cmp_eq_u32_e32 vcc, 0, v5
	v_and_b32_e32 v2, 0xf8, v2
	v_and_or_b32 v2, v6, 7, v2
	s_and_b64 s[18:19], vcc, s[18:19]
	v_cndmask_b32_e64 v2, v2, 0, s[18:19]
	v_or_b32_e32 v37, v2, v4
.LBB6_4320:                             ;   in Loop: Header=BB6_3598 Depth=2
	s_or_b64 exec, exec, s[88:89]
                                        ; implicit-def: $vgpr4
.LBB6_4321:                             ;   in Loop: Header=BB6_3598 Depth=2
	s_andn2_saveexec_b64 s[18:19], s[78:79]
; %bb.4322:                             ;   in Loop: Header=BB6_3598 Depth=2
	v_or_b32_e32 v37, 0x7e, v4
; %bb.4323:                             ;   in Loop: Header=BB6_3598 Depth=2
	s_or_b64 exec, exec, s[18:19]
                                        ; implicit-def: $vgpr5
.LBB6_4324:                             ;   in Loop: Header=BB6_3598 Depth=2
	s_andn2_saveexec_b64 s[18:19], s[76:77]
; %bb.4325:                             ;   in Loop: Header=BB6_3598 Depth=2
	v_or_b32_sdwa v37, v5, s50 dst_sel:DWORD dst_unused:UNUSED_PAD src0_sel:BYTE_3 src1_sel:DWORD
; %bb.4326:                             ;   in Loop: Header=BB6_3598 Depth=2
	s_or_b64 exec, exec, s[18:19]
	v_lshrrev_b32_e32 v2, 16, v34
	v_cmp_ne_u16_sdwa s[76:77], v2, v3 src0_sel:BYTE_0 src1_sel:DWORD
	v_mov_b32_e32 v4, 0
	v_mov_b32_e32 v5, 0
	s_and_saveexec_b64 s[18:19], s[76:77]
	s_cbranch_execz .LBB6_4332
; %bb.4327:                             ;   in Loop: Header=BB6_3598 Depth=2
	v_cmp_ne_u16_sdwa s[78:79], v2, s49 src0_sel:BYTE_0 src1_sel:DWORD
	v_bfrev_b32_e32 v5, 1
	s_and_saveexec_b64 s[76:77], s[78:79]
	s_cbranch_execz .LBB6_4331
; %bb.4328:                             ;   in Loop: Header=BB6_3598 Depth=2
	v_bfe_u32 v6, v34, 16, 7
	v_cmp_ne_u32_e32 vcc, s50, v6
	v_mov_b32_e32 v5, 0x7f800001
	s_and_saveexec_b64 s[78:79], vcc
	s_cbranch_execz .LBB6_4330
; %bb.4329:                             ;   in Loop: Header=BB6_3598 Depth=2
	v_and_b32_e32 v7, 7, v2
	v_ffbh_u32_e32 v5, v7
	v_min_u32_e32 v9, 32, v5
	v_subrev_u32_e32 v5, 28, v9
	v_lshrrev_b32_e32 v8, 3, v6
	v_cmp_gt_u32_e32 vcc, 8, v6
	v_lshlrev_b64 v[5:6], v5, v[2:3]
	v_sub_u32_e32 v6, 29, v9
	v_and_b32_e32 v5, 7, v5
	v_cndmask_b32_e32 v6, v8, v6, vcc
	v_cndmask_b32_e32 v5, v7, v5, vcc
	v_lshlrev_b32_e32 v2, 24, v2
	v_lshlrev_b32_e32 v5, 20, v5
	v_and_b32_e32 v2, 0x80000000, v2
	v_lshl_add_u32 v6, v6, 23, v57
	v_or3_b32 v5, v2, v6, v5
.LBB6_4330:                             ;   in Loop: Header=BB6_3598 Depth=2
	s_or_b64 exec, exec, s[78:79]
.LBB6_4331:                             ;   in Loop: Header=BB6_3598 Depth=2
	s_or_b64 exec, exec, s[76:77]
.LBB6_4332:                             ;   in Loop: Header=BB6_3598 Depth=2
	s_or_b64 exec, exec, s[18:19]
	v_lshrrev_b32_e32 v2, 16, v28
	v_cmp_ne_u16_sdwa s[76:77], v2, v3 src0_sel:BYTE_0 src1_sel:DWORD
	s_and_saveexec_b64 s[18:19], s[76:77]
	s_cbranch_execz .LBB6_4338
; %bb.4333:                             ;   in Loop: Header=BB6_3598 Depth=2
	v_cmp_ne_u16_sdwa s[78:79], v2, s49 src0_sel:BYTE_0 src1_sel:DWORD
	v_bfrev_b32_e32 v4, 1
	s_and_saveexec_b64 s[76:77], s[78:79]
	s_cbranch_execz .LBB6_4337
; %bb.4334:                             ;   in Loop: Header=BB6_3598 Depth=2
	v_bfe_u32 v6, v28, 16, 7
	v_cmp_ne_u32_e32 vcc, s50, v6
	v_mov_b32_e32 v4, 0x7f800001
	s_and_saveexec_b64 s[78:79], vcc
	s_cbranch_execz .LBB6_4336
; %bb.4335:                             ;   in Loop: Header=BB6_3598 Depth=2
	v_and_b32_e32 v4, 7, v2
	v_lshrrev_b32_e32 v8, 3, v6
	v_cmp_gt_u32_e32 vcc, 8, v6
	v_ffbh_u32_e32 v6, v4
	v_min_u32_e32 v9, 32, v6
	v_subrev_u32_e32 v6, 28, v9
	v_lshlrev_b64 v[6:7], v6, v[2:3]
	v_sub_u32_e32 v2, 29, v9
	v_and_b32_e32 v6, 7, v6
	v_cndmask_b32_e32 v2, v8, v2, vcc
	v_cndmask_b32_e32 v4, v4, v6, vcc
	v_lshlrev_b32_e32 v6, 8, v28
	v_lshlrev_b32_e32 v4, 20, v4
	v_and_b32_e32 v6, 0x80000000, v6
	v_lshl_add_u32 v2, v2, 23, v57
	v_or3_b32 v4, v6, v2, v4
.LBB6_4336:                             ;   in Loop: Header=BB6_3598 Depth=2
	s_or_b64 exec, exec, s[78:79]
.LBB6_4337:                             ;   in Loop: Header=BB6_3598 Depth=2
	s_or_b64 exec, exec, s[76:77]
.LBB6_4338:                             ;   in Loop: Header=BB6_3598 Depth=2
	s_or_b64 exec, exec, s[18:19]
	v_add_f32_e32 v6, v5, v4
	v_and_b32_e32 v2, 0x7f800000, v6
	v_cmp_ne_u64_e32 vcc, s[46:47], v[2:3]
                                        ; implicit-def: $vgpr4
	s_and_saveexec_b64 s[18:19], vcc
	s_xor_b64 s[76:77], exec, s[18:19]
	s_cbranch_execz .LBB6_4352
; %bb.4339:                             ;   in Loop: Header=BB6_3598 Depth=2
	v_and_b32_e32 v2, 0x7fffffff, v6
	v_cmp_gt_u64_e32 vcc, s[56:57], v[2:3]
	v_and_b32_sdwa v5, v6, s49 dst_sel:DWORD dst_unused:UNUSED_PAD src0_sel:BYTE_3 src1_sel:DWORD
                                        ; implicit-def: $vgpr4
	s_and_saveexec_b64 s[18:19], vcc
	s_xor_b64 s[78:79], exec, s[18:19]
	s_cbranch_execz .LBB6_4349
; %bb.4340:                             ;   in Loop: Header=BB6_3598 Depth=2
	v_mov_b32_e32 v4, 0
	v_cmp_ne_u32_e32 vcc, 0, v6
	s_and_saveexec_b64 s[88:89], vcc
	s_cbranch_execz .LBB6_4348
; %bb.4341:                             ;   in Loop: Header=BB6_3598 Depth=2
	v_bfe_u32 v4, v6, 23, 8
	v_and_b32_e32 v2, 0x7fffff, v6
	v_cmp_gt_u32_e64 s[18:19], s51, v4
	v_sub_u32_e32 v6, 0x79, v4
	v_cmp_eq_u32_e32 vcc, 0, v4
	v_cndmask_b32_e64 v6, 0, v6, s[18:19]
	v_mov_b32_e32 v8, 0x78
	v_or_b32_e32 v7, 0x800000, v2
	v_cndmask_b32_e32 v6, v6, v8, vcc
	v_cndmask_b32_e32 v2, v7, v2, vcc
	v_add_u32_e32 v7, 20, v6
	v_lshlrev_b64 v[7:8], v7, -1
	v_add_u32_e32 v9, 19, v6
	v_lshlrev_b64 v[26:27], v9, 1
	v_bfi_b32 v8, v8, 0, 0
	v_bfi_b32 v7, v7, 0, v2
	v_cmp_eq_u64_e64 s[18:19], v[7:8], v[26:27]
	v_lshrrev_b64 v[26:27], v6, v[2:3]
	v_mov_b32_e32 v31, v27
	v_mov_b32_e32 v30, v26
	s_and_saveexec_b64 s[90:91], s[18:19]
; %bb.4342:                             ;   in Loop: Header=BB6_3598 Depth=2
	v_bfe_u32 v2, v26, 20, 1
	v_add_co_u32_e64 v2, s[18:19], v26, v2
	v_add_co_u32_e64 v30, s[18:19], -1, v2
; %bb.4343:                             ;   in Loop: Header=BB6_3598 Depth=2
	s_or_b64 exec, exec, s[90:91]
	v_add_u32_e32 v2, 0xffffff81, v4
	v_mov_b32_e32 v4, 0xffffff82
	v_cndmask_b32_e32 v2, v2, v4, vcc
	v_lshrrev_b32_e32 v4, 23, v26
	v_add3_u32 v7, v6, v2, v4
	v_add_u32_e32 v6, 6, v7
	v_and_b32_e32 v2, 0xfffff, v30
	v_add_u32_e32 v2, v2, v26
	v_cmp_ne_u32_e32 vcc, 0, v6
                                        ; implicit-def: $vgpr26_vgpr27
                                        ; implicit-def: $vgpr4
	s_and_saveexec_b64 s[18:19], vcc
	s_xor_b64 s[18:19], exec, s[18:19]
; %bb.4344:                             ;   in Loop: Header=BB6_3598 Depth=2
	v_cmp_lt_u64_e32 vcc, s[58:59], v[2:3]
	v_add_u32_e32 v4, 7, v7
	v_cndmask_b32_e32 v4, v6, v4, vcc
	v_cndmask_b32_e64 v6, 0, 1, vcc
	v_lshrrev_b64 v[26:27], v6, v[2:3]
; %bb.4345:                             ;   in Loop: Header=BB6_3598 Depth=2
	s_andn2_saveexec_b64 s[18:19], s[18:19]
; %bb.4346:                             ;   in Loop: Header=BB6_3598 Depth=2
	v_mov_b32_e32 v27, v3
	v_bfe_u32 v4, v2, 23, 1
	v_mov_b32_e32 v26, v2
; %bb.4347:                             ;   in Loop: Header=BB6_3598 Depth=2
	s_or_b64 exec, exec, s[18:19]
	v_lshrrev_b64 v[6:7], 20, v[26:27]
	v_cmp_gt_i32_e32 vcc, 16, v4
	v_cndmask_b32_e32 v7, 0, v7, vcc
	v_cndmask_b32_e32 v6, 7, v6, vcc
	v_min_i32_e32 v2, 15, v4
	v_cmp_eq_u64_e64 s[18:19], 0, v[6:7]
	v_lshlrev_b32_e32 v2, 3, v2
	v_cmp_eq_u32_e32 vcc, 0, v4
	v_and_b32_e32 v2, 0xf8, v2
	v_and_or_b32 v2, v6, 7, v2
	s_and_b64 s[18:19], vcc, s[18:19]
	v_cndmask_b32_e64 v2, v2, 0, s[18:19]
	v_or_b32_e32 v4, v2, v5
.LBB6_4348:                             ;   in Loop: Header=BB6_3598 Depth=2
	s_or_b64 exec, exec, s[88:89]
                                        ; implicit-def: $vgpr5
.LBB6_4349:                             ;   in Loop: Header=BB6_3598 Depth=2
	s_andn2_saveexec_b64 s[18:19], s[78:79]
; %bb.4350:                             ;   in Loop: Header=BB6_3598 Depth=2
	v_or_b32_e32 v4, 0x7e, v5
; %bb.4351:                             ;   in Loop: Header=BB6_3598 Depth=2
	s_or_b64 exec, exec, s[18:19]
                                        ; implicit-def: $vgpr6
.LBB6_4352:                             ;   in Loop: Header=BB6_3598 Depth=2
	s_andn2_saveexec_b64 s[18:19], s[76:77]
; %bb.4353:                             ;   in Loop: Header=BB6_3598 Depth=2
	v_or_b32_sdwa v4, v6, s50 dst_sel:DWORD dst_unused:UNUSED_PAD src0_sel:BYTE_3 src1_sel:DWORD
; %bb.4354:                             ;   in Loop: Header=BB6_3598 Depth=2
	s_or_b64 exec, exec, s[18:19]
	v_cmp_lt_u32_e32 vcc, s61, v34
	v_mov_b32_e32 v5, 0
	v_mov_b32_e32 v6, 0
	s_and_saveexec_b64 s[18:19], vcc
	s_cbranch_execz .LBB6_4360
; %bb.4355:                             ;   in Loop: Header=BB6_3598 Depth=2
	v_lshrrev_b32_e32 v2, 24, v34
	v_cmp_ne_u32_e32 vcc, s49, v2
	v_bfrev_b32_e32 v6, 1
	s_and_saveexec_b64 s[76:77], vcc
	s_cbranch_execz .LBB6_4359
; %bb.4356:                             ;   in Loop: Header=BB6_3598 Depth=2
	v_bfe_u32 v7, v34, 24, 7
	v_cmp_ne_u32_e32 vcc, s50, v7
	v_mov_b32_e32 v6, 0x7f800001
	s_and_saveexec_b64 s[78:79], vcc
	s_cbranch_execz .LBB6_4358
; %bb.4357:                             ;   in Loop: Header=BB6_3598 Depth=2
	v_and_b32_e32 v8, 7, v2
	v_ffbh_u32_e32 v6, v8
	v_min_u32_e32 v26, 32, v6
	v_subrev_u32_e32 v6, 28, v26
	v_lshrrev_b32_e32 v9, 3, v7
	v_cmp_gt_u32_e32 vcc, 8, v7
	v_lshlrev_b64 v[6:7], v6, v[2:3]
	v_sub_u32_e32 v7, 29, v26
	v_and_b32_e32 v6, 7, v6
	v_cndmask_b32_e32 v7, v9, v7, vcc
	v_cndmask_b32_e32 v6, v8, v6, vcc
	v_lshlrev_b32_e32 v2, 24, v2
	v_lshlrev_b32_e32 v6, 20, v6
	v_and_b32_e32 v2, 0x80000000, v2
	v_lshl_add_u32 v7, v7, 23, v57
	v_or3_b32 v6, v2, v7, v6
.LBB6_4358:                             ;   in Loop: Header=BB6_3598 Depth=2
	s_or_b64 exec, exec, s[78:79]
.LBB6_4359:                             ;   in Loop: Header=BB6_3598 Depth=2
	s_or_b64 exec, exec, s[76:77]
.LBB6_4360:                             ;   in Loop: Header=BB6_3598 Depth=2
	s_or_b64 exec, exec, s[18:19]
	v_cmp_lt_u32_e32 vcc, s61, v28
	s_and_saveexec_b64 s[18:19], vcc
	s_cbranch_execz .LBB6_4366
; %bb.4361:                             ;   in Loop: Header=BB6_3598 Depth=2
	v_lshrrev_b32_e32 v2, 24, v28
	v_cmp_ne_u32_e32 vcc, s49, v2
	v_bfrev_b32_e32 v5, 1
	s_and_saveexec_b64 s[76:77], vcc
	s_cbranch_execz .LBB6_4365
; %bb.4362:                             ;   in Loop: Header=BB6_3598 Depth=2
	v_bfe_u32 v7, v28, 24, 7
	v_cmp_ne_u32_e32 vcc, s50, v7
	v_mov_b32_e32 v5, 0x7f800001
	s_and_saveexec_b64 s[78:79], vcc
	s_cbranch_execz .LBB6_4364
; %bb.4363:                             ;   in Loop: Header=BB6_3598 Depth=2
	v_and_b32_e32 v5, 7, v2
	v_lshrrev_b32_e32 v9, 3, v7
	v_cmp_gt_u32_e32 vcc, 8, v7
	v_ffbh_u32_e32 v7, v5
	v_min_u32_e32 v26, 32, v7
	v_subrev_u32_e32 v7, 28, v26
	v_lshlrev_b64 v[7:8], v7, v[2:3]
	v_sub_u32_e32 v8, 29, v26
	v_and_b32_e32 v7, 7, v7
	v_cndmask_b32_e32 v8, v9, v8, vcc
	v_cndmask_b32_e32 v5, v5, v7, vcc
	v_lshlrev_b32_e32 v2, 24, v2
	v_lshlrev_b32_e32 v5, 20, v5
	v_and_b32_e32 v2, 0x80000000, v2
	v_lshl_add_u32 v7, v8, 23, v57
	v_or3_b32 v5, v2, v7, v5
.LBB6_4364:                             ;   in Loop: Header=BB6_3598 Depth=2
	s_or_b64 exec, exec, s[78:79]
.LBB6_4365:                             ;   in Loop: Header=BB6_3598 Depth=2
	s_or_b64 exec, exec, s[76:77]
.LBB6_4366:                             ;   in Loop: Header=BB6_3598 Depth=2
	s_or_b64 exec, exec, s[18:19]
	v_add_f32_e32 v7, v6, v5
	v_and_b32_e32 v2, 0x7f800000, v7
	v_cmp_ne_u64_e32 vcc, s[46:47], v[2:3]
                                        ; implicit-def: $vgpr5
	s_and_saveexec_b64 s[18:19], vcc
	s_xor_b64 s[76:77], exec, s[18:19]
	s_cbranch_execz .LBB6_4380
; %bb.4367:                             ;   in Loop: Header=BB6_3598 Depth=2
	v_and_b32_e32 v2, 0x7fffffff, v7
	v_cmp_gt_u64_e32 vcc, s[56:57], v[2:3]
	v_and_b32_sdwa v6, v7, s49 dst_sel:DWORD dst_unused:UNUSED_PAD src0_sel:BYTE_3 src1_sel:DWORD
                                        ; implicit-def: $vgpr5
	s_and_saveexec_b64 s[18:19], vcc
	s_xor_b64 s[78:79], exec, s[18:19]
	s_cbranch_execz .LBB6_4377
; %bb.4368:                             ;   in Loop: Header=BB6_3598 Depth=2
	v_mov_b32_e32 v5, 0
	v_cmp_ne_u32_e32 vcc, 0, v7
	s_and_saveexec_b64 s[88:89], vcc
	s_cbranch_execz .LBB6_4376
; %bb.4369:                             ;   in Loop: Header=BB6_3598 Depth=2
	v_bfe_u32 v5, v7, 23, 8
	v_and_b32_e32 v2, 0x7fffff, v7
	v_cmp_gt_u32_e64 s[18:19], s51, v5
	v_sub_u32_e32 v7, 0x79, v5
	v_cmp_eq_u32_e32 vcc, 0, v5
	v_cndmask_b32_e64 v7, 0, v7, s[18:19]
	v_mov_b32_e32 v9, 0x78
	v_or_b32_e32 v8, 0x800000, v2
	v_cndmask_b32_e32 v7, v7, v9, vcc
	v_cndmask_b32_e32 v2, v8, v2, vcc
	v_add_u32_e32 v8, 20, v7
	v_lshlrev_b64 v[8:9], v8, -1
	v_add_u32_e32 v26, 19, v7
	v_lshlrev_b64 v[26:27], v26, 1
	v_bfi_b32 v9, v9, 0, 0
	v_bfi_b32 v8, v8, 0, v2
	v_cmp_eq_u64_e64 s[18:19], v[8:9], v[26:27]
	v_lshrrev_b64 v[26:27], v7, v[2:3]
	v_mov_b32_e32 v31, v27
	v_mov_b32_e32 v30, v26
	s_and_saveexec_b64 s[90:91], s[18:19]
; %bb.4370:                             ;   in Loop: Header=BB6_3598 Depth=2
	v_bfe_u32 v2, v26, 20, 1
	v_add_co_u32_e64 v2, s[18:19], v26, v2
	v_add_co_u32_e64 v30, s[18:19], -1, v2
; %bb.4371:                             ;   in Loop: Header=BB6_3598 Depth=2
	s_or_b64 exec, exec, s[90:91]
	v_add_u32_e32 v2, 0xffffff81, v5
	v_mov_b32_e32 v5, 0xffffff82
	v_cndmask_b32_e32 v2, v2, v5, vcc
	v_lshrrev_b32_e32 v5, 23, v26
	v_add3_u32 v8, v7, v2, v5
	v_add_u32_e32 v7, 6, v8
	v_and_b32_e32 v2, 0xfffff, v30
	v_add_u32_e32 v2, v2, v26
	v_cmp_ne_u32_e32 vcc, 0, v7
                                        ; implicit-def: $vgpr26_vgpr27
                                        ; implicit-def: $vgpr5
	s_and_saveexec_b64 s[18:19], vcc
	s_xor_b64 s[18:19], exec, s[18:19]
; %bb.4372:                             ;   in Loop: Header=BB6_3598 Depth=2
	v_cmp_lt_u64_e32 vcc, s[58:59], v[2:3]
	v_add_u32_e32 v5, 7, v8
	v_cndmask_b32_e32 v5, v7, v5, vcc
	v_cndmask_b32_e64 v7, 0, 1, vcc
	v_lshrrev_b64 v[26:27], v7, v[2:3]
; %bb.4373:                             ;   in Loop: Header=BB6_3598 Depth=2
	s_andn2_saveexec_b64 s[18:19], s[18:19]
; %bb.4374:                             ;   in Loop: Header=BB6_3598 Depth=2
	v_mov_b32_e32 v27, v3
	v_bfe_u32 v5, v2, 23, 1
	v_mov_b32_e32 v26, v2
; %bb.4375:                             ;   in Loop: Header=BB6_3598 Depth=2
	s_or_b64 exec, exec, s[18:19]
	v_lshrrev_b64 v[7:8], 20, v[26:27]
	v_cmp_gt_i32_e32 vcc, 16, v5
	v_cndmask_b32_e32 v8, 0, v8, vcc
	v_cndmask_b32_e32 v7, 7, v7, vcc
	v_min_i32_e32 v2, 15, v5
	v_cmp_eq_u64_e64 s[18:19], 0, v[7:8]
	v_lshlrev_b32_e32 v2, 3, v2
	v_cmp_eq_u32_e32 vcc, 0, v5
	v_and_b32_e32 v2, 0xf8, v2
	v_and_or_b32 v2, v7, 7, v2
	s_and_b64 s[18:19], vcc, s[18:19]
	v_cndmask_b32_e64 v2, v2, 0, s[18:19]
	v_or_b32_e32 v5, v2, v6
.LBB6_4376:                             ;   in Loop: Header=BB6_3598 Depth=2
	s_or_b64 exec, exec, s[88:89]
                                        ; implicit-def: $vgpr6
.LBB6_4377:                             ;   in Loop: Header=BB6_3598 Depth=2
	s_andn2_saveexec_b64 s[18:19], s[78:79]
; %bb.4378:                             ;   in Loop: Header=BB6_3598 Depth=2
	v_or_b32_e32 v5, 0x7e, v6
; %bb.4379:                             ;   in Loop: Header=BB6_3598 Depth=2
	s_or_b64 exec, exec, s[18:19]
                                        ; implicit-def: $vgpr7
.LBB6_4380:                             ;   in Loop: Header=BB6_3598 Depth=2
	s_andn2_saveexec_b64 s[18:19], s[76:77]
; %bb.4381:                             ;   in Loop: Header=BB6_3598 Depth=2
	v_or_b32_sdwa v5, v7, s50 dst_sel:DWORD dst_unused:UNUSED_PAD src0_sel:BYTE_3 src1_sel:DWORD
; %bb.4382:                             ;   in Loop: Header=BB6_3598 Depth=2
	s_or_b64 exec, exec, s[18:19]
	v_mov_b32_e32 v2, v35
	v_cmp_ne_u16_sdwa s[76:77], v35, v3 src0_sel:BYTE_0 src1_sel:DWORD
	v_mov_b32_e32 v7, 0
	v_mov_b32_e32 v6, 0
	s_and_saveexec_b64 s[18:19], s[76:77]
	s_cbranch_execz .LBB6_4388
; %bb.4383:                             ;   in Loop: Header=BB6_3598 Depth=2
	v_cmp_ne_u16_sdwa s[78:79], v35, s49 src0_sel:BYTE_0 src1_sel:DWORD
	v_bfrev_b32_e32 v6, 1
	s_and_saveexec_b64 s[76:77], s[78:79]
	s_cbranch_execz .LBB6_4387
; %bb.4384:                             ;   in Loop: Header=BB6_3598 Depth=2
	v_and_b32_e32 v8, 0x7f, v35
	v_cmp_ne_u32_e32 vcc, s50, v8
	v_mov_b32_e32 v6, 0x7f800001
	s_and_saveexec_b64 s[78:79], vcc
	s_cbranch_execz .LBB6_4386
; %bb.4385:                             ;   in Loop: Header=BB6_3598 Depth=2
	v_and_b32_e32 v6, 7, v35
	v_ffbh_u32_e32 v6, v6
	v_min_u32_e32 v6, 32, v6
	v_lshrrev_b32_e32 v9, 3, v8
	v_cmp_gt_u32_e32 vcc, 8, v8
	v_subrev_u32_e32 v8, 28, v6
	v_sub_u32_e32 v6, 29, v6
	v_cndmask_b32_e32 v8, 0, v8, vcc
	v_cndmask_b32_e32 v6, v9, v6, vcc
	v_lshlrev_b64 v[8:9], v8, v[2:3]
	v_lshlrev_b32_e32 v9, 24, v2
	v_lshlrev_b32_e32 v8, 20, v8
	v_and_b32_e32 v8, 0x700000, v8
	v_and_b32_e32 v9, 0x80000000, v9
	v_lshl_add_u32 v6, v6, 23, v57
	v_or3_b32 v6, v9, v6, v8
.LBB6_4386:                             ;   in Loop: Header=BB6_3598 Depth=2
	s_or_b64 exec, exec, s[78:79]
.LBB6_4387:                             ;   in Loop: Header=BB6_3598 Depth=2
	s_or_b64 exec, exec, s[76:77]
.LBB6_4388:                             ;   in Loop: Header=BB6_3598 Depth=2
	s_or_b64 exec, exec, s[18:19]
	v_cmp_ne_u16_sdwa s[76:77], v29, v3 src0_sel:BYTE_0 src1_sel:DWORD
	s_and_saveexec_b64 s[18:19], s[76:77]
	s_cbranch_execz .LBB6_4394
; %bb.4389:                             ;   in Loop: Header=BB6_3598 Depth=2
	v_cmp_ne_u16_sdwa s[78:79], v29, s49 src0_sel:BYTE_0 src1_sel:DWORD
	v_bfrev_b32_e32 v7, 1
	s_and_saveexec_b64 s[76:77], s[78:79]
	s_cbranch_execz .LBB6_4393
; %bb.4390:                             ;   in Loop: Header=BB6_3598 Depth=2
	v_and_b32_e32 v8, 0x7f, v29
	v_cmp_ne_u32_e32 vcc, s50, v8
	v_mov_b32_e32 v7, 0x7f800001
	s_and_saveexec_b64 s[78:79], vcc
	s_cbranch_execz .LBB6_4392
; %bb.4391:                             ;   in Loop: Header=BB6_3598 Depth=2
	v_and_b32_e32 v7, 7, v29
	v_ffbh_u32_e32 v7, v7
	v_min_u32_e32 v7, 32, v7
	v_lshrrev_b32_e32 v9, 3, v8
	v_cmp_gt_u32_e32 vcc, 8, v8
	v_subrev_u32_e32 v8, 28, v7
	v_sub_u32_e32 v7, 29, v7
	v_mov_b32_e32 v26, v29
	v_mov_b32_e32 v27, v3
	v_cndmask_b32_e32 v9, v9, v7, vcc
	v_cndmask_b32_e32 v7, 0, v8, vcc
	v_lshlrev_b64 v[7:8], v7, v[26:27]
	v_lshlrev_b32_e32 v8, 24, v26
	v_lshlrev_b32_e32 v7, 20, v7
	v_and_b32_e32 v7, 0x700000, v7
	v_and_b32_e32 v8, 0x80000000, v8
	v_lshl_add_u32 v9, v9, 23, v57
	v_or3_b32 v7, v8, v9, v7
.LBB6_4392:                             ;   in Loop: Header=BB6_3598 Depth=2
	s_or_b64 exec, exec, s[78:79]
.LBB6_4393:                             ;   in Loop: Header=BB6_3598 Depth=2
	s_or_b64 exec, exec, s[76:77]
.LBB6_4394:                             ;   in Loop: Header=BB6_3598 Depth=2
	s_or_b64 exec, exec, s[18:19]
	v_add_f32_e32 v7, v6, v7
	v_and_b32_e32 v8, 0x7f800000, v7
	v_mov_b32_e32 v9, v3
	v_cmp_ne_u64_e32 vcc, s[46:47], v[8:9]
                                        ; implicit-def: $vgpr42
	s_and_saveexec_b64 s[18:19], vcc
	s_xor_b64 s[76:77], exec, s[18:19]
	s_cbranch_execz .LBB6_4408
; %bb.4395:                             ;   in Loop: Header=BB6_3598 Depth=2
	v_and_b32_e32 v8, 0x7fffffff, v7
	v_mov_b32_e32 v9, v3
	v_cmp_gt_u64_e32 vcc, s[56:57], v[8:9]
	v_and_b32_sdwa v6, v7, s49 dst_sel:DWORD dst_unused:UNUSED_PAD src0_sel:BYTE_3 src1_sel:DWORD
                                        ; implicit-def: $vgpr42
	s_and_saveexec_b64 s[18:19], vcc
	s_xor_b64 s[78:79], exec, s[18:19]
	s_cbranch_execz .LBB6_4405
; %bb.4396:                             ;   in Loop: Header=BB6_3598 Depth=2
	v_mov_b32_e32 v42, 0
	v_cmp_ne_u32_e32 vcc, 0, v7
	s_and_saveexec_b64 s[88:89], vcc
	s_cbranch_execz .LBB6_4404
; %bb.4397:                             ;   in Loop: Header=BB6_3598 Depth=2
	v_and_b32_e32 v9, 0x7fffff, v7
	v_bfe_u32 v7, v7, 23, 8
	v_cmp_gt_u32_e64 s[18:19], s51, v7
	v_sub_u32_e32 v8, 0x79, v7
	v_cmp_eq_u32_e32 vcc, 0, v7
	v_cndmask_b32_e64 v8, 0, v8, s[18:19]
	v_mov_b32_e32 v27, 0x78
	v_or_b32_e32 v26, 0x800000, v9
	v_cndmask_b32_e32 v8, v8, v27, vcc
	v_cndmask_b32_e32 v26, v26, v9, vcc
	v_add_u32_e32 v9, 20, v8
	v_lshlrev_b64 v[30:31], v9, -1
	v_mov_b32_e32 v27, v3
	v_add_u32_e32 v9, 19, v8
	v_bfi_b32 v30, v30, 0, v26
	v_lshlrev_b64 v[38:39], v9, 1
	v_lshrrev_b64 v[26:27], v8, v[26:27]
	v_bfi_b32 v31, v31, 0, 0
	v_cmp_eq_u64_e64 s[18:19], v[30:31], v[38:39]
	v_mov_b32_e32 v31, v27
	v_mov_b32_e32 v30, v26
	s_and_saveexec_b64 s[90:91], s[18:19]
; %bb.4398:                             ;   in Loop: Header=BB6_3598 Depth=2
	v_bfe_u32 v9, v26, 20, 1
	v_add_co_u32_e64 v9, s[18:19], v26, v9
	v_add_co_u32_e64 v30, s[18:19], -1, v9
; %bb.4399:                             ;   in Loop: Header=BB6_3598 Depth=2
	s_or_b64 exec, exec, s[90:91]
	v_add_u32_e32 v7, 0xffffff81, v7
	v_mov_b32_e32 v9, 0xffffff82
	v_cndmask_b32_e32 v7, v7, v9, vcc
	v_lshrrev_b32_e32 v9, 23, v26
	v_add3_u32 v9, v8, v7, v9
	v_add_u32_e32 v8, 6, v9
	v_and_b32_e32 v7, 0xfffff, v30
	v_add_u32_e32 v26, v7, v26
	v_mov_b32_e32 v27, v3
	v_cmp_ne_u32_e32 vcc, 0, v8
                                        ; implicit-def: $vgpr7
	s_and_saveexec_b64 s[18:19], vcc
	s_xor_b64 s[18:19], exec, s[18:19]
; %bb.4400:                             ;   in Loop: Header=BB6_3598 Depth=2
	v_cmp_lt_u64_e32 vcc, s[58:59], v[26:27]
	v_add_u32_e32 v7, 7, v9
	v_cndmask_b32_e32 v7, v8, v7, vcc
	v_cndmask_b32_e64 v8, 0, 1, vcc
	v_lshrrev_b64 v[26:27], v8, v[26:27]
; %bb.4401:                             ;   in Loop: Header=BB6_3598 Depth=2
	s_andn2_saveexec_b64 s[18:19], s[18:19]
; %bb.4402:                             ;   in Loop: Header=BB6_3598 Depth=2
	v_bfe_u32 v7, v26, 23, 1
; %bb.4403:                             ;   in Loop: Header=BB6_3598 Depth=2
	s_or_b64 exec, exec, s[18:19]
	v_lshrrev_b64 v[8:9], 20, v[26:27]
	v_cmp_gt_i32_e32 vcc, 16, v7
	v_cndmask_b32_e32 v9, 0, v9, vcc
	v_cndmask_b32_e32 v8, 7, v8, vcc
	v_cmp_eq_u32_e32 vcc, 0, v7
	v_min_i32_e32 v7, 15, v7
	v_cmp_eq_u64_e64 s[18:19], 0, v[8:9]
	v_lshlrev_b32_e32 v7, 3, v7
	v_and_b32_e32 v7, 0xf8, v7
	v_and_or_b32 v7, v8, 7, v7
	s_and_b64 s[18:19], vcc, s[18:19]
	v_cndmask_b32_e64 v7, v7, 0, s[18:19]
	v_or_b32_e32 v42, v7, v6
.LBB6_4404:                             ;   in Loop: Header=BB6_3598 Depth=2
	s_or_b64 exec, exec, s[88:89]
                                        ; implicit-def: $vgpr6
.LBB6_4405:                             ;   in Loop: Header=BB6_3598 Depth=2
	s_andn2_saveexec_b64 s[18:19], s[78:79]
; %bb.4406:                             ;   in Loop: Header=BB6_3598 Depth=2
	v_or_b32_e32 v42, 0x7e, v6
; %bb.4407:                             ;   in Loop: Header=BB6_3598 Depth=2
	s_or_b64 exec, exec, s[18:19]
                                        ; implicit-def: $vgpr7
.LBB6_4408:                             ;   in Loop: Header=BB6_3598 Depth=2
	s_andn2_saveexec_b64 s[18:19], s[76:77]
; %bb.4409:                             ;   in Loop: Header=BB6_3598 Depth=2
	v_or_b32_sdwa v42, v7, s50 dst_sel:DWORD dst_unused:UNUSED_PAD src0_sel:BYTE_3 src1_sel:DWORD
; %bb.4410:                             ;   in Loop: Header=BB6_3598 Depth=2
	s_or_b64 exec, exec, s[18:19]
	v_lshrrev_b16_e32 v26, 8, v2
	v_cmp_ne_u16_e32 vcc, 0, v26
	v_mov_b32_e32 v6, 0
	v_mov_b32_e32 v7, 0
	s_and_saveexec_b64 s[18:19], vcc
	s_cbranch_execz .LBB6_4416
; %bb.4411:                             ;   in Loop: Header=BB6_3598 Depth=2
	v_cmp_ne_u16_e32 vcc, s49, v26
	v_bfrev_b32_e32 v7, 1
	s_and_saveexec_b64 s[76:77], vcc
	s_cbranch_execz .LBB6_4415
; %bb.4412:                             ;   in Loop: Header=BB6_3598 Depth=2
	v_and_b32_e32 v8, 0x7f, v26
	v_cmp_ne_u32_e32 vcc, s50, v8
	v_mov_b32_e32 v7, 0x7f800001
	s_and_saveexec_b64 s[78:79], vcc
	s_cbranch_execz .LBB6_4414
; %bb.4413:                             ;   in Loop: Header=BB6_3598 Depth=2
	v_and_b32_e32 v9, 7, v26
	v_ffbh_u32_e32 v7, v9
	v_min_u32_e32 v30, 32, v7
	v_lshrrev_b32_e32 v27, 3, v8
	v_subrev_u32_e32 v7, 28, v30
	v_cmp_gt_u32_e32 vcc, 8, v8
	v_lshlrev_b64 v[7:8], v7, v[26:27]
	v_sub_u32_e32 v8, 29, v30
	v_and_b32_e32 v7, 7, v7
	v_cndmask_b32_e32 v8, v27, v8, vcc
	v_cndmask_b32_e32 v7, v9, v7, vcc
	v_lshlrev_b32_e32 v2, 16, v2
	v_lshlrev_b32_e32 v7, 20, v7
	v_and_b32_e32 v2, 0x80000000, v2
	v_lshl_add_u32 v8, v8, 23, v57
	v_or3_b32 v7, v2, v8, v7
.LBB6_4414:                             ;   in Loop: Header=BB6_3598 Depth=2
	s_or_b64 exec, exec, s[78:79]
.LBB6_4415:                             ;   in Loop: Header=BB6_3598 Depth=2
	s_or_b64 exec, exec, s[76:77]
.LBB6_4416:                             ;   in Loop: Header=BB6_3598 Depth=2
	s_or_b64 exec, exec, s[18:19]
	v_lshrrev_b16_e32 v2, 8, v29
	v_cmp_ne_u16_e32 vcc, 0, v2
	s_and_saveexec_b64 s[18:19], vcc
	s_cbranch_execz .LBB6_4422
; %bb.4417:                             ;   in Loop: Header=BB6_3598 Depth=2
	v_cmp_ne_u16_e32 vcc, s49, v2
	v_bfrev_b32_e32 v6, 1
	s_and_saveexec_b64 s[76:77], vcc
	s_cbranch_execz .LBB6_4421
; %bb.4418:                             ;   in Loop: Header=BB6_3598 Depth=2
	v_and_b32_e32 v8, 0x7f, v2
	v_cmp_ne_u32_e32 vcc, s50, v8
	v_mov_b32_e32 v6, 0x7f800001
	s_and_saveexec_b64 s[78:79], vcc
	s_cbranch_execz .LBB6_4420
; %bb.4419:                             ;   in Loop: Header=BB6_3598 Depth=2
	v_and_b32_e32 v6, 7, v2
	v_lshrrev_b32_e32 v26, 3, v8
	v_cmp_gt_u32_e32 vcc, 8, v8
	v_ffbh_u32_e32 v8, v6
	v_min_u32_e32 v27, 32, v8
	v_subrev_u32_e32 v8, 28, v27
	v_lshlrev_b64 v[8:9], v8, v[2:3]
	v_sub_u32_e32 v2, 29, v27
	v_and_b32_e32 v8, 7, v8
	v_cndmask_b32_e32 v2, v26, v2, vcc
	v_cndmask_b32_e32 v6, v6, v8, vcc
	v_lshlrev_b32_e32 v8, 16, v29
	v_lshlrev_b32_e32 v6, 20, v6
	v_and_b32_e32 v8, 0x80000000, v8
	v_lshl_add_u32 v2, v2, 23, v57
	v_or3_b32 v6, v8, v2, v6
.LBB6_4420:                             ;   in Loop: Header=BB6_3598 Depth=2
	s_or_b64 exec, exec, s[78:79]
.LBB6_4421:                             ;   in Loop: Header=BB6_3598 Depth=2
	s_or_b64 exec, exec, s[76:77]
.LBB6_4422:                             ;   in Loop: Header=BB6_3598 Depth=2
	s_or_b64 exec, exec, s[18:19]
	v_add_f32_e32 v7, v7, v6
	v_and_b32_e32 v2, 0x7f800000, v7
	v_cmp_ne_u64_e32 vcc, s[46:47], v[2:3]
                                        ; implicit-def: $vgpr38
	s_and_saveexec_b64 s[18:19], vcc
	s_xor_b64 s[76:77], exec, s[18:19]
	s_cbranch_execz .LBB6_4436
; %bb.4423:                             ;   in Loop: Header=BB6_3598 Depth=2
	v_and_b32_e32 v2, 0x7fffffff, v7
	v_cmp_gt_u64_e32 vcc, s[56:57], v[2:3]
	v_and_b32_sdwa v6, v7, s49 dst_sel:DWORD dst_unused:UNUSED_PAD src0_sel:BYTE_3 src1_sel:DWORD
                                        ; implicit-def: $vgpr38
	s_and_saveexec_b64 s[18:19], vcc
	s_xor_b64 s[78:79], exec, s[18:19]
	s_cbranch_execz .LBB6_4433
; %bb.4424:                             ;   in Loop: Header=BB6_3598 Depth=2
	v_mov_b32_e32 v38, 0
	v_cmp_ne_u32_e32 vcc, 0, v7
	s_and_saveexec_b64 s[88:89], vcc
	s_cbranch_execz .LBB6_4432
; %bb.4425:                             ;   in Loop: Header=BB6_3598 Depth=2
	v_and_b32_e32 v2, 0x7fffff, v7
	v_bfe_u32 v7, v7, 23, 8
	v_cmp_gt_u32_e64 s[18:19], s51, v7
	v_sub_u32_e32 v8, 0x79, v7
	v_cmp_eq_u32_e32 vcc, 0, v7
	v_cndmask_b32_e64 v8, 0, v8, s[18:19]
	v_mov_b32_e32 v26, 0x78
	v_or_b32_e32 v9, 0x800000, v2
	v_cndmask_b32_e32 v8, v8, v26, vcc
	v_cndmask_b32_e32 v2, v9, v2, vcc
	v_add_u32_e32 v9, 20, v8
	v_lshlrev_b64 v[26:27], v9, -1
	v_add_u32_e32 v9, 19, v8
	v_lshlrev_b64 v[30:31], v9, 1
	v_bfi_b32 v27, v27, 0, 0
	v_bfi_b32 v26, v26, 0, v2
	v_cmp_eq_u64_e64 s[18:19], v[26:27], v[30:31]
	v_lshrrev_b64 v[26:27], v8, v[2:3]
	v_mov_b32_e32 v31, v27
	v_mov_b32_e32 v30, v26
	s_and_saveexec_b64 s[90:91], s[18:19]
; %bb.4426:                             ;   in Loop: Header=BB6_3598 Depth=2
	v_bfe_u32 v2, v26, 20, 1
	v_add_co_u32_e64 v2, s[18:19], v26, v2
	v_add_co_u32_e64 v30, s[18:19], -1, v2
; %bb.4427:                             ;   in Loop: Header=BB6_3598 Depth=2
	s_or_b64 exec, exec, s[90:91]
	v_add_u32_e32 v2, 0xffffff81, v7
	v_mov_b32_e32 v7, 0xffffff82
	v_cndmask_b32_e32 v2, v2, v7, vcc
	v_lshrrev_b32_e32 v7, 23, v26
	v_add3_u32 v9, v8, v2, v7
	v_add_u32_e32 v8, 6, v9
	v_and_b32_e32 v2, 0xfffff, v30
	v_add_u32_e32 v2, v2, v26
	v_cmp_ne_u32_e32 vcc, 0, v8
                                        ; implicit-def: $vgpr26_vgpr27
                                        ; implicit-def: $vgpr7
	s_and_saveexec_b64 s[18:19], vcc
	s_xor_b64 s[18:19], exec, s[18:19]
; %bb.4428:                             ;   in Loop: Header=BB6_3598 Depth=2
	v_cmp_lt_u64_e32 vcc, s[58:59], v[2:3]
	v_add_u32_e32 v7, 7, v9
	v_cndmask_b32_e32 v7, v8, v7, vcc
	v_cndmask_b32_e64 v8, 0, 1, vcc
	v_lshrrev_b64 v[26:27], v8, v[2:3]
; %bb.4429:                             ;   in Loop: Header=BB6_3598 Depth=2
	s_andn2_saveexec_b64 s[18:19], s[18:19]
; %bb.4430:                             ;   in Loop: Header=BB6_3598 Depth=2
	v_mov_b32_e32 v27, v3
	v_bfe_u32 v7, v2, 23, 1
	v_mov_b32_e32 v26, v2
; %bb.4431:                             ;   in Loop: Header=BB6_3598 Depth=2
	s_or_b64 exec, exec, s[18:19]
	v_lshrrev_b64 v[8:9], 20, v[26:27]
	v_cmp_gt_i32_e32 vcc, 16, v7
	v_cndmask_b32_e32 v9, 0, v9, vcc
	v_cndmask_b32_e32 v8, 7, v8, vcc
	v_min_i32_e32 v2, 15, v7
	v_cmp_eq_u64_e64 s[18:19], 0, v[8:9]
	v_lshlrev_b32_e32 v2, 3, v2
	v_cmp_eq_u32_e32 vcc, 0, v7
	v_and_b32_e32 v2, 0xf8, v2
	v_and_or_b32 v2, v8, 7, v2
	s_and_b64 s[18:19], vcc, s[18:19]
	v_cndmask_b32_e64 v2, v2, 0, s[18:19]
	v_or_b32_e32 v38, v2, v6
.LBB6_4432:                             ;   in Loop: Header=BB6_3598 Depth=2
	s_or_b64 exec, exec, s[88:89]
                                        ; implicit-def: $vgpr6
.LBB6_4433:                             ;   in Loop: Header=BB6_3598 Depth=2
	s_andn2_saveexec_b64 s[18:19], s[78:79]
; %bb.4434:                             ;   in Loop: Header=BB6_3598 Depth=2
	v_or_b32_e32 v38, 0x7e, v6
; %bb.4435:                             ;   in Loop: Header=BB6_3598 Depth=2
	s_or_b64 exec, exec, s[18:19]
                                        ; implicit-def: $vgpr7
.LBB6_4436:                             ;   in Loop: Header=BB6_3598 Depth=2
	s_andn2_saveexec_b64 s[18:19], s[76:77]
; %bb.4437:                             ;   in Loop: Header=BB6_3598 Depth=2
	v_or_b32_sdwa v38, v7, s50 dst_sel:DWORD dst_unused:UNUSED_PAD src0_sel:BYTE_3 src1_sel:DWORD
; %bb.4438:                             ;   in Loop: Header=BB6_3598 Depth=2
	s_or_b64 exec, exec, s[18:19]
	v_lshrrev_b32_e32 v2, 16, v35
	v_cmp_ne_u16_sdwa s[76:77], v2, v3 src0_sel:BYTE_0 src1_sel:DWORD
	v_mov_b32_e32 v6, 0
	v_mov_b32_e32 v7, 0
	s_and_saveexec_b64 s[18:19], s[76:77]
	s_cbranch_execz .LBB6_4444
; %bb.4439:                             ;   in Loop: Header=BB6_3598 Depth=2
	v_cmp_ne_u16_sdwa s[78:79], v2, s49 src0_sel:BYTE_0 src1_sel:DWORD
	v_bfrev_b32_e32 v7, 1
	s_and_saveexec_b64 s[76:77], s[78:79]
	s_cbranch_execz .LBB6_4443
; %bb.4440:                             ;   in Loop: Header=BB6_3598 Depth=2
	v_bfe_u32 v8, v35, 16, 7
	v_cmp_ne_u32_e32 vcc, s50, v8
	v_mov_b32_e32 v7, 0x7f800001
	s_and_saveexec_b64 s[78:79], vcc
	s_cbranch_execz .LBB6_4442
; %bb.4441:                             ;   in Loop: Header=BB6_3598 Depth=2
	v_and_b32_e32 v9, 7, v2
	v_ffbh_u32_e32 v7, v9
	v_min_u32_e32 v27, 32, v7
	v_subrev_u32_e32 v7, 28, v27
	v_lshrrev_b32_e32 v26, 3, v8
	v_cmp_gt_u32_e32 vcc, 8, v8
	v_lshlrev_b64 v[7:8], v7, v[2:3]
	v_sub_u32_e32 v8, 29, v27
	v_and_b32_e32 v7, 7, v7
	v_cndmask_b32_e32 v8, v26, v8, vcc
	v_cndmask_b32_e32 v7, v9, v7, vcc
	v_lshlrev_b32_e32 v2, 24, v2
	v_lshlrev_b32_e32 v7, 20, v7
	v_and_b32_e32 v2, 0x80000000, v2
	v_lshl_add_u32 v8, v8, 23, v57
	v_or3_b32 v7, v2, v8, v7
.LBB6_4442:                             ;   in Loop: Header=BB6_3598 Depth=2
	s_or_b64 exec, exec, s[78:79]
.LBB6_4443:                             ;   in Loop: Header=BB6_3598 Depth=2
	s_or_b64 exec, exec, s[76:77]
.LBB6_4444:                             ;   in Loop: Header=BB6_3598 Depth=2
	s_or_b64 exec, exec, s[18:19]
	v_lshrrev_b32_e32 v2, 16, v29
	v_cmp_ne_u16_sdwa s[76:77], v2, v3 src0_sel:BYTE_0 src1_sel:DWORD
	s_and_saveexec_b64 s[18:19], s[76:77]
	s_cbranch_execz .LBB6_4450
; %bb.4445:                             ;   in Loop: Header=BB6_3598 Depth=2
	v_cmp_ne_u16_sdwa s[78:79], v2, s49 src0_sel:BYTE_0 src1_sel:DWORD
	v_bfrev_b32_e32 v6, 1
	s_and_saveexec_b64 s[76:77], s[78:79]
	s_cbranch_execz .LBB6_4449
; %bb.4446:                             ;   in Loop: Header=BB6_3598 Depth=2
	v_bfe_u32 v8, v29, 16, 7
	v_cmp_ne_u32_e32 vcc, s50, v8
	v_mov_b32_e32 v6, 0x7f800001
	s_and_saveexec_b64 s[78:79], vcc
	s_cbranch_execz .LBB6_4448
; %bb.4447:                             ;   in Loop: Header=BB6_3598 Depth=2
	v_and_b32_e32 v6, 7, v2
	v_lshrrev_b32_e32 v26, 3, v8
	v_cmp_gt_u32_e32 vcc, 8, v8
	v_ffbh_u32_e32 v8, v6
	v_min_u32_e32 v27, 32, v8
	v_subrev_u32_e32 v8, 28, v27
	v_lshlrev_b64 v[8:9], v8, v[2:3]
	v_sub_u32_e32 v2, 29, v27
	v_and_b32_e32 v8, 7, v8
	v_cndmask_b32_e32 v2, v26, v2, vcc
	v_cndmask_b32_e32 v6, v6, v8, vcc
	v_lshlrev_b32_e32 v8, 8, v29
	v_lshlrev_b32_e32 v6, 20, v6
	v_and_b32_e32 v8, 0x80000000, v8
	v_lshl_add_u32 v2, v2, 23, v57
	v_or3_b32 v6, v8, v2, v6
.LBB6_4448:                             ;   in Loop: Header=BB6_3598 Depth=2
	s_or_b64 exec, exec, s[78:79]
.LBB6_4449:                             ;   in Loop: Header=BB6_3598 Depth=2
	s_or_b64 exec, exec, s[76:77]
.LBB6_4450:                             ;   in Loop: Header=BB6_3598 Depth=2
	s_or_b64 exec, exec, s[18:19]
	v_add_f32_e32 v7, v7, v6
	v_and_b32_e32 v2, 0x7f800000, v7
	v_cmp_ne_u64_e32 vcc, s[46:47], v[2:3]
                                        ; implicit-def: $vgpr30
	s_and_saveexec_b64 s[18:19], vcc
	s_xor_b64 s[76:77], exec, s[18:19]
	s_cbranch_execz .LBB6_4464
; %bb.4451:                             ;   in Loop: Header=BB6_3598 Depth=2
	v_and_b32_e32 v2, 0x7fffffff, v7
	v_cmp_gt_u64_e32 vcc, s[56:57], v[2:3]
	v_and_b32_sdwa v6, v7, s49 dst_sel:DWORD dst_unused:UNUSED_PAD src0_sel:BYTE_3 src1_sel:DWORD
                                        ; implicit-def: $vgpr30
	s_and_saveexec_b64 s[18:19], vcc
	s_xor_b64 s[78:79], exec, s[18:19]
	s_cbranch_execz .LBB6_4461
; %bb.4452:                             ;   in Loop: Header=BB6_3598 Depth=2
	v_mov_b32_e32 v30, 0
	v_cmp_ne_u32_e32 vcc, 0, v7
	s_and_saveexec_b64 s[88:89], vcc
	s_cbranch_execz .LBB6_4460
; %bb.4453:                             ;   in Loop: Header=BB6_3598 Depth=2
	v_and_b32_e32 v2, 0x7fffff, v7
	v_bfe_u32 v7, v7, 23, 8
	v_cmp_gt_u32_e64 s[18:19], s51, v7
	v_sub_u32_e32 v8, 0x79, v7
	v_cmp_eq_u32_e32 vcc, 0, v7
	v_cndmask_b32_e64 v8, 0, v8, s[18:19]
	v_mov_b32_e32 v26, 0x78
	v_or_b32_e32 v9, 0x800000, v2
	v_cndmask_b32_e32 v8, v8, v26, vcc
	v_cndmask_b32_e32 v2, v9, v2, vcc
	v_add_u32_e32 v9, 20, v8
	v_lshlrev_b64 v[26:27], v9, -1
	v_add_u32_e32 v9, 19, v8
	v_lshlrev_b64 v[30:31], v9, 1
	v_bfi_b32 v27, v27, 0, 0
	v_bfi_b32 v26, v26, 0, v2
	v_cmp_eq_u64_e64 s[18:19], v[26:27], v[30:31]
	v_lshrrev_b64 v[26:27], v8, v[2:3]
	v_mov_b32_e32 v31, v27
	v_mov_b32_e32 v30, v26
	s_and_saveexec_b64 s[90:91], s[18:19]
; %bb.4454:                             ;   in Loop: Header=BB6_3598 Depth=2
	v_bfe_u32 v2, v26, 20, 1
	v_add_co_u32_e64 v2, s[18:19], v26, v2
	v_add_co_u32_e64 v30, s[18:19], -1, v2
; %bb.4455:                             ;   in Loop: Header=BB6_3598 Depth=2
	s_or_b64 exec, exec, s[90:91]
	v_add_u32_e32 v2, 0xffffff81, v7
	v_mov_b32_e32 v7, 0xffffff82
	v_cndmask_b32_e32 v2, v2, v7, vcc
	v_lshrrev_b32_e32 v7, 23, v26
	v_add3_u32 v9, v8, v2, v7
	v_add_u32_e32 v8, 6, v9
	v_and_b32_e32 v2, 0xfffff, v30
	v_add_u32_e32 v2, v2, v26
	v_cmp_ne_u32_e32 vcc, 0, v8
                                        ; implicit-def: $vgpr26_vgpr27
                                        ; implicit-def: $vgpr7
	s_and_saveexec_b64 s[18:19], vcc
	s_xor_b64 s[18:19], exec, s[18:19]
; %bb.4456:                             ;   in Loop: Header=BB6_3598 Depth=2
	v_cmp_lt_u64_e32 vcc, s[58:59], v[2:3]
	v_add_u32_e32 v7, 7, v9
	v_cndmask_b32_e32 v7, v8, v7, vcc
	v_cndmask_b32_e64 v8, 0, 1, vcc
	v_lshrrev_b64 v[26:27], v8, v[2:3]
; %bb.4457:                             ;   in Loop: Header=BB6_3598 Depth=2
	s_andn2_saveexec_b64 s[18:19], s[18:19]
; %bb.4458:                             ;   in Loop: Header=BB6_3598 Depth=2
	v_mov_b32_e32 v27, v3
	v_bfe_u32 v7, v2, 23, 1
	v_mov_b32_e32 v26, v2
; %bb.4459:                             ;   in Loop: Header=BB6_3598 Depth=2
	s_or_b64 exec, exec, s[18:19]
	v_lshrrev_b64 v[8:9], 20, v[26:27]
	v_cmp_gt_i32_e32 vcc, 16, v7
	v_cndmask_b32_e32 v9, 0, v9, vcc
	v_cndmask_b32_e32 v8, 7, v8, vcc
	v_min_i32_e32 v2, 15, v7
	v_cmp_eq_u64_e64 s[18:19], 0, v[8:9]
	v_lshlrev_b32_e32 v2, 3, v2
	v_cmp_eq_u32_e32 vcc, 0, v7
	v_and_b32_e32 v2, 0xf8, v2
	v_and_or_b32 v2, v8, 7, v2
	s_and_b64 s[18:19], vcc, s[18:19]
	v_cndmask_b32_e64 v2, v2, 0, s[18:19]
	v_or_b32_e32 v30, v2, v6
.LBB6_4460:                             ;   in Loop: Header=BB6_3598 Depth=2
	s_or_b64 exec, exec, s[88:89]
                                        ; implicit-def: $vgpr6
.LBB6_4461:                             ;   in Loop: Header=BB6_3598 Depth=2
	s_andn2_saveexec_b64 s[18:19], s[78:79]
; %bb.4462:                             ;   in Loop: Header=BB6_3598 Depth=2
	v_or_b32_e32 v30, 0x7e, v6
; %bb.4463:                             ;   in Loop: Header=BB6_3598 Depth=2
	s_or_b64 exec, exec, s[18:19]
                                        ; implicit-def: $vgpr7
.LBB6_4464:                             ;   in Loop: Header=BB6_3598 Depth=2
	s_andn2_saveexec_b64 s[18:19], s[76:77]
; %bb.4465:                             ;   in Loop: Header=BB6_3598 Depth=2
	v_or_b32_sdwa v30, v7, s50 dst_sel:DWORD dst_unused:UNUSED_PAD src0_sel:BYTE_3 src1_sel:DWORD
; %bb.4466:                             ;   in Loop: Header=BB6_3598 Depth=2
	s_or_b64 exec, exec, s[18:19]
	v_cmp_lt_u64_e32 vcc, s[60:61], v[34:35]
	v_mov_b32_e32 v6, 0
	v_mov_b32_e32 v7, 0
	s_and_saveexec_b64 s[18:19], vcc
	s_cbranch_execz .LBB6_4472
; %bb.4467:                             ;   in Loop: Header=BB6_3598 Depth=2
	v_lshrrev_b32_e32 v2, 24, v35
	v_cmp_ne_u32_e32 vcc, s49, v2
	v_bfrev_b32_e32 v7, 1
	s_and_saveexec_b64 s[76:77], vcc
	s_cbranch_execz .LBB6_4471
; %bb.4468:                             ;   in Loop: Header=BB6_3598 Depth=2
	v_bfe_u32 v8, v35, 24, 7
	v_cmp_ne_u32_e32 vcc, s50, v8
	v_mov_b32_e32 v7, 0x7f800001
	s_and_saveexec_b64 s[78:79], vcc
	s_cbranch_execz .LBB6_4470
; %bb.4469:                             ;   in Loop: Header=BB6_3598 Depth=2
	v_and_b32_e32 v9, 7, v2
	v_ffbh_u32_e32 v7, v9
	v_min_u32_e32 v27, 32, v7
	v_subrev_u32_e32 v7, 28, v27
	v_lshrrev_b32_e32 v26, 3, v8
	v_cmp_gt_u32_e32 vcc, 8, v8
	v_lshlrev_b64 v[7:8], v7, v[2:3]
	v_sub_u32_e32 v8, 29, v27
	v_and_b32_e32 v7, 7, v7
	v_cndmask_b32_e32 v8, v26, v8, vcc
	v_cndmask_b32_e32 v7, v9, v7, vcc
	v_lshlrev_b32_e32 v2, 24, v2
	v_lshlrev_b32_e32 v7, 20, v7
	v_and_b32_e32 v2, 0x80000000, v2
	v_lshl_add_u32 v8, v8, 23, v57
	v_or3_b32 v7, v2, v8, v7
.LBB6_4470:                             ;   in Loop: Header=BB6_3598 Depth=2
	s_or_b64 exec, exec, s[78:79]
.LBB6_4471:                             ;   in Loop: Header=BB6_3598 Depth=2
	s_or_b64 exec, exec, s[76:77]
.LBB6_4472:                             ;   in Loop: Header=BB6_3598 Depth=2
	s_or_b64 exec, exec, s[18:19]
	v_cmp_lt_u64_e32 vcc, s[60:61], v[28:29]
	s_and_saveexec_b64 s[18:19], vcc
	s_cbranch_execz .LBB6_4478
; %bb.4473:                             ;   in Loop: Header=BB6_3598 Depth=2
	v_lshrrev_b32_e32 v2, 24, v29
	v_cmp_ne_u32_e32 vcc, s49, v2
	v_bfrev_b32_e32 v6, 1
	s_and_saveexec_b64 s[76:77], vcc
	s_cbranch_execz .LBB6_4477
; %bb.4474:                             ;   in Loop: Header=BB6_3598 Depth=2
	v_bfe_u32 v8, v29, 24, 7
	v_cmp_ne_u32_e32 vcc, s50, v8
	v_mov_b32_e32 v6, 0x7f800001
	s_and_saveexec_b64 s[78:79], vcc
	s_cbranch_execz .LBB6_4476
; %bb.4475:                             ;   in Loop: Header=BB6_3598 Depth=2
	v_and_b32_e32 v6, 7, v2
	v_lshrrev_b32_e32 v26, 3, v8
	v_cmp_gt_u32_e32 vcc, 8, v8
	v_ffbh_u32_e32 v8, v6
	v_min_u32_e32 v27, 32, v8
	v_subrev_u32_e32 v8, 28, v27
	v_lshlrev_b64 v[8:9], v8, v[2:3]
	v_sub_u32_e32 v9, 29, v27
	v_and_b32_e32 v8, 7, v8
	v_cndmask_b32_e32 v9, v26, v9, vcc
	v_cndmask_b32_e32 v6, v6, v8, vcc
	v_lshlrev_b32_e32 v2, 24, v2
	v_lshlrev_b32_e32 v6, 20, v6
	v_and_b32_e32 v2, 0x80000000, v2
	v_lshl_add_u32 v8, v9, 23, v57
	v_or3_b32 v6, v2, v8, v6
.LBB6_4476:                             ;   in Loop: Header=BB6_3598 Depth=2
	s_or_b64 exec, exec, s[78:79]
.LBB6_4477:                             ;   in Loop: Header=BB6_3598 Depth=2
	s_or_b64 exec, exec, s[76:77]
.LBB6_4478:                             ;   in Loop: Header=BB6_3598 Depth=2
	s_or_b64 exec, exec, s[18:19]
	v_add_f32_e32 v7, v7, v6
	v_and_b32_e32 v2, 0x7f800000, v7
	v_cmp_ne_u64_e32 vcc, s[46:47], v[2:3]
                                        ; implicit-def: $vgpr29
	s_and_saveexec_b64 s[18:19], vcc
	s_xor_b64 s[76:77], exec, s[18:19]
	s_cbranch_execz .LBB6_4492
; %bb.4479:                             ;   in Loop: Header=BB6_3598 Depth=2
	v_and_b32_e32 v2, 0x7fffffff, v7
	v_cmp_gt_u64_e32 vcc, s[56:57], v[2:3]
	v_and_b32_sdwa v6, v7, s49 dst_sel:DWORD dst_unused:UNUSED_PAD src0_sel:BYTE_3 src1_sel:DWORD
                                        ; implicit-def: $vgpr29
	s_and_saveexec_b64 s[18:19], vcc
	s_xor_b64 s[78:79], exec, s[18:19]
	s_cbranch_execz .LBB6_4489
; %bb.4480:                             ;   in Loop: Header=BB6_3598 Depth=2
	v_mov_b32_e32 v29, 0
	v_cmp_ne_u32_e32 vcc, 0, v7
	s_and_saveexec_b64 s[88:89], vcc
	s_cbranch_execz .LBB6_4488
; %bb.4481:                             ;   in Loop: Header=BB6_3598 Depth=2
	v_and_b32_e32 v2, 0x7fffff, v7
	v_bfe_u32 v7, v7, 23, 8
	v_cmp_gt_u32_e64 s[18:19], s51, v7
	v_sub_u32_e32 v8, 0x79, v7
	v_cmp_eq_u32_e32 vcc, 0, v7
	v_cndmask_b32_e64 v8, 0, v8, s[18:19]
	v_mov_b32_e32 v26, 0x78
	v_or_b32_e32 v9, 0x800000, v2
	v_cndmask_b32_e32 v8, v8, v26, vcc
	v_cndmask_b32_e32 v2, v9, v2, vcc
	v_add_u32_e32 v9, 20, v8
	v_lshlrev_b64 v[26:27], v9, -1
	v_add_u32_e32 v9, 19, v8
	v_lshlrev_b64 v[28:29], v9, 1
	v_bfi_b32 v27, v27, 0, 0
	v_bfi_b32 v26, v26, 0, v2
	v_cmp_eq_u64_e64 s[18:19], v[26:27], v[28:29]
	v_lshrrev_b64 v[26:27], v8, v[2:3]
	v_mov_b32_e32 v28, v27
	v_mov_b32_e32 v27, v26
	s_and_saveexec_b64 s[90:91], s[18:19]
; %bb.4482:                             ;   in Loop: Header=BB6_3598 Depth=2
	v_bfe_u32 v2, v26, 20, 1
	v_add_co_u32_e64 v2, s[18:19], v26, v2
	v_add_co_u32_e64 v27, s[18:19], -1, v2
; %bb.4483:                             ;   in Loop: Header=BB6_3598 Depth=2
	s_or_b64 exec, exec, s[90:91]
	v_add_u32_e32 v2, 0xffffff81, v7
	v_mov_b32_e32 v7, 0xffffff82
	v_cndmask_b32_e32 v2, v2, v7, vcc
	v_lshrrev_b32_e32 v7, 23, v26
	v_add3_u32 v9, v8, v2, v7
	v_add_u32_e32 v8, 6, v9
	v_and_b32_e32 v2, 0xfffff, v27
	v_add_u32_e32 v2, v2, v26
	v_cmp_ne_u32_e32 vcc, 0, v8
                                        ; implicit-def: $vgpr26_vgpr27
                                        ; implicit-def: $vgpr7
	s_and_saveexec_b64 s[18:19], vcc
	s_xor_b64 s[18:19], exec, s[18:19]
; %bb.4484:                             ;   in Loop: Header=BB6_3598 Depth=2
	v_cmp_lt_u64_e32 vcc, s[58:59], v[2:3]
	v_add_u32_e32 v7, 7, v9
	v_cndmask_b32_e32 v7, v8, v7, vcc
	v_cndmask_b32_e64 v8, 0, 1, vcc
	v_lshrrev_b64 v[26:27], v8, v[2:3]
; %bb.4485:                             ;   in Loop: Header=BB6_3598 Depth=2
	s_andn2_saveexec_b64 s[18:19], s[18:19]
; %bb.4486:                             ;   in Loop: Header=BB6_3598 Depth=2
	v_mov_b32_e32 v27, v3
	v_bfe_u32 v7, v2, 23, 1
	v_mov_b32_e32 v26, v2
; %bb.4487:                             ;   in Loop: Header=BB6_3598 Depth=2
	s_or_b64 exec, exec, s[18:19]
	v_lshrrev_b64 v[8:9], 20, v[26:27]
	v_cmp_gt_i32_e32 vcc, 16, v7
	v_cndmask_b32_e32 v9, 0, v9, vcc
	v_cndmask_b32_e32 v8, 7, v8, vcc
	v_min_i32_e32 v2, 15, v7
	v_cmp_eq_u64_e64 s[18:19], 0, v[8:9]
	v_lshlrev_b32_e32 v2, 3, v2
	v_cmp_eq_u32_e32 vcc, 0, v7
	v_and_b32_e32 v2, 0xf8, v2
	v_and_or_b32 v2, v8, 7, v2
	s_and_b64 s[18:19], vcc, s[18:19]
	v_cndmask_b32_e64 v2, v2, 0, s[18:19]
	v_or_b32_e32 v29, v2, v6
.LBB6_4488:                             ;   in Loop: Header=BB6_3598 Depth=2
	s_or_b64 exec, exec, s[88:89]
                                        ; implicit-def: $vgpr6
.LBB6_4489:                             ;   in Loop: Header=BB6_3598 Depth=2
	s_andn2_saveexec_b64 s[18:19], s[78:79]
; %bb.4490:                             ;   in Loop: Header=BB6_3598 Depth=2
	v_or_b32_e32 v29, 0x7e, v6
; %bb.4491:                             ;   in Loop: Header=BB6_3598 Depth=2
	s_or_b64 exec, exec, s[18:19]
                                        ; implicit-def: $vgpr7
.LBB6_4492:                             ;   in Loop: Header=BB6_3598 Depth=2
	s_andn2_saveexec_b64 s[18:19], s[76:77]
; %bb.4493:                             ;   in Loop: Header=BB6_3598 Depth=2
	v_or_b32_sdwa v29, v7, s50 dst_sel:DWORD dst_unused:UNUSED_PAD src0_sel:BYTE_3 src1_sel:DWORD
; %bb.4494:                             ;   in Loop: Header=BB6_3598 Depth=2
	s_or_b64 exec, exec, s[18:19]
	v_cmp_ne_u16_sdwa s[76:77], v22, v3 src0_sel:BYTE_0 src1_sel:DWORD
	v_mov_b32_e32 v2, 0
	v_mov_b32_e32 v6, 0
	s_and_saveexec_b64 s[18:19], s[76:77]
	s_cbranch_execz .LBB6_4500
; %bb.4495:                             ;   in Loop: Header=BB6_3598 Depth=2
	v_cmp_ne_u16_sdwa s[78:79], v22, s49 src0_sel:BYTE_0 src1_sel:DWORD
	v_bfrev_b32_e32 v6, 1
	s_and_saveexec_b64 s[76:77], s[78:79]
	s_cbranch_execz .LBB6_4499
; %bb.4496:                             ;   in Loop: Header=BB6_3598 Depth=2
	v_and_b32_e32 v7, 0x7f, v22
	v_cmp_ne_u32_e32 vcc, s50, v7
	v_mov_b32_e32 v6, 0x7f800001
	s_and_saveexec_b64 s[78:79], vcc
	s_cbranch_execz .LBB6_4498
; %bb.4497:                             ;   in Loop: Header=BB6_3598 Depth=2
	v_and_b32_e32 v6, 7, v22
	v_ffbh_u32_e32 v6, v6
	v_min_u32_e32 v6, 32, v6
	v_lshrrev_b32_e32 v8, 3, v7
	v_cmp_gt_u32_e32 vcc, 8, v7
	v_subrev_u32_e32 v7, 28, v6
	v_sub_u32_e32 v6, 29, v6
	v_cndmask_b32_e32 v8, v8, v6, vcc
	v_cndmask_b32_e32 v6, 0, v7, vcc
	v_lshlrev_b64 v[6:7], v6, v[22:23]
	v_lshlrev_b32_e32 v7, 24, v22
	v_lshlrev_b32_e32 v6, 20, v6
	v_and_b32_e32 v6, 0x700000, v6
	v_and_b32_e32 v7, 0x80000000, v7
	v_lshl_add_u32 v8, v8, 23, v57
	v_or3_b32 v6, v7, v8, v6
.LBB6_4498:                             ;   in Loop: Header=BB6_3598 Depth=2
	s_or_b64 exec, exec, s[78:79]
.LBB6_4499:                             ;   in Loop: Header=BB6_3598 Depth=2
	s_or_b64 exec, exec, s[76:77]
.LBB6_4500:                             ;   in Loop: Header=BB6_3598 Depth=2
	s_or_b64 exec, exec, s[18:19]
	s_waitcnt vmcnt(1)
	v_cmp_ne_u16_sdwa s[76:77], v18, v3 src0_sel:BYTE_0 src1_sel:DWORD
	s_and_saveexec_b64 s[18:19], s[76:77]
	s_cbranch_execz .LBB6_4506
; %bb.4501:                             ;   in Loop: Header=BB6_3598 Depth=2
	v_cmp_ne_u16_sdwa s[78:79], v18, s49 src0_sel:BYTE_0 src1_sel:DWORD
	v_bfrev_b32_e32 v2, 1
	s_and_saveexec_b64 s[76:77], s[78:79]
	s_cbranch_execz .LBB6_4505
; %bb.4502:                             ;   in Loop: Header=BB6_3598 Depth=2
	v_and_b32_e32 v7, 0x7f, v18
	v_cmp_ne_u32_e32 vcc, s50, v7
	v_mov_b32_e32 v2, 0x7f800001
	s_and_saveexec_b64 s[78:79], vcc
	s_cbranch_execz .LBB6_4504
; %bb.4503:                             ;   in Loop: Header=BB6_3598 Depth=2
	v_and_b32_e32 v2, 7, v18
	v_ffbh_u32_e32 v2, v2
	v_min_u32_e32 v2, 32, v2
	v_lshrrev_b32_e32 v8, 3, v7
	v_cmp_gt_u32_e32 vcc, 8, v7
	v_subrev_u32_e32 v7, 28, v2
	v_sub_u32_e32 v2, 29, v2
	v_cndmask_b32_e32 v7, 0, v7, vcc
	v_cndmask_b32_e32 v2, v8, v2, vcc
	v_lshlrev_b64 v[7:8], v7, v[18:19]
	v_lshlrev_b32_e32 v8, 24, v18
	v_lshlrev_b32_e32 v7, 20, v7
	v_and_b32_e32 v7, 0x700000, v7
	v_and_b32_e32 v8, 0x80000000, v8
	v_lshl_add_u32 v2, v2, 23, v57
	v_or3_b32 v2, v8, v2, v7
.LBB6_4504:                             ;   in Loop: Header=BB6_3598 Depth=2
	s_or_b64 exec, exec, s[78:79]
.LBB6_4505:                             ;   in Loop: Header=BB6_3598 Depth=2
	s_or_b64 exec, exec, s[76:77]
.LBB6_4506:                             ;   in Loop: Header=BB6_3598 Depth=2
	s_or_b64 exec, exec, s[18:19]
	v_add_f32_e32 v7, v6, v2
	v_and_b32_e32 v2, 0x7f800000, v7
	v_cmp_ne_u64_e32 vcc, s[46:47], v[2:3]
                                        ; implicit-def: $vgpr31
	s_and_saveexec_b64 s[18:19], vcc
	s_xor_b64 s[76:77], exec, s[18:19]
	s_cbranch_execz .LBB6_4520
; %bb.4507:                             ;   in Loop: Header=BB6_3598 Depth=2
	v_and_b32_e32 v2, 0x7fffffff, v7
	v_cmp_gt_u64_e32 vcc, s[56:57], v[2:3]
	v_and_b32_sdwa v6, v7, s49 dst_sel:DWORD dst_unused:UNUSED_PAD src0_sel:BYTE_3 src1_sel:DWORD
                                        ; implicit-def: $vgpr31
	s_and_saveexec_b64 s[18:19], vcc
	s_xor_b64 s[78:79], exec, s[18:19]
	s_cbranch_execz .LBB6_4517
; %bb.4508:                             ;   in Loop: Header=BB6_3598 Depth=2
	v_mov_b32_e32 v31, 0
	v_cmp_ne_u32_e32 vcc, 0, v7
	s_and_saveexec_b64 s[88:89], vcc
	s_cbranch_execz .LBB6_4516
; %bb.4509:                             ;   in Loop: Header=BB6_3598 Depth=2
	v_and_b32_e32 v2, 0x7fffff, v7
	v_bfe_u32 v7, v7, 23, 8
	v_cmp_gt_u32_e64 s[18:19], s51, v7
	v_sub_u32_e32 v8, 0x79, v7
	v_cmp_eq_u32_e32 vcc, 0, v7
	v_cndmask_b32_e64 v8, 0, v8, s[18:19]
	v_mov_b32_e32 v26, 0x78
	v_or_b32_e32 v9, 0x800000, v2
	v_cndmask_b32_e32 v8, v8, v26, vcc
	v_cndmask_b32_e32 v2, v9, v2, vcc
	v_add_u32_e32 v9, 20, v8
	v_lshlrev_b64 v[26:27], v9, -1
	v_add_u32_e32 v9, 19, v8
	v_lshlrev_b64 v[34:35], v9, 1
	v_bfi_b32 v27, v27, 0, 0
	v_bfi_b32 v26, v26, 0, v2
	v_cmp_eq_u64_e64 s[18:19], v[26:27], v[34:35]
	v_lshrrev_b64 v[26:27], v8, v[2:3]
	v_mov_b32_e32 v28, v27
	v_mov_b32_e32 v27, v26
	s_and_saveexec_b64 s[90:91], s[18:19]
; %bb.4510:                             ;   in Loop: Header=BB6_3598 Depth=2
	v_bfe_u32 v2, v26, 20, 1
	v_add_co_u32_e64 v2, s[18:19], v26, v2
	v_add_co_u32_e64 v27, s[18:19], -1, v2
; %bb.4511:                             ;   in Loop: Header=BB6_3598 Depth=2
	s_or_b64 exec, exec, s[90:91]
	v_add_u32_e32 v2, 0xffffff81, v7
	v_mov_b32_e32 v7, 0xffffff82
	v_cndmask_b32_e32 v2, v2, v7, vcc
	v_lshrrev_b32_e32 v7, 23, v26
	v_add3_u32 v9, v8, v2, v7
	v_add_u32_e32 v8, 6, v9
	v_and_b32_e32 v2, 0xfffff, v27
	v_add_u32_e32 v2, v2, v26
	v_cmp_ne_u32_e32 vcc, 0, v8
                                        ; implicit-def: $vgpr26_vgpr27
                                        ; implicit-def: $vgpr7
	s_and_saveexec_b64 s[18:19], vcc
	s_xor_b64 s[18:19], exec, s[18:19]
; %bb.4512:                             ;   in Loop: Header=BB6_3598 Depth=2
	v_cmp_lt_u64_e32 vcc, s[58:59], v[2:3]
	v_add_u32_e32 v7, 7, v9
	v_cndmask_b32_e32 v7, v8, v7, vcc
	v_cndmask_b32_e64 v8, 0, 1, vcc
	v_lshrrev_b64 v[26:27], v8, v[2:3]
; %bb.4513:                             ;   in Loop: Header=BB6_3598 Depth=2
	s_andn2_saveexec_b64 s[18:19], s[18:19]
; %bb.4514:                             ;   in Loop: Header=BB6_3598 Depth=2
	v_mov_b32_e32 v27, v3
	v_bfe_u32 v7, v2, 23, 1
	v_mov_b32_e32 v26, v2
; %bb.4515:                             ;   in Loop: Header=BB6_3598 Depth=2
	s_or_b64 exec, exec, s[18:19]
	v_lshrrev_b64 v[8:9], 20, v[26:27]
	v_cmp_gt_i32_e32 vcc, 16, v7
	v_cndmask_b32_e32 v9, 0, v9, vcc
	v_cndmask_b32_e32 v8, 7, v8, vcc
	v_min_i32_e32 v2, 15, v7
	v_cmp_eq_u64_e64 s[18:19], 0, v[8:9]
	v_lshlrev_b32_e32 v2, 3, v2
	v_cmp_eq_u32_e32 vcc, 0, v7
	v_and_b32_e32 v2, 0xf8, v2
	v_and_or_b32 v2, v8, 7, v2
	s_and_b64 s[18:19], vcc, s[18:19]
	v_cndmask_b32_e64 v2, v2, 0, s[18:19]
	v_or_b32_e32 v31, v2, v6
.LBB6_4516:                             ;   in Loop: Header=BB6_3598 Depth=2
	s_or_b64 exec, exec, s[88:89]
                                        ; implicit-def: $vgpr6
.LBB6_4517:                             ;   in Loop: Header=BB6_3598 Depth=2
	s_andn2_saveexec_b64 s[18:19], s[78:79]
; %bb.4518:                             ;   in Loop: Header=BB6_3598 Depth=2
	v_or_b32_e32 v31, 0x7e, v6
; %bb.4519:                             ;   in Loop: Header=BB6_3598 Depth=2
	s_or_b64 exec, exec, s[18:19]
                                        ; implicit-def: $vgpr7
.LBB6_4520:                             ;   in Loop: Header=BB6_3598 Depth=2
	s_andn2_saveexec_b64 s[18:19], s[76:77]
; %bb.4521:                             ;   in Loop: Header=BB6_3598 Depth=2
	v_or_b32_sdwa v31, v7, s50 dst_sel:DWORD dst_unused:UNUSED_PAD src0_sel:BYTE_3 src1_sel:DWORD
; %bb.4522:                             ;   in Loop: Header=BB6_3598 Depth=2
	s_or_b64 exec, exec, s[18:19]
	v_lshrrev_b16_e32 v2, 8, v22
	v_cmp_ne_u16_e32 vcc, 0, v2
	v_mov_b32_e32 v6, 0
	v_mov_b32_e32 v7, 0
	s_and_saveexec_b64 s[18:19], vcc
	s_cbranch_execz .LBB6_4528
; %bb.4523:                             ;   in Loop: Header=BB6_3598 Depth=2
	v_cmp_ne_u16_e32 vcc, s49, v2
	v_bfrev_b32_e32 v7, 1
	s_and_saveexec_b64 s[76:77], vcc
	s_cbranch_execz .LBB6_4527
; %bb.4524:                             ;   in Loop: Header=BB6_3598 Depth=2
	v_and_b32_e32 v8, 0x7f, v2
	v_cmp_ne_u32_e32 vcc, s50, v8
	v_mov_b32_e32 v7, 0x7f800001
	s_and_saveexec_b64 s[78:79], vcc
	s_cbranch_execz .LBB6_4526
; %bb.4525:                             ;   in Loop: Header=BB6_3598 Depth=2
	v_and_b32_e32 v9, 7, v2
	v_ffbh_u32_e32 v7, v9
	v_min_u32_e32 v27, 32, v7
	v_subrev_u32_e32 v7, 28, v27
	v_lshrrev_b32_e32 v26, 3, v8
	v_cmp_gt_u32_e32 vcc, 8, v8
	v_lshlrev_b64 v[7:8], v7, v[2:3]
	v_sub_u32_e32 v2, 29, v27
	v_and_b32_e32 v7, 7, v7
	v_cndmask_b32_e32 v2, v26, v2, vcc
	v_cndmask_b32_e32 v7, v9, v7, vcc
	v_lshlrev_b32_e32 v8, 16, v22
	v_lshlrev_b32_e32 v7, 20, v7
	v_and_b32_e32 v8, 0x80000000, v8
	v_lshl_add_u32 v2, v2, 23, v57
	v_or3_b32 v7, v8, v2, v7
.LBB6_4526:                             ;   in Loop: Header=BB6_3598 Depth=2
	s_or_b64 exec, exec, s[78:79]
.LBB6_4527:                             ;   in Loop: Header=BB6_3598 Depth=2
	s_or_b64 exec, exec, s[76:77]
.LBB6_4528:                             ;   in Loop: Header=BB6_3598 Depth=2
	s_or_b64 exec, exec, s[18:19]
	v_lshrrev_b16_e32 v2, 8, v18
	v_cmp_ne_u16_e32 vcc, 0, v2
	s_and_saveexec_b64 s[18:19], vcc
	s_cbranch_execz .LBB6_4534
; %bb.4529:                             ;   in Loop: Header=BB6_3598 Depth=2
	v_cmp_ne_u16_e32 vcc, s49, v2
	v_bfrev_b32_e32 v6, 1
	s_and_saveexec_b64 s[76:77], vcc
	s_cbranch_execz .LBB6_4533
; %bb.4530:                             ;   in Loop: Header=BB6_3598 Depth=2
	v_and_b32_e32 v8, 0x7f, v2
	v_cmp_ne_u32_e32 vcc, s50, v8
	v_mov_b32_e32 v6, 0x7f800001
	s_and_saveexec_b64 s[78:79], vcc
	s_cbranch_execz .LBB6_4532
; %bb.4531:                             ;   in Loop: Header=BB6_3598 Depth=2
	v_and_b32_e32 v6, 7, v2
	v_lshrrev_b32_e32 v26, 3, v8
	v_cmp_gt_u32_e32 vcc, 8, v8
	v_ffbh_u32_e32 v8, v6
	v_min_u32_e32 v27, 32, v8
	v_subrev_u32_e32 v8, 28, v27
	v_lshlrev_b64 v[8:9], v8, v[2:3]
	v_sub_u32_e32 v2, 29, v27
	v_and_b32_e32 v8, 7, v8
	v_cndmask_b32_e32 v2, v26, v2, vcc
	v_cndmask_b32_e32 v6, v6, v8, vcc
	v_lshlrev_b32_e32 v8, 16, v18
	v_lshlrev_b32_e32 v6, 20, v6
	v_and_b32_e32 v8, 0x80000000, v8
	v_lshl_add_u32 v2, v2, 23, v57
	v_or3_b32 v6, v8, v2, v6
.LBB6_4532:                             ;   in Loop: Header=BB6_3598 Depth=2
	s_or_b64 exec, exec, s[78:79]
.LBB6_4533:                             ;   in Loop: Header=BB6_3598 Depth=2
	s_or_b64 exec, exec, s[76:77]
.LBB6_4534:                             ;   in Loop: Header=BB6_3598 Depth=2
	s_or_b64 exec, exec, s[18:19]
	v_add_f32_e32 v7, v7, v6
	v_and_b32_e32 v2, 0x7f800000, v7
	v_cmp_ne_u64_e32 vcc, s[46:47], v[2:3]
                                        ; implicit-def: $vgpr34
	s_and_saveexec_b64 s[18:19], vcc
	s_xor_b64 s[76:77], exec, s[18:19]
	s_cbranch_execz .LBB6_4548
; %bb.4535:                             ;   in Loop: Header=BB6_3598 Depth=2
	v_and_b32_e32 v2, 0x7fffffff, v7
	v_cmp_gt_u64_e32 vcc, s[56:57], v[2:3]
	v_and_b32_sdwa v6, v7, s49 dst_sel:DWORD dst_unused:UNUSED_PAD src0_sel:BYTE_3 src1_sel:DWORD
                                        ; implicit-def: $vgpr34
	s_and_saveexec_b64 s[18:19], vcc
	s_xor_b64 s[78:79], exec, s[18:19]
	s_cbranch_execz .LBB6_4545
; %bb.4536:                             ;   in Loop: Header=BB6_3598 Depth=2
	v_mov_b32_e32 v34, 0
	v_cmp_ne_u32_e32 vcc, 0, v7
	s_and_saveexec_b64 s[88:89], vcc
	s_cbranch_execz .LBB6_4544
; %bb.4537:                             ;   in Loop: Header=BB6_3598 Depth=2
	v_and_b32_e32 v2, 0x7fffff, v7
	v_bfe_u32 v7, v7, 23, 8
	v_cmp_gt_u32_e64 s[18:19], s51, v7
	v_sub_u32_e32 v8, 0x79, v7
	v_cmp_eq_u32_e32 vcc, 0, v7
	v_cndmask_b32_e64 v8, 0, v8, s[18:19]
	v_mov_b32_e32 v26, 0x78
	v_or_b32_e32 v9, 0x800000, v2
	v_cndmask_b32_e32 v8, v8, v26, vcc
	v_cndmask_b32_e32 v2, v9, v2, vcc
	v_add_u32_e32 v9, 20, v8
	v_lshlrev_b64 v[26:27], v9, -1
	v_add_u32_e32 v9, 19, v8
	v_lshlrev_b64 v[34:35], v9, 1
	v_bfi_b32 v27, v27, 0, 0
	v_bfi_b32 v26, v26, 0, v2
	v_cmp_eq_u64_e64 s[18:19], v[26:27], v[34:35]
	v_lshrrev_b64 v[26:27], v8, v[2:3]
	v_mov_b32_e32 v28, v27
	v_mov_b32_e32 v27, v26
	s_and_saveexec_b64 s[90:91], s[18:19]
; %bb.4538:                             ;   in Loop: Header=BB6_3598 Depth=2
	v_bfe_u32 v2, v26, 20, 1
	v_add_co_u32_e64 v2, s[18:19], v26, v2
	v_add_co_u32_e64 v27, s[18:19], -1, v2
; %bb.4539:                             ;   in Loop: Header=BB6_3598 Depth=2
	s_or_b64 exec, exec, s[90:91]
	v_add_u32_e32 v2, 0xffffff81, v7
	v_mov_b32_e32 v7, 0xffffff82
	v_cndmask_b32_e32 v2, v2, v7, vcc
	v_lshrrev_b32_e32 v7, 23, v26
	v_add3_u32 v9, v8, v2, v7
	v_add_u32_e32 v8, 6, v9
	v_and_b32_e32 v2, 0xfffff, v27
	v_add_u32_e32 v2, v2, v26
	v_cmp_ne_u32_e32 vcc, 0, v8
                                        ; implicit-def: $vgpr26_vgpr27
                                        ; implicit-def: $vgpr7
	s_and_saveexec_b64 s[18:19], vcc
	s_xor_b64 s[18:19], exec, s[18:19]
; %bb.4540:                             ;   in Loop: Header=BB6_3598 Depth=2
	v_cmp_lt_u64_e32 vcc, s[58:59], v[2:3]
	v_add_u32_e32 v7, 7, v9
	v_cndmask_b32_e32 v7, v8, v7, vcc
	v_cndmask_b32_e64 v8, 0, 1, vcc
	v_lshrrev_b64 v[26:27], v8, v[2:3]
; %bb.4541:                             ;   in Loop: Header=BB6_3598 Depth=2
	s_andn2_saveexec_b64 s[18:19], s[18:19]
; %bb.4542:                             ;   in Loop: Header=BB6_3598 Depth=2
	v_mov_b32_e32 v27, v3
	v_bfe_u32 v7, v2, 23, 1
	v_mov_b32_e32 v26, v2
; %bb.4543:                             ;   in Loop: Header=BB6_3598 Depth=2
	s_or_b64 exec, exec, s[18:19]
	v_lshrrev_b64 v[8:9], 20, v[26:27]
	v_cmp_gt_i32_e32 vcc, 16, v7
	v_cndmask_b32_e32 v9, 0, v9, vcc
	v_cndmask_b32_e32 v8, 7, v8, vcc
	v_min_i32_e32 v2, 15, v7
	v_cmp_eq_u64_e64 s[18:19], 0, v[8:9]
	v_lshlrev_b32_e32 v2, 3, v2
	v_cmp_eq_u32_e32 vcc, 0, v7
	v_and_b32_e32 v2, 0xf8, v2
	v_and_or_b32 v2, v8, 7, v2
	s_and_b64 s[18:19], vcc, s[18:19]
	v_cndmask_b32_e64 v2, v2, 0, s[18:19]
	v_or_b32_e32 v34, v2, v6
.LBB6_4544:                             ;   in Loop: Header=BB6_3598 Depth=2
	s_or_b64 exec, exec, s[88:89]
                                        ; implicit-def: $vgpr6
.LBB6_4545:                             ;   in Loop: Header=BB6_3598 Depth=2
	s_andn2_saveexec_b64 s[18:19], s[78:79]
; %bb.4546:                             ;   in Loop: Header=BB6_3598 Depth=2
	v_or_b32_e32 v34, 0x7e, v6
; %bb.4547:                             ;   in Loop: Header=BB6_3598 Depth=2
	s_or_b64 exec, exec, s[18:19]
                                        ; implicit-def: $vgpr7
.LBB6_4548:                             ;   in Loop: Header=BB6_3598 Depth=2
	s_andn2_saveexec_b64 s[18:19], s[76:77]
; %bb.4549:                             ;   in Loop: Header=BB6_3598 Depth=2
	v_or_b32_sdwa v34, v7, s50 dst_sel:DWORD dst_unused:UNUSED_PAD src0_sel:BYTE_3 src1_sel:DWORD
; %bb.4550:                             ;   in Loop: Header=BB6_3598 Depth=2
	s_or_b64 exec, exec, s[18:19]
	v_lshrrev_b32_e32 v2, 16, v22
	v_cmp_ne_u16_sdwa s[76:77], v2, v3 src0_sel:BYTE_0 src1_sel:DWORD
	v_mov_b32_e32 v6, 0
	v_mov_b32_e32 v7, 0
	s_and_saveexec_b64 s[18:19], s[76:77]
	s_cbranch_execz .LBB6_4556
; %bb.4551:                             ;   in Loop: Header=BB6_3598 Depth=2
	v_cmp_ne_u16_sdwa s[78:79], v2, s49 src0_sel:BYTE_0 src1_sel:DWORD
	v_bfrev_b32_e32 v7, 1
	s_and_saveexec_b64 s[76:77], s[78:79]
	s_cbranch_execz .LBB6_4555
; %bb.4552:                             ;   in Loop: Header=BB6_3598 Depth=2
	v_bfe_u32 v8, v22, 16, 7
	v_cmp_ne_u32_e32 vcc, s50, v8
	v_mov_b32_e32 v7, 0x7f800001
	s_and_saveexec_b64 s[78:79], vcc
	s_cbranch_execz .LBB6_4554
; %bb.4553:                             ;   in Loop: Header=BB6_3598 Depth=2
	v_and_b32_e32 v9, 7, v2
	v_ffbh_u32_e32 v7, v9
	v_min_u32_e32 v27, 32, v7
	v_subrev_u32_e32 v7, 28, v27
	v_lshrrev_b32_e32 v26, 3, v8
	v_cmp_gt_u32_e32 vcc, 8, v8
	v_lshlrev_b64 v[7:8], v7, v[2:3]
	v_sub_u32_e32 v8, 29, v27
	v_and_b32_e32 v7, 7, v7
	v_cndmask_b32_e32 v8, v26, v8, vcc
	v_cndmask_b32_e32 v7, v9, v7, vcc
	v_lshlrev_b32_e32 v2, 24, v2
	v_lshlrev_b32_e32 v7, 20, v7
	v_and_b32_e32 v2, 0x80000000, v2
	v_lshl_add_u32 v8, v8, 23, v57
	v_or3_b32 v7, v2, v8, v7
.LBB6_4554:                             ;   in Loop: Header=BB6_3598 Depth=2
	s_or_b64 exec, exec, s[78:79]
.LBB6_4555:                             ;   in Loop: Header=BB6_3598 Depth=2
	s_or_b64 exec, exec, s[76:77]
.LBB6_4556:                             ;   in Loop: Header=BB6_3598 Depth=2
	s_or_b64 exec, exec, s[18:19]
	v_lshrrev_b32_e32 v2, 16, v18
	v_cmp_ne_u16_sdwa s[76:77], v2, v3 src0_sel:BYTE_0 src1_sel:DWORD
	s_and_saveexec_b64 s[18:19], s[76:77]
	s_cbranch_execz .LBB6_4562
; %bb.4557:                             ;   in Loop: Header=BB6_3598 Depth=2
	v_cmp_ne_u16_sdwa s[78:79], v2, s49 src0_sel:BYTE_0 src1_sel:DWORD
	v_bfrev_b32_e32 v6, 1
	s_and_saveexec_b64 s[76:77], s[78:79]
	s_cbranch_execz .LBB6_4561
; %bb.4558:                             ;   in Loop: Header=BB6_3598 Depth=2
	v_bfe_u32 v8, v18, 16, 7
	v_cmp_ne_u32_e32 vcc, s50, v8
	v_mov_b32_e32 v6, 0x7f800001
	s_and_saveexec_b64 s[78:79], vcc
	s_cbranch_execz .LBB6_4560
; %bb.4559:                             ;   in Loop: Header=BB6_3598 Depth=2
	v_and_b32_e32 v6, 7, v2
	v_lshrrev_b32_e32 v26, 3, v8
	v_cmp_gt_u32_e32 vcc, 8, v8
	v_ffbh_u32_e32 v8, v6
	v_min_u32_e32 v27, 32, v8
	v_subrev_u32_e32 v8, 28, v27
	v_lshlrev_b64 v[8:9], v8, v[2:3]
	v_sub_u32_e32 v2, 29, v27
	v_and_b32_e32 v8, 7, v8
	v_cndmask_b32_e32 v2, v26, v2, vcc
	v_cndmask_b32_e32 v6, v6, v8, vcc
	v_lshlrev_b32_e32 v8, 8, v18
	v_lshlrev_b32_e32 v6, 20, v6
	v_and_b32_e32 v8, 0x80000000, v8
	v_lshl_add_u32 v2, v2, 23, v57
	v_or3_b32 v6, v8, v2, v6
.LBB6_4560:                             ;   in Loop: Header=BB6_3598 Depth=2
	s_or_b64 exec, exec, s[78:79]
.LBB6_4561:                             ;   in Loop: Header=BB6_3598 Depth=2
	s_or_b64 exec, exec, s[76:77]
.LBB6_4562:                             ;   in Loop: Header=BB6_3598 Depth=2
	s_or_b64 exec, exec, s[18:19]
	v_add_f32_e32 v7, v7, v6
	v_and_b32_e32 v2, 0x7f800000, v7
	v_cmp_ne_u64_e32 vcc, s[46:47], v[2:3]
                                        ; implicit-def: $vgpr35
	s_and_saveexec_b64 s[18:19], vcc
	s_xor_b64 s[76:77], exec, s[18:19]
	s_cbranch_execz .LBB6_4576
; %bb.4563:                             ;   in Loop: Header=BB6_3598 Depth=2
	v_and_b32_e32 v2, 0x7fffffff, v7
	v_cmp_gt_u64_e32 vcc, s[56:57], v[2:3]
	v_and_b32_sdwa v6, v7, s49 dst_sel:DWORD dst_unused:UNUSED_PAD src0_sel:BYTE_3 src1_sel:DWORD
                                        ; implicit-def: $vgpr35
	s_and_saveexec_b64 s[18:19], vcc
	s_xor_b64 s[78:79], exec, s[18:19]
	s_cbranch_execz .LBB6_4573
; %bb.4564:                             ;   in Loop: Header=BB6_3598 Depth=2
	v_mov_b32_e32 v35, 0
	v_cmp_ne_u32_e32 vcc, 0, v7
	s_and_saveexec_b64 s[88:89], vcc
	s_cbranch_execz .LBB6_4572
; %bb.4565:                             ;   in Loop: Header=BB6_3598 Depth=2
	v_and_b32_e32 v2, 0x7fffff, v7
	v_bfe_u32 v7, v7, 23, 8
	v_cmp_gt_u32_e64 s[18:19], s51, v7
	v_sub_u32_e32 v8, 0x79, v7
	v_cmp_eq_u32_e32 vcc, 0, v7
	v_cndmask_b32_e64 v8, 0, v8, s[18:19]
	v_mov_b32_e32 v26, 0x78
	v_or_b32_e32 v9, 0x800000, v2
	v_cndmask_b32_e32 v8, v8, v26, vcc
	v_cndmask_b32_e32 v2, v9, v2, vcc
	v_add_u32_e32 v9, 20, v8
	v_lshlrev_b64 v[26:27], v9, -1
	v_add_u32_e32 v9, 19, v8
	v_lshlrev_b64 v[48:49], v9, 1
	v_bfi_b32 v27, v27, 0, 0
	v_bfi_b32 v26, v26, 0, v2
	v_cmp_eq_u64_e64 s[18:19], v[26:27], v[48:49]
	v_lshrrev_b64 v[26:27], v8, v[2:3]
	v_mov_b32_e32 v28, v27
	v_mov_b32_e32 v27, v26
	s_and_saveexec_b64 s[90:91], s[18:19]
; %bb.4566:                             ;   in Loop: Header=BB6_3598 Depth=2
	v_bfe_u32 v2, v26, 20, 1
	v_add_co_u32_e64 v2, s[18:19], v26, v2
	v_add_co_u32_e64 v27, s[18:19], -1, v2
; %bb.4567:                             ;   in Loop: Header=BB6_3598 Depth=2
	s_or_b64 exec, exec, s[90:91]
	v_add_u32_e32 v2, 0xffffff81, v7
	v_mov_b32_e32 v7, 0xffffff82
	v_cndmask_b32_e32 v2, v2, v7, vcc
	v_lshrrev_b32_e32 v7, 23, v26
	v_add3_u32 v9, v8, v2, v7
	v_add_u32_e32 v8, 6, v9
	v_and_b32_e32 v2, 0xfffff, v27
	v_add_u32_e32 v2, v2, v26
	v_cmp_ne_u32_e32 vcc, 0, v8
                                        ; implicit-def: $vgpr26_vgpr27
                                        ; implicit-def: $vgpr7
	s_and_saveexec_b64 s[18:19], vcc
	s_xor_b64 s[18:19], exec, s[18:19]
; %bb.4568:                             ;   in Loop: Header=BB6_3598 Depth=2
	v_cmp_lt_u64_e32 vcc, s[58:59], v[2:3]
	v_add_u32_e32 v7, 7, v9
	v_cndmask_b32_e32 v7, v8, v7, vcc
	v_cndmask_b32_e64 v8, 0, 1, vcc
	v_lshrrev_b64 v[26:27], v8, v[2:3]
; %bb.4569:                             ;   in Loop: Header=BB6_3598 Depth=2
	s_andn2_saveexec_b64 s[18:19], s[18:19]
; %bb.4570:                             ;   in Loop: Header=BB6_3598 Depth=2
	v_mov_b32_e32 v27, v3
	v_bfe_u32 v7, v2, 23, 1
	v_mov_b32_e32 v26, v2
; %bb.4571:                             ;   in Loop: Header=BB6_3598 Depth=2
	s_or_b64 exec, exec, s[18:19]
	v_lshrrev_b64 v[8:9], 20, v[26:27]
	v_cmp_gt_i32_e32 vcc, 16, v7
	v_cndmask_b32_e32 v9, 0, v9, vcc
	v_cndmask_b32_e32 v8, 7, v8, vcc
	v_min_i32_e32 v2, 15, v7
	v_cmp_eq_u64_e64 s[18:19], 0, v[8:9]
	v_lshlrev_b32_e32 v2, 3, v2
	v_cmp_eq_u32_e32 vcc, 0, v7
	v_and_b32_e32 v2, 0xf8, v2
	v_and_or_b32 v2, v8, 7, v2
	s_and_b64 s[18:19], vcc, s[18:19]
	v_cndmask_b32_e64 v2, v2, 0, s[18:19]
	v_or_b32_e32 v35, v2, v6
.LBB6_4572:                             ;   in Loop: Header=BB6_3598 Depth=2
	s_or_b64 exec, exec, s[88:89]
                                        ; implicit-def: $vgpr6
.LBB6_4573:                             ;   in Loop: Header=BB6_3598 Depth=2
	s_andn2_saveexec_b64 s[18:19], s[78:79]
; %bb.4574:                             ;   in Loop: Header=BB6_3598 Depth=2
	v_or_b32_e32 v35, 0x7e, v6
; %bb.4575:                             ;   in Loop: Header=BB6_3598 Depth=2
	s_or_b64 exec, exec, s[18:19]
                                        ; implicit-def: $vgpr7
.LBB6_4576:                             ;   in Loop: Header=BB6_3598 Depth=2
	s_andn2_saveexec_b64 s[18:19], s[76:77]
; %bb.4577:                             ;   in Loop: Header=BB6_3598 Depth=2
	v_or_b32_sdwa v35, v7, s50 dst_sel:DWORD dst_unused:UNUSED_PAD src0_sel:BYTE_3 src1_sel:DWORD
; %bb.4578:                             ;   in Loop: Header=BB6_3598 Depth=2
	s_or_b64 exec, exec, s[18:19]
	v_cmp_lt_u32_e32 vcc, s61, v22
	v_mov_b32_e32 v6, 0
	v_mov_b32_e32 v7, 0
	s_and_saveexec_b64 s[18:19], vcc
	s_cbranch_execz .LBB6_4584
; %bb.4579:                             ;   in Loop: Header=BB6_3598 Depth=2
	v_lshrrev_b32_e32 v2, 24, v22
	v_cmp_ne_u32_e32 vcc, s49, v2
	v_bfrev_b32_e32 v7, 1
	s_and_saveexec_b64 s[76:77], vcc
	s_cbranch_execz .LBB6_4583
; %bb.4580:                             ;   in Loop: Header=BB6_3598 Depth=2
	v_bfe_u32 v8, v22, 24, 7
	v_cmp_ne_u32_e32 vcc, s50, v8
	v_mov_b32_e32 v7, 0x7f800001
	s_and_saveexec_b64 s[78:79], vcc
	s_cbranch_execz .LBB6_4582
; %bb.4581:                             ;   in Loop: Header=BB6_3598 Depth=2
	v_and_b32_e32 v9, 7, v2
	v_ffbh_u32_e32 v7, v9
	v_min_u32_e32 v27, 32, v7
	v_subrev_u32_e32 v7, 28, v27
	v_lshrrev_b32_e32 v26, 3, v8
	v_cmp_gt_u32_e32 vcc, 8, v8
	v_lshlrev_b64 v[7:8], v7, v[2:3]
	v_sub_u32_e32 v8, 29, v27
	v_and_b32_e32 v7, 7, v7
	v_cndmask_b32_e32 v8, v26, v8, vcc
	v_cndmask_b32_e32 v7, v9, v7, vcc
	v_lshlrev_b32_e32 v2, 24, v2
	v_lshlrev_b32_e32 v7, 20, v7
	v_and_b32_e32 v2, 0x80000000, v2
	v_lshl_add_u32 v8, v8, 23, v57
	v_or3_b32 v7, v2, v8, v7
.LBB6_4582:                             ;   in Loop: Header=BB6_3598 Depth=2
	s_or_b64 exec, exec, s[78:79]
.LBB6_4583:                             ;   in Loop: Header=BB6_3598 Depth=2
	s_or_b64 exec, exec, s[76:77]
.LBB6_4584:                             ;   in Loop: Header=BB6_3598 Depth=2
	s_or_b64 exec, exec, s[18:19]
	v_cmp_lt_u32_e32 vcc, s61, v18
	s_and_saveexec_b64 s[18:19], vcc
	s_cbranch_execz .LBB6_4590
; %bb.4585:                             ;   in Loop: Header=BB6_3598 Depth=2
	v_lshrrev_b32_e32 v2, 24, v18
	v_cmp_ne_u32_e32 vcc, s49, v2
	v_bfrev_b32_e32 v6, 1
	s_and_saveexec_b64 s[76:77], vcc
	s_cbranch_execz .LBB6_4589
; %bb.4586:                             ;   in Loop: Header=BB6_3598 Depth=2
	v_bfe_u32 v8, v18, 24, 7
	v_cmp_ne_u32_e32 vcc, s50, v8
	v_mov_b32_e32 v6, 0x7f800001
	s_and_saveexec_b64 s[78:79], vcc
	s_cbranch_execz .LBB6_4588
; %bb.4587:                             ;   in Loop: Header=BB6_3598 Depth=2
	v_and_b32_e32 v6, 7, v2
	v_lshrrev_b32_e32 v26, 3, v8
	v_cmp_gt_u32_e32 vcc, 8, v8
	v_ffbh_u32_e32 v8, v6
	v_min_u32_e32 v27, 32, v8
	v_subrev_u32_e32 v8, 28, v27
	v_lshlrev_b64 v[8:9], v8, v[2:3]
	v_sub_u32_e32 v9, 29, v27
	v_and_b32_e32 v8, 7, v8
	v_cndmask_b32_e32 v9, v26, v9, vcc
	v_cndmask_b32_e32 v6, v6, v8, vcc
	v_lshlrev_b32_e32 v2, 24, v2
	v_lshlrev_b32_e32 v6, 20, v6
	v_and_b32_e32 v2, 0x80000000, v2
	v_lshl_add_u32 v8, v9, 23, v57
	v_or3_b32 v6, v2, v8, v6
.LBB6_4588:                             ;   in Loop: Header=BB6_3598 Depth=2
	s_or_b64 exec, exec, s[78:79]
.LBB6_4589:                             ;   in Loop: Header=BB6_3598 Depth=2
	s_or_b64 exec, exec, s[76:77]
.LBB6_4590:                             ;   in Loop: Header=BB6_3598 Depth=2
	s_or_b64 exec, exec, s[18:19]
	v_add_f32_e32 v7, v7, v6
	v_and_b32_e32 v2, 0x7f800000, v7
	v_cmp_ne_u64_e32 vcc, s[46:47], v[2:3]
                                        ; implicit-def: $vgpr39
	s_and_saveexec_b64 s[18:19], vcc
	s_xor_b64 s[76:77], exec, s[18:19]
	s_cbranch_execz .LBB6_4604
; %bb.4591:                             ;   in Loop: Header=BB6_3598 Depth=2
	v_and_b32_e32 v2, 0x7fffffff, v7
	v_cmp_gt_u64_e32 vcc, s[56:57], v[2:3]
	v_and_b32_sdwa v6, v7, s49 dst_sel:DWORD dst_unused:UNUSED_PAD src0_sel:BYTE_3 src1_sel:DWORD
                                        ; implicit-def: $vgpr39
	s_and_saveexec_b64 s[18:19], vcc
	s_xor_b64 s[78:79], exec, s[18:19]
	s_cbranch_execz .LBB6_4601
; %bb.4592:                             ;   in Loop: Header=BB6_3598 Depth=2
	v_mov_b32_e32 v39, 0
	v_cmp_ne_u32_e32 vcc, 0, v7
	s_and_saveexec_b64 s[88:89], vcc
	s_cbranch_execz .LBB6_4600
; %bb.4593:                             ;   in Loop: Header=BB6_3598 Depth=2
	v_and_b32_e32 v2, 0x7fffff, v7
	v_bfe_u32 v7, v7, 23, 8
	v_cmp_gt_u32_e64 s[18:19], s51, v7
	v_sub_u32_e32 v8, 0x79, v7
	v_cmp_eq_u32_e32 vcc, 0, v7
	v_cndmask_b32_e64 v8, 0, v8, s[18:19]
	v_mov_b32_e32 v26, 0x78
	v_or_b32_e32 v9, 0x800000, v2
	v_cndmask_b32_e32 v8, v8, v26, vcc
	v_cndmask_b32_e32 v2, v9, v2, vcc
	v_add_u32_e32 v9, 20, v8
	v_lshlrev_b64 v[26:27], v9, -1
	v_add_u32_e32 v9, 19, v8
	v_lshlrev_b64 v[48:49], v9, 1
	v_bfi_b32 v27, v27, 0, 0
	v_bfi_b32 v26, v26, 0, v2
	v_cmp_eq_u64_e64 s[18:19], v[26:27], v[48:49]
	v_lshrrev_b64 v[26:27], v8, v[2:3]
	v_mov_b32_e32 v28, v27
	v_mov_b32_e32 v27, v26
	s_and_saveexec_b64 s[90:91], s[18:19]
; %bb.4594:                             ;   in Loop: Header=BB6_3598 Depth=2
	v_bfe_u32 v2, v26, 20, 1
	v_add_co_u32_e64 v2, s[18:19], v26, v2
	v_add_co_u32_e64 v27, s[18:19], -1, v2
; %bb.4595:                             ;   in Loop: Header=BB6_3598 Depth=2
	s_or_b64 exec, exec, s[90:91]
	v_add_u32_e32 v2, 0xffffff81, v7
	v_mov_b32_e32 v7, 0xffffff82
	v_cndmask_b32_e32 v2, v2, v7, vcc
	v_lshrrev_b32_e32 v7, 23, v26
	v_add3_u32 v9, v8, v2, v7
	v_add_u32_e32 v8, 6, v9
	v_and_b32_e32 v2, 0xfffff, v27
	v_add_u32_e32 v2, v2, v26
	v_cmp_ne_u32_e32 vcc, 0, v8
                                        ; implicit-def: $vgpr26_vgpr27
                                        ; implicit-def: $vgpr7
	s_and_saveexec_b64 s[18:19], vcc
	s_xor_b64 s[18:19], exec, s[18:19]
; %bb.4596:                             ;   in Loop: Header=BB6_3598 Depth=2
	v_cmp_lt_u64_e32 vcc, s[58:59], v[2:3]
	v_add_u32_e32 v7, 7, v9
	v_cndmask_b32_e32 v7, v8, v7, vcc
	v_cndmask_b32_e64 v8, 0, 1, vcc
	v_lshrrev_b64 v[26:27], v8, v[2:3]
; %bb.4597:                             ;   in Loop: Header=BB6_3598 Depth=2
	s_andn2_saveexec_b64 s[18:19], s[18:19]
; %bb.4598:                             ;   in Loop: Header=BB6_3598 Depth=2
	v_mov_b32_e32 v27, v3
	v_bfe_u32 v7, v2, 23, 1
	v_mov_b32_e32 v26, v2
; %bb.4599:                             ;   in Loop: Header=BB6_3598 Depth=2
	s_or_b64 exec, exec, s[18:19]
	v_lshrrev_b64 v[8:9], 20, v[26:27]
	v_cmp_gt_i32_e32 vcc, 16, v7
	v_cndmask_b32_e32 v9, 0, v9, vcc
	v_cndmask_b32_e32 v8, 7, v8, vcc
	v_min_i32_e32 v2, 15, v7
	v_cmp_eq_u64_e64 s[18:19], 0, v[8:9]
	v_lshlrev_b32_e32 v2, 3, v2
	v_cmp_eq_u32_e32 vcc, 0, v7
	v_and_b32_e32 v2, 0xf8, v2
	v_and_or_b32 v2, v8, 7, v2
	s_and_b64 s[18:19], vcc, s[18:19]
	v_cndmask_b32_e64 v2, v2, 0, s[18:19]
	v_or_b32_e32 v39, v2, v6
.LBB6_4600:                             ;   in Loop: Header=BB6_3598 Depth=2
	s_or_b64 exec, exec, s[88:89]
                                        ; implicit-def: $vgpr6
.LBB6_4601:                             ;   in Loop: Header=BB6_3598 Depth=2
	s_andn2_saveexec_b64 s[18:19], s[78:79]
; %bb.4602:                             ;   in Loop: Header=BB6_3598 Depth=2
	v_or_b32_e32 v39, 0x7e, v6
; %bb.4603:                             ;   in Loop: Header=BB6_3598 Depth=2
	s_or_b64 exec, exec, s[18:19]
                                        ; implicit-def: $vgpr7
.LBB6_4604:                             ;   in Loop: Header=BB6_3598 Depth=2
	s_andn2_saveexec_b64 s[18:19], s[76:77]
; %bb.4605:                             ;   in Loop: Header=BB6_3598 Depth=2
	v_or_b32_sdwa v39, v7, s50 dst_sel:DWORD dst_unused:UNUSED_PAD src0_sel:BYTE_3 src1_sel:DWORD
; %bb.4606:                             ;   in Loop: Header=BB6_3598 Depth=2
	s_or_b64 exec, exec, s[18:19]
	v_mov_b32_e32 v2, v23
	v_cmp_ne_u16_sdwa s[76:77], v23, v3 src0_sel:BYTE_0 src1_sel:DWORD
	v_mov_b32_e32 v7, 0
	v_mov_b32_e32 v6, 0
	s_and_saveexec_b64 s[18:19], s[76:77]
	s_cbranch_execz .LBB6_4612
; %bb.4607:                             ;   in Loop: Header=BB6_3598 Depth=2
	v_cmp_ne_u16_sdwa s[78:79], v23, s49 src0_sel:BYTE_0 src1_sel:DWORD
	v_bfrev_b32_e32 v6, 1
	s_and_saveexec_b64 s[76:77], s[78:79]
	s_cbranch_execz .LBB6_4611
; %bb.4608:                             ;   in Loop: Header=BB6_3598 Depth=2
	v_and_b32_e32 v8, 0x7f, v23
	v_cmp_ne_u32_e32 vcc, s50, v8
	v_mov_b32_e32 v6, 0x7f800001
	s_and_saveexec_b64 s[78:79], vcc
	s_cbranch_execz .LBB6_4610
; %bb.4609:                             ;   in Loop: Header=BB6_3598 Depth=2
	v_and_b32_e32 v6, 7, v23
	v_ffbh_u32_e32 v6, v6
	v_min_u32_e32 v6, 32, v6
	v_lshrrev_b32_e32 v9, 3, v8
	v_cmp_gt_u32_e32 vcc, 8, v8
	v_subrev_u32_e32 v8, 28, v6
	v_sub_u32_e32 v6, 29, v6
	v_cndmask_b32_e32 v8, 0, v8, vcc
	v_cndmask_b32_e32 v6, v9, v6, vcc
	v_lshlrev_b64 v[8:9], v8, v[2:3]
	v_lshlrev_b32_e32 v9, 24, v2
	v_lshlrev_b32_e32 v8, 20, v8
	v_and_b32_e32 v8, 0x700000, v8
	v_and_b32_e32 v9, 0x80000000, v9
	v_lshl_add_u32 v6, v6, 23, v57
	v_or3_b32 v6, v9, v6, v8
.LBB6_4610:                             ;   in Loop: Header=BB6_3598 Depth=2
	s_or_b64 exec, exec, s[78:79]
.LBB6_4611:                             ;   in Loop: Header=BB6_3598 Depth=2
	s_or_b64 exec, exec, s[76:77]
.LBB6_4612:                             ;   in Loop: Header=BB6_3598 Depth=2
	s_or_b64 exec, exec, s[18:19]
	v_cmp_ne_u16_sdwa s[76:77], v19, v3 src0_sel:BYTE_0 src1_sel:DWORD
	s_and_saveexec_b64 s[18:19], s[76:77]
	s_cbranch_execz .LBB6_4618
; %bb.4613:                             ;   in Loop: Header=BB6_3598 Depth=2
	v_cmp_ne_u16_sdwa s[78:79], v19, s49 src0_sel:BYTE_0 src1_sel:DWORD
	v_bfrev_b32_e32 v7, 1
	s_and_saveexec_b64 s[76:77], s[78:79]
	s_cbranch_execz .LBB6_4617
; %bb.4614:                             ;   in Loop: Header=BB6_3598 Depth=2
	v_and_b32_e32 v8, 0x7f, v19
	v_cmp_ne_u32_e32 vcc, s50, v8
	v_mov_b32_e32 v7, 0x7f800001
	s_and_saveexec_b64 s[78:79], vcc
	s_cbranch_execz .LBB6_4616
; %bb.4615:                             ;   in Loop: Header=BB6_3598 Depth=2
	v_and_b32_e32 v7, 7, v19
	v_ffbh_u32_e32 v7, v7
	v_min_u32_e32 v7, 32, v7
	v_lshrrev_b32_e32 v9, 3, v8
	v_cmp_gt_u32_e32 vcc, 8, v8
	v_subrev_u32_e32 v8, 28, v7
	v_sub_u32_e32 v7, 29, v7
	v_mov_b32_e32 v26, v19
	v_mov_b32_e32 v27, v3
	v_cndmask_b32_e32 v9, v9, v7, vcc
	v_cndmask_b32_e32 v7, 0, v8, vcc
	v_lshlrev_b64 v[7:8], v7, v[26:27]
	v_lshlrev_b32_e32 v8, 24, v26
	v_lshlrev_b32_e32 v7, 20, v7
	v_and_b32_e32 v7, 0x700000, v7
	v_and_b32_e32 v8, 0x80000000, v8
	v_lshl_add_u32 v9, v9, 23, v57
	v_or3_b32 v7, v8, v9, v7
.LBB6_4616:                             ;   in Loop: Header=BB6_3598 Depth=2
	s_or_b64 exec, exec, s[78:79]
.LBB6_4617:                             ;   in Loop: Header=BB6_3598 Depth=2
	s_or_b64 exec, exec, s[76:77]
.LBB6_4618:                             ;   in Loop: Header=BB6_3598 Depth=2
	s_or_b64 exec, exec, s[18:19]
	v_add_f32_e32 v7, v6, v7
	v_and_b32_e32 v8, 0x7f800000, v7
	v_mov_b32_e32 v9, v3
	v_cmp_ne_u64_e32 vcc, s[46:47], v[8:9]
                                        ; implicit-def: $vgpr44
	s_and_saveexec_b64 s[18:19], vcc
	s_xor_b64 s[76:77], exec, s[18:19]
	s_cbranch_execz .LBB6_4632
; %bb.4619:                             ;   in Loop: Header=BB6_3598 Depth=2
	v_and_b32_e32 v8, 0x7fffffff, v7
	v_mov_b32_e32 v9, v3
	v_cmp_gt_u64_e32 vcc, s[56:57], v[8:9]
	v_and_b32_sdwa v6, v7, s49 dst_sel:DWORD dst_unused:UNUSED_PAD src0_sel:BYTE_3 src1_sel:DWORD
                                        ; implicit-def: $vgpr44
	s_and_saveexec_b64 s[18:19], vcc
	s_xor_b64 s[78:79], exec, s[18:19]
	s_cbranch_execz .LBB6_4629
; %bb.4620:                             ;   in Loop: Header=BB6_3598 Depth=2
	v_mov_b32_e32 v44, 0
	v_cmp_ne_u32_e32 vcc, 0, v7
	s_and_saveexec_b64 s[88:89], vcc
	s_cbranch_execz .LBB6_4628
; %bb.4621:                             ;   in Loop: Header=BB6_3598 Depth=2
	v_and_b32_e32 v9, 0x7fffff, v7
	v_bfe_u32 v7, v7, 23, 8
	v_cmp_gt_u32_e64 s[18:19], s51, v7
	v_sub_u32_e32 v8, 0x79, v7
	v_cmp_eq_u32_e32 vcc, 0, v7
	v_cndmask_b32_e64 v8, 0, v8, s[18:19]
	v_mov_b32_e32 v27, 0x78
	v_or_b32_e32 v26, 0x800000, v9
	v_cndmask_b32_e32 v8, v8, v27, vcc
	v_cndmask_b32_e32 v26, v26, v9, vcc
	v_add_u32_e32 v9, 20, v8
	v_lshlrev_b64 v[48:49], v9, -1
	v_mov_b32_e32 v27, v3
	v_add_u32_e32 v9, 19, v8
	v_bfi_b32 v48, v48, 0, v26
	v_lshlrev_b64 v[50:51], v9, 1
	v_lshrrev_b64 v[26:27], v8, v[26:27]
	v_bfi_b32 v49, v49, 0, 0
	v_cmp_eq_u64_e64 s[18:19], v[48:49], v[50:51]
	v_mov_b32_e32 v28, v27
	v_mov_b32_e32 v27, v26
	s_and_saveexec_b64 s[90:91], s[18:19]
; %bb.4622:                             ;   in Loop: Header=BB6_3598 Depth=2
	v_bfe_u32 v9, v26, 20, 1
	v_add_co_u32_e64 v9, s[18:19], v26, v9
	v_add_co_u32_e64 v27, s[18:19], -1, v9
; %bb.4623:                             ;   in Loop: Header=BB6_3598 Depth=2
	s_or_b64 exec, exec, s[90:91]
	v_add_u32_e32 v7, 0xffffff81, v7
	v_mov_b32_e32 v9, 0xffffff82
	v_cndmask_b32_e32 v7, v7, v9, vcc
	v_lshrrev_b32_e32 v9, 23, v26
	v_add3_u32 v9, v8, v7, v9
	v_add_u32_e32 v8, 6, v9
	v_and_b32_e32 v7, 0xfffff, v27
	v_add_u32_e32 v26, v7, v26
	v_mov_b32_e32 v27, v3
	v_cmp_ne_u32_e32 vcc, 0, v8
                                        ; implicit-def: $vgpr7
	s_and_saveexec_b64 s[18:19], vcc
	s_xor_b64 s[18:19], exec, s[18:19]
; %bb.4624:                             ;   in Loop: Header=BB6_3598 Depth=2
	v_cmp_lt_u64_e32 vcc, s[58:59], v[26:27]
	v_add_u32_e32 v7, 7, v9
	v_cndmask_b32_e32 v7, v8, v7, vcc
	v_cndmask_b32_e64 v8, 0, 1, vcc
	v_lshrrev_b64 v[26:27], v8, v[26:27]
; %bb.4625:                             ;   in Loop: Header=BB6_3598 Depth=2
	s_andn2_saveexec_b64 s[18:19], s[18:19]
; %bb.4626:                             ;   in Loop: Header=BB6_3598 Depth=2
	v_bfe_u32 v7, v26, 23, 1
; %bb.4627:                             ;   in Loop: Header=BB6_3598 Depth=2
	s_or_b64 exec, exec, s[18:19]
	v_lshrrev_b64 v[8:9], 20, v[26:27]
	v_cmp_gt_i32_e32 vcc, 16, v7
	v_cndmask_b32_e32 v9, 0, v9, vcc
	v_cndmask_b32_e32 v8, 7, v8, vcc
	v_cmp_eq_u32_e32 vcc, 0, v7
	v_min_i32_e32 v7, 15, v7
	v_cmp_eq_u64_e64 s[18:19], 0, v[8:9]
	v_lshlrev_b32_e32 v7, 3, v7
	v_and_b32_e32 v7, 0xf8, v7
	v_and_or_b32 v7, v8, 7, v7
	s_and_b64 s[18:19], vcc, s[18:19]
	v_cndmask_b32_e64 v7, v7, 0, s[18:19]
	v_or_b32_e32 v44, v7, v6
.LBB6_4628:                             ;   in Loop: Header=BB6_3598 Depth=2
	s_or_b64 exec, exec, s[88:89]
                                        ; implicit-def: $vgpr6
.LBB6_4629:                             ;   in Loop: Header=BB6_3598 Depth=2
	s_andn2_saveexec_b64 s[18:19], s[78:79]
; %bb.4630:                             ;   in Loop: Header=BB6_3598 Depth=2
	v_or_b32_e32 v44, 0x7e, v6
; %bb.4631:                             ;   in Loop: Header=BB6_3598 Depth=2
	s_or_b64 exec, exec, s[18:19]
                                        ; implicit-def: $vgpr7
.LBB6_4632:                             ;   in Loop: Header=BB6_3598 Depth=2
	s_andn2_saveexec_b64 s[18:19], s[76:77]
; %bb.4633:                             ;   in Loop: Header=BB6_3598 Depth=2
	v_or_b32_sdwa v44, v7, s50 dst_sel:DWORD dst_unused:UNUSED_PAD src0_sel:BYTE_3 src1_sel:DWORD
; %bb.4634:                             ;   in Loop: Header=BB6_3598 Depth=2
	s_or_b64 exec, exec, s[18:19]
	v_lshrrev_b16_e32 v26, 8, v2
	v_cmp_ne_u16_e32 vcc, 0, v26
	v_mov_b32_e32 v6, 0
	v_mov_b32_e32 v7, 0
	s_and_saveexec_b64 s[18:19], vcc
	s_cbranch_execz .LBB6_4640
; %bb.4635:                             ;   in Loop: Header=BB6_3598 Depth=2
	v_cmp_ne_u16_e32 vcc, s49, v26
	v_bfrev_b32_e32 v7, 1
	s_and_saveexec_b64 s[76:77], vcc
	s_cbranch_execz .LBB6_4639
; %bb.4636:                             ;   in Loop: Header=BB6_3598 Depth=2
	v_and_b32_e32 v8, 0x7f, v26
	v_cmp_ne_u32_e32 vcc, s50, v8
	v_mov_b32_e32 v7, 0x7f800001
	s_and_saveexec_b64 s[78:79], vcc
	s_cbranch_execz .LBB6_4638
; %bb.4637:                             ;   in Loop: Header=BB6_3598 Depth=2
	v_and_b32_e32 v9, 7, v26
	v_ffbh_u32_e32 v7, v9
	v_min_u32_e32 v28, 32, v7
	v_lshrrev_b32_e32 v27, 3, v8
	v_subrev_u32_e32 v7, 28, v28
	v_cmp_gt_u32_e32 vcc, 8, v8
	v_lshlrev_b64 v[7:8], v7, v[26:27]
	v_sub_u32_e32 v8, 29, v28
	v_and_b32_e32 v7, 7, v7
	v_cndmask_b32_e32 v8, v27, v8, vcc
	v_cndmask_b32_e32 v7, v9, v7, vcc
	v_lshlrev_b32_e32 v2, 16, v2
	v_lshlrev_b32_e32 v7, 20, v7
	v_and_b32_e32 v2, 0x80000000, v2
	v_lshl_add_u32 v8, v8, 23, v57
	v_or3_b32 v7, v2, v8, v7
.LBB6_4638:                             ;   in Loop: Header=BB6_3598 Depth=2
	s_or_b64 exec, exec, s[78:79]
.LBB6_4639:                             ;   in Loop: Header=BB6_3598 Depth=2
	s_or_b64 exec, exec, s[76:77]
.LBB6_4640:                             ;   in Loop: Header=BB6_3598 Depth=2
	s_or_b64 exec, exec, s[18:19]
	v_lshrrev_b16_e32 v2, 8, v19
	v_cmp_ne_u16_e32 vcc, 0, v2
	s_and_saveexec_b64 s[18:19], vcc
	s_cbranch_execz .LBB6_4646
; %bb.4641:                             ;   in Loop: Header=BB6_3598 Depth=2
	v_cmp_ne_u16_e32 vcc, s49, v2
	v_bfrev_b32_e32 v6, 1
	s_and_saveexec_b64 s[76:77], vcc
	s_cbranch_execz .LBB6_4645
; %bb.4642:                             ;   in Loop: Header=BB6_3598 Depth=2
	v_and_b32_e32 v8, 0x7f, v2
	v_cmp_ne_u32_e32 vcc, s50, v8
	v_mov_b32_e32 v6, 0x7f800001
	s_and_saveexec_b64 s[78:79], vcc
	s_cbranch_execz .LBB6_4644
; %bb.4643:                             ;   in Loop: Header=BB6_3598 Depth=2
	v_and_b32_e32 v6, 7, v2
	v_lshrrev_b32_e32 v26, 3, v8
	v_cmp_gt_u32_e32 vcc, 8, v8
	v_ffbh_u32_e32 v8, v6
	v_min_u32_e32 v27, 32, v8
	v_subrev_u32_e32 v8, 28, v27
	v_lshlrev_b64 v[8:9], v8, v[2:3]
	v_sub_u32_e32 v2, 29, v27
	v_and_b32_e32 v8, 7, v8
	v_cndmask_b32_e32 v2, v26, v2, vcc
	v_cndmask_b32_e32 v6, v6, v8, vcc
	v_lshlrev_b32_e32 v8, 16, v19
	v_lshlrev_b32_e32 v6, 20, v6
	v_and_b32_e32 v8, 0x80000000, v8
	v_lshl_add_u32 v2, v2, 23, v57
	v_or3_b32 v6, v8, v2, v6
.LBB6_4644:                             ;   in Loop: Header=BB6_3598 Depth=2
	s_or_b64 exec, exec, s[78:79]
.LBB6_4645:                             ;   in Loop: Header=BB6_3598 Depth=2
	s_or_b64 exec, exec, s[76:77]
.LBB6_4646:                             ;   in Loop: Header=BB6_3598 Depth=2
	s_or_b64 exec, exec, s[18:19]
	v_add_f32_e32 v7, v7, v6
	v_and_b32_e32 v2, 0x7f800000, v7
	v_cmp_ne_u64_e32 vcc, s[46:47], v[2:3]
                                        ; implicit-def: $vgpr45
	s_and_saveexec_b64 s[18:19], vcc
	s_xor_b64 s[76:77], exec, s[18:19]
	s_cbranch_execz .LBB6_4660
; %bb.4647:                             ;   in Loop: Header=BB6_3598 Depth=2
	v_and_b32_e32 v2, 0x7fffffff, v7
	v_cmp_gt_u64_e32 vcc, s[56:57], v[2:3]
	v_and_b32_sdwa v6, v7, s49 dst_sel:DWORD dst_unused:UNUSED_PAD src0_sel:BYTE_3 src1_sel:DWORD
                                        ; implicit-def: $vgpr45
	s_and_saveexec_b64 s[18:19], vcc
	s_xor_b64 s[78:79], exec, s[18:19]
	s_cbranch_execz .LBB6_4657
; %bb.4648:                             ;   in Loop: Header=BB6_3598 Depth=2
	v_mov_b32_e32 v45, 0
	v_cmp_ne_u32_e32 vcc, 0, v7
	s_and_saveexec_b64 s[88:89], vcc
	s_cbranch_execz .LBB6_4656
; %bb.4649:                             ;   in Loop: Header=BB6_3598 Depth=2
	v_and_b32_e32 v2, 0x7fffff, v7
	v_bfe_u32 v7, v7, 23, 8
	v_cmp_gt_u32_e64 s[18:19], s51, v7
	v_sub_u32_e32 v8, 0x79, v7
	v_cmp_eq_u32_e32 vcc, 0, v7
	v_cndmask_b32_e64 v8, 0, v8, s[18:19]
	v_mov_b32_e32 v26, 0x78
	v_or_b32_e32 v9, 0x800000, v2
	v_cndmask_b32_e32 v8, v8, v26, vcc
	v_cndmask_b32_e32 v2, v9, v2, vcc
	v_add_u32_e32 v9, 20, v8
	v_lshlrev_b64 v[26:27], v9, -1
	v_add_u32_e32 v9, 19, v8
	v_lshlrev_b64 v[48:49], v9, 1
	v_bfi_b32 v27, v27, 0, 0
	v_bfi_b32 v26, v26, 0, v2
	v_cmp_eq_u64_e64 s[18:19], v[26:27], v[48:49]
	v_lshrrev_b64 v[26:27], v8, v[2:3]
	v_mov_b32_e32 v28, v27
	v_mov_b32_e32 v27, v26
	s_and_saveexec_b64 s[90:91], s[18:19]
; %bb.4650:                             ;   in Loop: Header=BB6_3598 Depth=2
	v_bfe_u32 v2, v26, 20, 1
	v_add_co_u32_e64 v2, s[18:19], v26, v2
	v_add_co_u32_e64 v27, s[18:19], -1, v2
; %bb.4651:                             ;   in Loop: Header=BB6_3598 Depth=2
	s_or_b64 exec, exec, s[90:91]
	v_add_u32_e32 v2, 0xffffff81, v7
	v_mov_b32_e32 v7, 0xffffff82
	v_cndmask_b32_e32 v2, v2, v7, vcc
	v_lshrrev_b32_e32 v7, 23, v26
	v_add3_u32 v9, v8, v2, v7
	v_add_u32_e32 v8, 6, v9
	v_and_b32_e32 v2, 0xfffff, v27
	v_add_u32_e32 v2, v2, v26
	v_cmp_ne_u32_e32 vcc, 0, v8
                                        ; implicit-def: $vgpr26_vgpr27
                                        ; implicit-def: $vgpr7
	s_and_saveexec_b64 s[18:19], vcc
	s_xor_b64 s[18:19], exec, s[18:19]
; %bb.4652:                             ;   in Loop: Header=BB6_3598 Depth=2
	v_cmp_lt_u64_e32 vcc, s[58:59], v[2:3]
	v_add_u32_e32 v7, 7, v9
	v_cndmask_b32_e32 v7, v8, v7, vcc
	v_cndmask_b32_e64 v8, 0, 1, vcc
	v_lshrrev_b64 v[26:27], v8, v[2:3]
; %bb.4653:                             ;   in Loop: Header=BB6_3598 Depth=2
	s_andn2_saveexec_b64 s[18:19], s[18:19]
; %bb.4654:                             ;   in Loop: Header=BB6_3598 Depth=2
	v_mov_b32_e32 v27, v3
	v_bfe_u32 v7, v2, 23, 1
	v_mov_b32_e32 v26, v2
; %bb.4655:                             ;   in Loop: Header=BB6_3598 Depth=2
	s_or_b64 exec, exec, s[18:19]
	v_lshrrev_b64 v[8:9], 20, v[26:27]
	v_cmp_gt_i32_e32 vcc, 16, v7
	v_cndmask_b32_e32 v9, 0, v9, vcc
	v_cndmask_b32_e32 v8, 7, v8, vcc
	v_min_i32_e32 v2, 15, v7
	v_cmp_eq_u64_e64 s[18:19], 0, v[8:9]
	v_lshlrev_b32_e32 v2, 3, v2
	v_cmp_eq_u32_e32 vcc, 0, v7
	v_and_b32_e32 v2, 0xf8, v2
	v_and_or_b32 v2, v8, 7, v2
	s_and_b64 s[18:19], vcc, s[18:19]
	v_cndmask_b32_e64 v2, v2, 0, s[18:19]
	v_or_b32_e32 v45, v2, v6
.LBB6_4656:                             ;   in Loop: Header=BB6_3598 Depth=2
	s_or_b64 exec, exec, s[88:89]
                                        ; implicit-def: $vgpr6
.LBB6_4657:                             ;   in Loop: Header=BB6_3598 Depth=2
	s_andn2_saveexec_b64 s[18:19], s[78:79]
; %bb.4658:                             ;   in Loop: Header=BB6_3598 Depth=2
	v_or_b32_e32 v45, 0x7e, v6
; %bb.4659:                             ;   in Loop: Header=BB6_3598 Depth=2
	s_or_b64 exec, exec, s[18:19]
                                        ; implicit-def: $vgpr7
.LBB6_4660:                             ;   in Loop: Header=BB6_3598 Depth=2
	s_andn2_saveexec_b64 s[18:19], s[76:77]
; %bb.4661:                             ;   in Loop: Header=BB6_3598 Depth=2
	v_or_b32_sdwa v45, v7, s50 dst_sel:DWORD dst_unused:UNUSED_PAD src0_sel:BYTE_3 src1_sel:DWORD
; %bb.4662:                             ;   in Loop: Header=BB6_3598 Depth=2
	s_or_b64 exec, exec, s[18:19]
	v_lshrrev_b32_e32 v2, 16, v23
	v_cmp_ne_u16_sdwa s[76:77], v2, v3 src0_sel:BYTE_0 src1_sel:DWORD
	v_mov_b32_e32 v6, 0
	v_mov_b32_e32 v7, 0
	s_and_saveexec_b64 s[18:19], s[76:77]
	s_cbranch_execz .LBB6_4668
; %bb.4663:                             ;   in Loop: Header=BB6_3598 Depth=2
	v_cmp_ne_u16_sdwa s[78:79], v2, s49 src0_sel:BYTE_0 src1_sel:DWORD
	v_bfrev_b32_e32 v7, 1
	s_and_saveexec_b64 s[76:77], s[78:79]
	s_cbranch_execz .LBB6_4667
; %bb.4664:                             ;   in Loop: Header=BB6_3598 Depth=2
	v_bfe_u32 v8, v23, 16, 7
	v_cmp_ne_u32_e32 vcc, s50, v8
	v_mov_b32_e32 v7, 0x7f800001
	s_and_saveexec_b64 s[78:79], vcc
	s_cbranch_execz .LBB6_4666
; %bb.4665:                             ;   in Loop: Header=BB6_3598 Depth=2
	v_and_b32_e32 v9, 7, v2
	v_ffbh_u32_e32 v7, v9
	v_min_u32_e32 v27, 32, v7
	v_subrev_u32_e32 v7, 28, v27
	v_lshrrev_b32_e32 v26, 3, v8
	v_cmp_gt_u32_e32 vcc, 8, v8
	v_lshlrev_b64 v[7:8], v7, v[2:3]
	v_sub_u32_e32 v8, 29, v27
	v_and_b32_e32 v7, 7, v7
	v_cndmask_b32_e32 v8, v26, v8, vcc
	v_cndmask_b32_e32 v7, v9, v7, vcc
	v_lshlrev_b32_e32 v2, 24, v2
	v_lshlrev_b32_e32 v7, 20, v7
	v_and_b32_e32 v2, 0x80000000, v2
	v_lshl_add_u32 v8, v8, 23, v57
	v_or3_b32 v7, v2, v8, v7
.LBB6_4666:                             ;   in Loop: Header=BB6_3598 Depth=2
	s_or_b64 exec, exec, s[78:79]
.LBB6_4667:                             ;   in Loop: Header=BB6_3598 Depth=2
	s_or_b64 exec, exec, s[76:77]
.LBB6_4668:                             ;   in Loop: Header=BB6_3598 Depth=2
	s_or_b64 exec, exec, s[18:19]
	v_lshrrev_b32_e32 v2, 16, v19
	v_cmp_ne_u16_sdwa s[76:77], v2, v3 src0_sel:BYTE_0 src1_sel:DWORD
	s_and_saveexec_b64 s[18:19], s[76:77]
	s_cbranch_execz .LBB6_4674
; %bb.4669:                             ;   in Loop: Header=BB6_3598 Depth=2
	v_cmp_ne_u16_sdwa s[78:79], v2, s49 src0_sel:BYTE_0 src1_sel:DWORD
	v_bfrev_b32_e32 v6, 1
	s_and_saveexec_b64 s[76:77], s[78:79]
	s_cbranch_execz .LBB6_4673
; %bb.4670:                             ;   in Loop: Header=BB6_3598 Depth=2
	v_bfe_u32 v8, v19, 16, 7
	v_cmp_ne_u32_e32 vcc, s50, v8
	v_mov_b32_e32 v6, 0x7f800001
	s_and_saveexec_b64 s[78:79], vcc
	s_cbranch_execz .LBB6_4672
; %bb.4671:                             ;   in Loop: Header=BB6_3598 Depth=2
	v_and_b32_e32 v6, 7, v2
	v_lshrrev_b32_e32 v26, 3, v8
	v_cmp_gt_u32_e32 vcc, 8, v8
	v_ffbh_u32_e32 v8, v6
	v_min_u32_e32 v27, 32, v8
	v_subrev_u32_e32 v8, 28, v27
	v_lshlrev_b64 v[8:9], v8, v[2:3]
	v_sub_u32_e32 v2, 29, v27
	v_and_b32_e32 v8, 7, v8
	v_cndmask_b32_e32 v2, v26, v2, vcc
	v_cndmask_b32_e32 v6, v6, v8, vcc
	v_lshlrev_b32_e32 v8, 8, v19
	v_lshlrev_b32_e32 v6, 20, v6
	v_and_b32_e32 v8, 0x80000000, v8
	v_lshl_add_u32 v2, v2, 23, v57
	v_or3_b32 v6, v8, v2, v6
.LBB6_4672:                             ;   in Loop: Header=BB6_3598 Depth=2
	s_or_b64 exec, exec, s[78:79]
.LBB6_4673:                             ;   in Loop: Header=BB6_3598 Depth=2
	s_or_b64 exec, exec, s[76:77]
.LBB6_4674:                             ;   in Loop: Header=BB6_3598 Depth=2
	s_or_b64 exec, exec, s[18:19]
	v_add_f32_e32 v7, v7, v6
	v_and_b32_e32 v2, 0x7f800000, v7
	v_cmp_ne_u64_e32 vcc, s[46:47], v[2:3]
                                        ; implicit-def: $vgpr26
	s_and_saveexec_b64 s[18:19], vcc
	s_xor_b64 s[76:77], exec, s[18:19]
	s_cbranch_execz .LBB6_4688
; %bb.4675:                             ;   in Loop: Header=BB6_3598 Depth=2
	v_and_b32_e32 v2, 0x7fffffff, v7
	v_cmp_gt_u64_e32 vcc, s[56:57], v[2:3]
	v_and_b32_sdwa v6, v7, s49 dst_sel:DWORD dst_unused:UNUSED_PAD src0_sel:BYTE_3 src1_sel:DWORD
                                        ; implicit-def: $vgpr26
	s_and_saveexec_b64 s[18:19], vcc
	s_xor_b64 s[78:79], exec, s[18:19]
	s_cbranch_execz .LBB6_4685
; %bb.4676:                             ;   in Loop: Header=BB6_3598 Depth=2
	v_mov_b32_e32 v26, 0
	v_cmp_ne_u32_e32 vcc, 0, v7
	s_and_saveexec_b64 s[88:89], vcc
	s_cbranch_execz .LBB6_4684
; %bb.4677:                             ;   in Loop: Header=BB6_3598 Depth=2
	v_and_b32_e32 v2, 0x7fffff, v7
	v_bfe_u32 v7, v7, 23, 8
	v_cmp_gt_u32_e64 s[18:19], s51, v7
	v_sub_u32_e32 v8, 0x79, v7
	v_cmp_eq_u32_e32 vcc, 0, v7
	v_cndmask_b32_e64 v8, 0, v8, s[18:19]
	v_mov_b32_e32 v26, 0x78
	v_or_b32_e32 v9, 0x800000, v2
	v_cndmask_b32_e32 v8, v8, v26, vcc
	v_cndmask_b32_e32 v2, v9, v2, vcc
	v_add_u32_e32 v9, 20, v8
	v_lshlrev_b64 v[26:27], v9, -1
	v_add_u32_e32 v9, 19, v8
	v_lshlrev_b64 v[48:49], v9, 1
	v_bfi_b32 v27, v27, 0, 0
	v_bfi_b32 v26, v26, 0, v2
	v_cmp_eq_u64_e64 s[18:19], v[26:27], v[48:49]
	v_lshrrev_b64 v[26:27], v8, v[2:3]
	v_mov_b32_e32 v28, v27
	v_mov_b32_e32 v27, v26
	s_and_saveexec_b64 s[90:91], s[18:19]
; %bb.4678:                             ;   in Loop: Header=BB6_3598 Depth=2
	v_bfe_u32 v2, v26, 20, 1
	v_add_co_u32_e64 v2, s[18:19], v26, v2
	v_add_co_u32_e64 v27, s[18:19], -1, v2
; %bb.4679:                             ;   in Loop: Header=BB6_3598 Depth=2
	s_or_b64 exec, exec, s[90:91]
	v_add_u32_e32 v2, 0xffffff81, v7
	v_mov_b32_e32 v7, 0xffffff82
	v_cndmask_b32_e32 v2, v2, v7, vcc
	v_lshrrev_b32_e32 v7, 23, v26
	v_add3_u32 v9, v8, v2, v7
	v_add_u32_e32 v8, 6, v9
	v_and_b32_e32 v2, 0xfffff, v27
	v_add_u32_e32 v2, v2, v26
	v_cmp_ne_u32_e32 vcc, 0, v8
                                        ; implicit-def: $vgpr26_vgpr27
                                        ; implicit-def: $vgpr7
	s_and_saveexec_b64 s[18:19], vcc
	s_xor_b64 s[18:19], exec, s[18:19]
; %bb.4680:                             ;   in Loop: Header=BB6_3598 Depth=2
	v_cmp_lt_u64_e32 vcc, s[58:59], v[2:3]
	v_add_u32_e32 v7, 7, v9
	v_cndmask_b32_e32 v7, v8, v7, vcc
	v_cndmask_b32_e64 v8, 0, 1, vcc
	v_lshrrev_b64 v[26:27], v8, v[2:3]
; %bb.4681:                             ;   in Loop: Header=BB6_3598 Depth=2
	s_andn2_saveexec_b64 s[18:19], s[18:19]
; %bb.4682:                             ;   in Loop: Header=BB6_3598 Depth=2
	v_mov_b32_e32 v27, v3
	v_bfe_u32 v7, v2, 23, 1
	v_mov_b32_e32 v26, v2
; %bb.4683:                             ;   in Loop: Header=BB6_3598 Depth=2
	s_or_b64 exec, exec, s[18:19]
	v_lshrrev_b64 v[8:9], 20, v[26:27]
	v_cmp_gt_i32_e32 vcc, 16, v7
	v_cndmask_b32_e32 v9, 0, v9, vcc
	v_cndmask_b32_e32 v8, 7, v8, vcc
	v_min_i32_e32 v2, 15, v7
	v_cmp_eq_u64_e64 s[18:19], 0, v[8:9]
	v_lshlrev_b32_e32 v2, 3, v2
	v_cmp_eq_u32_e32 vcc, 0, v7
	v_and_b32_e32 v2, 0xf8, v2
	v_and_or_b32 v2, v8, 7, v2
	s_and_b64 s[18:19], vcc, s[18:19]
	v_cndmask_b32_e64 v2, v2, 0, s[18:19]
	v_or_b32_e32 v26, v2, v6
.LBB6_4684:                             ;   in Loop: Header=BB6_3598 Depth=2
	s_or_b64 exec, exec, s[88:89]
                                        ; implicit-def: $vgpr6
.LBB6_4685:                             ;   in Loop: Header=BB6_3598 Depth=2
	s_andn2_saveexec_b64 s[18:19], s[78:79]
; %bb.4686:                             ;   in Loop: Header=BB6_3598 Depth=2
	v_or_b32_e32 v26, 0x7e, v6
; %bb.4687:                             ;   in Loop: Header=BB6_3598 Depth=2
	s_or_b64 exec, exec, s[18:19]
                                        ; implicit-def: $vgpr7
.LBB6_4688:                             ;   in Loop: Header=BB6_3598 Depth=2
	s_andn2_saveexec_b64 s[18:19], s[76:77]
; %bb.4689:                             ;   in Loop: Header=BB6_3598 Depth=2
	v_or_b32_sdwa v26, v7, s50 dst_sel:DWORD dst_unused:UNUSED_PAD src0_sel:BYTE_3 src1_sel:DWORD
; %bb.4690:                             ;   in Loop: Header=BB6_3598 Depth=2
	s_or_b64 exec, exec, s[18:19]
	v_cmp_lt_u64_e32 vcc, s[60:61], v[22:23]
	v_mov_b32_e32 v6, 0
	v_mov_b32_e32 v7, 0
	s_and_saveexec_b64 s[18:19], vcc
	s_cbranch_execz .LBB6_4696
; %bb.4691:                             ;   in Loop: Header=BB6_3598 Depth=2
	v_lshrrev_b32_e32 v2, 24, v23
	v_cmp_ne_u32_e32 vcc, s49, v2
	v_bfrev_b32_e32 v7, 1
	s_and_saveexec_b64 s[76:77], vcc
	s_cbranch_execz .LBB6_4695
; %bb.4692:                             ;   in Loop: Header=BB6_3598 Depth=2
	v_bfe_u32 v8, v23, 24, 7
	v_cmp_ne_u32_e32 vcc, s50, v8
	v_mov_b32_e32 v7, 0x7f800001
	s_and_saveexec_b64 s[78:79], vcc
	s_cbranch_execz .LBB6_4694
; %bb.4693:                             ;   in Loop: Header=BB6_3598 Depth=2
	v_and_b32_e32 v9, 7, v2
	v_ffbh_u32_e32 v7, v9
	v_min_u32_e32 v23, 32, v7
	v_subrev_u32_e32 v7, 28, v23
	v_lshrrev_b32_e32 v22, 3, v8
	v_cmp_gt_u32_e32 vcc, 8, v8
	v_lshlrev_b64 v[7:8], v7, v[2:3]
	v_sub_u32_e32 v8, 29, v23
	v_and_b32_e32 v7, 7, v7
	v_cndmask_b32_e32 v8, v22, v8, vcc
	v_cndmask_b32_e32 v7, v9, v7, vcc
	v_lshlrev_b32_e32 v2, 24, v2
	v_lshlrev_b32_e32 v7, 20, v7
	v_and_b32_e32 v2, 0x80000000, v2
	v_lshl_add_u32 v8, v8, 23, v57
	v_or3_b32 v7, v2, v8, v7
.LBB6_4694:                             ;   in Loop: Header=BB6_3598 Depth=2
	s_or_b64 exec, exec, s[78:79]
.LBB6_4695:                             ;   in Loop: Header=BB6_3598 Depth=2
	s_or_b64 exec, exec, s[76:77]
.LBB6_4696:                             ;   in Loop: Header=BB6_3598 Depth=2
	s_or_b64 exec, exec, s[18:19]
	v_cmp_lt_u64_e32 vcc, s[60:61], v[18:19]
	s_and_saveexec_b64 s[18:19], vcc
	s_cbranch_execz .LBB6_4702
; %bb.4697:                             ;   in Loop: Header=BB6_3598 Depth=2
	v_lshrrev_b32_e32 v2, 24, v19
	v_cmp_ne_u32_e32 vcc, s49, v2
	v_bfrev_b32_e32 v6, 1
	s_and_saveexec_b64 s[76:77], vcc
	s_cbranch_execz .LBB6_4701
; %bb.4698:                             ;   in Loop: Header=BB6_3598 Depth=2
	v_bfe_u32 v8, v19, 24, 7
	v_cmp_ne_u32_e32 vcc, s50, v8
	v_mov_b32_e32 v6, 0x7f800001
	s_and_saveexec_b64 s[78:79], vcc
	s_cbranch_execz .LBB6_4700
; %bb.4699:                             ;   in Loop: Header=BB6_3598 Depth=2
	v_and_b32_e32 v6, 7, v2
	v_lshrrev_b32_e32 v18, 3, v8
	v_cmp_gt_u32_e32 vcc, 8, v8
	v_ffbh_u32_e32 v8, v6
	v_min_u32_e32 v19, 32, v8
	v_subrev_u32_e32 v8, 28, v19
	v_lshlrev_b64 v[8:9], v8, v[2:3]
	v_sub_u32_e32 v9, 29, v19
	v_and_b32_e32 v8, 7, v8
	v_cndmask_b32_e32 v9, v18, v9, vcc
	v_cndmask_b32_e32 v6, v6, v8, vcc
	v_lshlrev_b32_e32 v2, 24, v2
	v_lshlrev_b32_e32 v6, 20, v6
	v_and_b32_e32 v2, 0x80000000, v2
	v_lshl_add_u32 v8, v9, 23, v57
	v_or3_b32 v6, v2, v8, v6
.LBB6_4700:                             ;   in Loop: Header=BB6_3598 Depth=2
	s_or_b64 exec, exec, s[78:79]
.LBB6_4701:                             ;   in Loop: Header=BB6_3598 Depth=2
	s_or_b64 exec, exec, s[76:77]
.LBB6_4702:                             ;   in Loop: Header=BB6_3598 Depth=2
	s_or_b64 exec, exec, s[18:19]
	v_add_f32_e32 v7, v7, v6
	v_and_b32_e32 v2, 0x7f800000, v7
	v_cmp_ne_u64_e32 vcc, s[46:47], v[2:3]
                                        ; implicit-def: $vgpr27
	s_and_saveexec_b64 s[18:19], vcc
	s_xor_b64 s[76:77], exec, s[18:19]
	s_cbranch_execz .LBB6_4716
; %bb.4703:                             ;   in Loop: Header=BB6_3598 Depth=2
	v_and_b32_e32 v2, 0x7fffffff, v7
	v_cmp_gt_u64_e32 vcc, s[56:57], v[2:3]
	v_and_b32_sdwa v6, v7, s49 dst_sel:DWORD dst_unused:UNUSED_PAD src0_sel:BYTE_3 src1_sel:DWORD
                                        ; implicit-def: $vgpr27
	s_and_saveexec_b64 s[18:19], vcc
	s_xor_b64 s[78:79], exec, s[18:19]
	s_cbranch_execz .LBB6_4713
; %bb.4704:                             ;   in Loop: Header=BB6_3598 Depth=2
	v_mov_b32_e32 v27, 0
	v_cmp_ne_u32_e32 vcc, 0, v7
	s_and_saveexec_b64 s[88:89], vcc
	s_cbranch_execz .LBB6_4712
; %bb.4705:                             ;   in Loop: Header=BB6_3598 Depth=2
	v_and_b32_e32 v2, 0x7fffff, v7
	v_bfe_u32 v7, v7, 23, 8
	v_cmp_gt_u32_e64 s[18:19], s51, v7
	v_sub_u32_e32 v8, 0x79, v7
	v_cmp_eq_u32_e32 vcc, 0, v7
	v_cndmask_b32_e64 v8, 0, v8, s[18:19]
	v_mov_b32_e32 v18, 0x78
	v_or_b32_e32 v9, 0x800000, v2
	v_cndmask_b32_e32 v8, v8, v18, vcc
	v_cndmask_b32_e32 v2, v9, v2, vcc
	v_add_u32_e32 v9, 20, v8
	v_lshlrev_b64 v[18:19], v9, -1
	v_add_u32_e32 v9, 19, v8
	v_lshlrev_b64 v[22:23], v9, 1
	v_bfi_b32 v19, v19, 0, 0
	v_bfi_b32 v18, v18, 0, v2
	v_cmp_eq_u64_e64 s[18:19], v[18:19], v[22:23]
	v_lshrrev_b64 v[18:19], v8, v[2:3]
	v_mov_b32_e32 v23, v19
	v_mov_b32_e32 v22, v18
	s_and_saveexec_b64 s[90:91], s[18:19]
; %bb.4706:                             ;   in Loop: Header=BB6_3598 Depth=2
	v_bfe_u32 v2, v18, 20, 1
	v_add_co_u32_e64 v2, s[18:19], v18, v2
	v_add_co_u32_e64 v22, s[18:19], -1, v2
; %bb.4707:                             ;   in Loop: Header=BB6_3598 Depth=2
	s_or_b64 exec, exec, s[90:91]
	v_add_u32_e32 v2, 0xffffff81, v7
	v_mov_b32_e32 v7, 0xffffff82
	v_cndmask_b32_e32 v2, v2, v7, vcc
	v_lshrrev_b32_e32 v7, 23, v18
	v_add3_u32 v9, v8, v2, v7
	v_add_u32_e32 v8, 6, v9
	v_and_b32_e32 v2, 0xfffff, v22
	v_add_u32_e32 v2, v2, v18
	v_cmp_ne_u32_e32 vcc, 0, v8
                                        ; implicit-def: $vgpr18_vgpr19
                                        ; implicit-def: $vgpr7
	s_and_saveexec_b64 s[18:19], vcc
	s_xor_b64 s[18:19], exec, s[18:19]
; %bb.4708:                             ;   in Loop: Header=BB6_3598 Depth=2
	v_cmp_lt_u64_e32 vcc, s[58:59], v[2:3]
	v_add_u32_e32 v7, 7, v9
	v_cndmask_b32_e32 v7, v8, v7, vcc
	v_cndmask_b32_e64 v8, 0, 1, vcc
	v_lshrrev_b64 v[18:19], v8, v[2:3]
; %bb.4709:                             ;   in Loop: Header=BB6_3598 Depth=2
	s_andn2_saveexec_b64 s[18:19], s[18:19]
; %bb.4710:                             ;   in Loop: Header=BB6_3598 Depth=2
	v_mov_b32_e32 v19, v3
	v_bfe_u32 v7, v2, 23, 1
	v_mov_b32_e32 v18, v2
; %bb.4711:                             ;   in Loop: Header=BB6_3598 Depth=2
	s_or_b64 exec, exec, s[18:19]
	v_lshrrev_b64 v[8:9], 20, v[18:19]
	v_cmp_gt_i32_e32 vcc, 16, v7
	v_cndmask_b32_e32 v9, 0, v9, vcc
	v_cndmask_b32_e32 v8, 7, v8, vcc
	v_min_i32_e32 v2, 15, v7
	v_cmp_eq_u64_e64 s[18:19], 0, v[8:9]
	v_lshlrev_b32_e32 v2, 3, v2
	v_cmp_eq_u32_e32 vcc, 0, v7
	v_and_b32_e32 v2, 0xf8, v2
	v_and_or_b32 v2, v8, 7, v2
	s_and_b64 s[18:19], vcc, s[18:19]
	v_cndmask_b32_e64 v2, v2, 0, s[18:19]
	v_or_b32_e32 v27, v2, v6
.LBB6_4712:                             ;   in Loop: Header=BB6_3598 Depth=2
	s_or_b64 exec, exec, s[88:89]
                                        ; implicit-def: $vgpr6
.LBB6_4713:                             ;   in Loop: Header=BB6_3598 Depth=2
	s_andn2_saveexec_b64 s[18:19], s[78:79]
; %bb.4714:                             ;   in Loop: Header=BB6_3598 Depth=2
	v_or_b32_e32 v27, 0x7e, v6
; %bb.4715:                             ;   in Loop: Header=BB6_3598 Depth=2
	s_or_b64 exec, exec, s[18:19]
                                        ; implicit-def: $vgpr7
.LBB6_4716:                             ;   in Loop: Header=BB6_3598 Depth=2
	s_andn2_saveexec_b64 s[18:19], s[76:77]
; %bb.4717:                             ;   in Loop: Header=BB6_3598 Depth=2
	v_or_b32_sdwa v27, v7, s50 dst_sel:DWORD dst_unused:UNUSED_PAD src0_sel:BYTE_3 src1_sel:DWORD
; %bb.4718:                             ;   in Loop: Header=BB6_3598 Depth=2
	s_or_b64 exec, exec, s[18:19]
	v_cmp_ne_u16_sdwa s[76:77], v24, v3 src0_sel:BYTE_0 src1_sel:DWORD
	v_mov_b32_e32 v2, 0
	v_mov_b32_e32 v6, 0
	s_and_saveexec_b64 s[18:19], s[76:77]
	s_cbranch_execz .LBB6_4724
; %bb.4719:                             ;   in Loop: Header=BB6_3598 Depth=2
	v_cmp_ne_u16_sdwa s[78:79], v24, s49 src0_sel:BYTE_0 src1_sel:DWORD
	v_bfrev_b32_e32 v6, 1
	s_and_saveexec_b64 s[76:77], s[78:79]
	s_cbranch_execz .LBB6_4723
; %bb.4720:                             ;   in Loop: Header=BB6_3598 Depth=2
	v_and_b32_e32 v7, 0x7f, v24
	v_cmp_ne_u32_e32 vcc, s50, v7
	v_mov_b32_e32 v6, 0x7f800001
	s_and_saveexec_b64 s[78:79], vcc
	s_cbranch_execz .LBB6_4722
; %bb.4721:                             ;   in Loop: Header=BB6_3598 Depth=2
	v_and_b32_e32 v6, 7, v24
	v_ffbh_u32_e32 v6, v6
	v_min_u32_e32 v6, 32, v6
	v_lshrrev_b32_e32 v8, 3, v7
	v_cmp_gt_u32_e32 vcc, 8, v7
	v_subrev_u32_e32 v7, 28, v6
	v_sub_u32_e32 v6, 29, v6
	v_cndmask_b32_e32 v8, v8, v6, vcc
	v_cndmask_b32_e32 v6, 0, v7, vcc
	v_lshlrev_b64 v[6:7], v6, v[24:25]
	v_lshlrev_b32_e32 v7, 24, v24
	v_lshlrev_b32_e32 v6, 20, v6
	v_and_b32_e32 v6, 0x700000, v6
	v_and_b32_e32 v7, 0x80000000, v7
	v_lshl_add_u32 v8, v8, 23, v57
	v_or3_b32 v6, v7, v8, v6
.LBB6_4722:                             ;   in Loop: Header=BB6_3598 Depth=2
	s_or_b64 exec, exec, s[78:79]
.LBB6_4723:                             ;   in Loop: Header=BB6_3598 Depth=2
	s_or_b64 exec, exec, s[76:77]
.LBB6_4724:                             ;   in Loop: Header=BB6_3598 Depth=2
	s_or_b64 exec, exec, s[18:19]
	v_cmp_ne_u16_sdwa s[76:77], v20, v3 src0_sel:BYTE_0 src1_sel:DWORD
	s_and_saveexec_b64 s[18:19], s[76:77]
	s_cbranch_execz .LBB6_4730
; %bb.4725:                             ;   in Loop: Header=BB6_3598 Depth=2
	v_cmp_ne_u16_sdwa s[78:79], v20, s49 src0_sel:BYTE_0 src1_sel:DWORD
	v_bfrev_b32_e32 v2, 1
	s_and_saveexec_b64 s[76:77], s[78:79]
	s_cbranch_execz .LBB6_4729
; %bb.4726:                             ;   in Loop: Header=BB6_3598 Depth=2
	v_and_b32_e32 v7, 0x7f, v20
	v_cmp_ne_u32_e32 vcc, s50, v7
	v_mov_b32_e32 v2, 0x7f800001
	s_and_saveexec_b64 s[78:79], vcc
	s_cbranch_execz .LBB6_4728
; %bb.4727:                             ;   in Loop: Header=BB6_3598 Depth=2
	v_and_b32_e32 v2, 7, v20
	v_ffbh_u32_e32 v2, v2
	v_min_u32_e32 v2, 32, v2
	v_lshrrev_b32_e32 v8, 3, v7
	v_cmp_gt_u32_e32 vcc, 8, v7
	v_subrev_u32_e32 v7, 28, v2
	v_sub_u32_e32 v2, 29, v2
	v_cndmask_b32_e32 v7, 0, v7, vcc
	v_cndmask_b32_e32 v2, v8, v2, vcc
	v_lshlrev_b64 v[7:8], v7, v[20:21]
	v_lshlrev_b32_e32 v8, 24, v20
	v_lshlrev_b32_e32 v7, 20, v7
	v_and_b32_e32 v7, 0x700000, v7
	v_and_b32_e32 v8, 0x80000000, v8
	v_lshl_add_u32 v2, v2, 23, v57
	v_or3_b32 v2, v8, v2, v7
.LBB6_4728:                             ;   in Loop: Header=BB6_3598 Depth=2
	s_or_b64 exec, exec, s[78:79]
.LBB6_4729:                             ;   in Loop: Header=BB6_3598 Depth=2
	s_or_b64 exec, exec, s[76:77]
.LBB6_4730:                             ;   in Loop: Header=BB6_3598 Depth=2
	s_or_b64 exec, exec, s[18:19]
	v_add_f32_e32 v7, v6, v2
	v_and_b32_e32 v2, 0x7f800000, v7
	v_cmp_ne_u64_e32 vcc, s[46:47], v[2:3]
                                        ; implicit-def: $vgpr28
	s_and_saveexec_b64 s[18:19], vcc
	s_xor_b64 s[76:77], exec, s[18:19]
	s_cbranch_execz .LBB6_4744
; %bb.4731:                             ;   in Loop: Header=BB6_3598 Depth=2
	v_and_b32_e32 v2, 0x7fffffff, v7
	v_cmp_gt_u64_e32 vcc, s[56:57], v[2:3]
	v_and_b32_sdwa v6, v7, s49 dst_sel:DWORD dst_unused:UNUSED_PAD src0_sel:BYTE_3 src1_sel:DWORD
                                        ; implicit-def: $vgpr28
	s_and_saveexec_b64 s[18:19], vcc
	s_xor_b64 s[78:79], exec, s[18:19]
	s_cbranch_execz .LBB6_4741
; %bb.4732:                             ;   in Loop: Header=BB6_3598 Depth=2
	v_mov_b32_e32 v28, 0
	v_cmp_ne_u32_e32 vcc, 0, v7
	s_and_saveexec_b64 s[88:89], vcc
	s_cbranch_execz .LBB6_4740
; %bb.4733:                             ;   in Loop: Header=BB6_3598 Depth=2
	v_and_b32_e32 v2, 0x7fffff, v7
	v_bfe_u32 v7, v7, 23, 8
	v_cmp_gt_u32_e64 s[18:19], s51, v7
	v_sub_u32_e32 v8, 0x79, v7
	v_cmp_eq_u32_e32 vcc, 0, v7
	v_cndmask_b32_e64 v8, 0, v8, s[18:19]
	v_mov_b32_e32 v18, 0x78
	v_or_b32_e32 v9, 0x800000, v2
	v_cndmask_b32_e32 v8, v8, v18, vcc
	v_cndmask_b32_e32 v2, v9, v2, vcc
	v_add_u32_e32 v9, 20, v8
	v_lshlrev_b64 v[18:19], v9, -1
	v_add_u32_e32 v9, 19, v8
	v_lshlrev_b64 v[22:23], v9, 1
	v_bfi_b32 v19, v19, 0, 0
	v_bfi_b32 v18, v18, 0, v2
	v_cmp_eq_u64_e64 s[18:19], v[18:19], v[22:23]
	v_lshrrev_b64 v[18:19], v8, v[2:3]
	v_mov_b32_e32 v23, v19
	v_mov_b32_e32 v22, v18
	s_and_saveexec_b64 s[90:91], s[18:19]
; %bb.4734:                             ;   in Loop: Header=BB6_3598 Depth=2
	v_bfe_u32 v2, v18, 20, 1
	v_add_co_u32_e64 v2, s[18:19], v18, v2
	v_add_co_u32_e64 v22, s[18:19], -1, v2
; %bb.4735:                             ;   in Loop: Header=BB6_3598 Depth=2
	s_or_b64 exec, exec, s[90:91]
	v_add_u32_e32 v2, 0xffffff81, v7
	v_mov_b32_e32 v7, 0xffffff82
	v_cndmask_b32_e32 v2, v2, v7, vcc
	v_lshrrev_b32_e32 v7, 23, v18
	v_add3_u32 v9, v8, v2, v7
	v_add_u32_e32 v8, 6, v9
	v_and_b32_e32 v2, 0xfffff, v22
	v_add_u32_e32 v2, v2, v18
	v_cmp_ne_u32_e32 vcc, 0, v8
                                        ; implicit-def: $vgpr18_vgpr19
                                        ; implicit-def: $vgpr7
	s_and_saveexec_b64 s[18:19], vcc
	s_xor_b64 s[18:19], exec, s[18:19]
; %bb.4736:                             ;   in Loop: Header=BB6_3598 Depth=2
	v_cmp_lt_u64_e32 vcc, s[58:59], v[2:3]
	v_add_u32_e32 v7, 7, v9
	v_cndmask_b32_e32 v7, v8, v7, vcc
	v_cndmask_b32_e64 v8, 0, 1, vcc
	v_lshrrev_b64 v[18:19], v8, v[2:3]
; %bb.4737:                             ;   in Loop: Header=BB6_3598 Depth=2
	s_andn2_saveexec_b64 s[18:19], s[18:19]
; %bb.4738:                             ;   in Loop: Header=BB6_3598 Depth=2
	v_mov_b32_e32 v19, v3
	v_bfe_u32 v7, v2, 23, 1
	v_mov_b32_e32 v18, v2
; %bb.4739:                             ;   in Loop: Header=BB6_3598 Depth=2
	s_or_b64 exec, exec, s[18:19]
	v_lshrrev_b64 v[8:9], 20, v[18:19]
	v_cmp_gt_i32_e32 vcc, 16, v7
	v_cndmask_b32_e32 v9, 0, v9, vcc
	v_cndmask_b32_e32 v8, 7, v8, vcc
	v_min_i32_e32 v2, 15, v7
	v_cmp_eq_u64_e64 s[18:19], 0, v[8:9]
	v_lshlrev_b32_e32 v2, 3, v2
	v_cmp_eq_u32_e32 vcc, 0, v7
	v_and_b32_e32 v2, 0xf8, v2
	v_and_or_b32 v2, v8, 7, v2
	s_and_b64 s[18:19], vcc, s[18:19]
	v_cndmask_b32_e64 v2, v2, 0, s[18:19]
	v_or_b32_e32 v28, v2, v6
.LBB6_4740:                             ;   in Loop: Header=BB6_3598 Depth=2
	s_or_b64 exec, exec, s[88:89]
                                        ; implicit-def: $vgpr6
.LBB6_4741:                             ;   in Loop: Header=BB6_3598 Depth=2
	s_andn2_saveexec_b64 s[18:19], s[78:79]
; %bb.4742:                             ;   in Loop: Header=BB6_3598 Depth=2
	v_or_b32_e32 v28, 0x7e, v6
; %bb.4743:                             ;   in Loop: Header=BB6_3598 Depth=2
	s_or_b64 exec, exec, s[18:19]
                                        ; implicit-def: $vgpr7
.LBB6_4744:                             ;   in Loop: Header=BB6_3598 Depth=2
	s_andn2_saveexec_b64 s[18:19], s[76:77]
; %bb.4745:                             ;   in Loop: Header=BB6_3598 Depth=2
	v_or_b32_sdwa v28, v7, s50 dst_sel:DWORD dst_unused:UNUSED_PAD src0_sel:BYTE_3 src1_sel:DWORD
; %bb.4746:                             ;   in Loop: Header=BB6_3598 Depth=2
	s_or_b64 exec, exec, s[18:19]
	v_lshrrev_b16_e32 v2, 8, v24
	v_cmp_ne_u16_e32 vcc, 0, v2
	v_mov_b32_e32 v6, 0
	v_mov_b32_e32 v7, 0
	s_and_saveexec_b64 s[18:19], vcc
	s_cbranch_execz .LBB6_4752
; %bb.4747:                             ;   in Loop: Header=BB6_3598 Depth=2
	v_cmp_ne_u16_e32 vcc, s49, v2
	v_bfrev_b32_e32 v7, 1
	s_and_saveexec_b64 s[76:77], vcc
	s_cbranch_execz .LBB6_4751
; %bb.4748:                             ;   in Loop: Header=BB6_3598 Depth=2
	v_and_b32_e32 v8, 0x7f, v2
	v_cmp_ne_u32_e32 vcc, s50, v8
	v_mov_b32_e32 v7, 0x7f800001
	s_and_saveexec_b64 s[78:79], vcc
	s_cbranch_execz .LBB6_4750
; %bb.4749:                             ;   in Loop: Header=BB6_3598 Depth=2
	v_and_b32_e32 v9, 7, v2
	v_ffbh_u32_e32 v7, v9
	v_min_u32_e32 v19, 32, v7
	v_subrev_u32_e32 v7, 28, v19
	v_lshrrev_b32_e32 v18, 3, v8
	v_cmp_gt_u32_e32 vcc, 8, v8
	v_lshlrev_b64 v[7:8], v7, v[2:3]
	v_sub_u32_e32 v2, 29, v19
	v_and_b32_e32 v7, 7, v7
	v_cndmask_b32_e32 v2, v18, v2, vcc
	v_cndmask_b32_e32 v7, v9, v7, vcc
	v_lshlrev_b32_e32 v8, 16, v24
	v_lshlrev_b32_e32 v7, 20, v7
	v_and_b32_e32 v8, 0x80000000, v8
	v_lshl_add_u32 v2, v2, 23, v57
	v_or3_b32 v7, v8, v2, v7
.LBB6_4750:                             ;   in Loop: Header=BB6_3598 Depth=2
	s_or_b64 exec, exec, s[78:79]
.LBB6_4751:                             ;   in Loop: Header=BB6_3598 Depth=2
	s_or_b64 exec, exec, s[76:77]
.LBB6_4752:                             ;   in Loop: Header=BB6_3598 Depth=2
	s_or_b64 exec, exec, s[18:19]
	v_lshrrev_b16_e32 v2, 8, v20
	v_cmp_ne_u16_e32 vcc, 0, v2
	s_and_saveexec_b64 s[18:19], vcc
	s_cbranch_execz .LBB6_4758
; %bb.4753:                             ;   in Loop: Header=BB6_3598 Depth=2
	v_cmp_ne_u16_e32 vcc, s49, v2
	v_bfrev_b32_e32 v6, 1
	s_and_saveexec_b64 s[76:77], vcc
	s_cbranch_execz .LBB6_4757
; %bb.4754:                             ;   in Loop: Header=BB6_3598 Depth=2
	v_and_b32_e32 v8, 0x7f, v2
	v_cmp_ne_u32_e32 vcc, s50, v8
	v_mov_b32_e32 v6, 0x7f800001
	s_and_saveexec_b64 s[78:79], vcc
	s_cbranch_execz .LBB6_4756
; %bb.4755:                             ;   in Loop: Header=BB6_3598 Depth=2
	v_and_b32_e32 v6, 7, v2
	v_lshrrev_b32_e32 v18, 3, v8
	v_cmp_gt_u32_e32 vcc, 8, v8
	v_ffbh_u32_e32 v8, v6
	v_min_u32_e32 v19, 32, v8
	v_subrev_u32_e32 v8, 28, v19
	v_lshlrev_b64 v[8:9], v8, v[2:3]
	v_sub_u32_e32 v2, 29, v19
	v_and_b32_e32 v8, 7, v8
	v_cndmask_b32_e32 v2, v18, v2, vcc
	v_cndmask_b32_e32 v6, v6, v8, vcc
	v_lshlrev_b32_e32 v8, 16, v20
	v_lshlrev_b32_e32 v6, 20, v6
	v_and_b32_e32 v8, 0x80000000, v8
	v_lshl_add_u32 v2, v2, 23, v57
	v_or3_b32 v6, v8, v2, v6
.LBB6_4756:                             ;   in Loop: Header=BB6_3598 Depth=2
	s_or_b64 exec, exec, s[78:79]
.LBB6_4757:                             ;   in Loop: Header=BB6_3598 Depth=2
	s_or_b64 exec, exec, s[76:77]
.LBB6_4758:                             ;   in Loop: Header=BB6_3598 Depth=2
	s_or_b64 exec, exec, s[18:19]
	v_add_f32_e32 v7, v7, v6
	v_and_b32_e32 v2, 0x7f800000, v7
	v_cmp_ne_u64_e32 vcc, s[46:47], v[2:3]
                                        ; implicit-def: $vgpr50
	s_and_saveexec_b64 s[18:19], vcc
	s_xor_b64 s[76:77], exec, s[18:19]
	s_cbranch_execz .LBB6_4772
; %bb.4759:                             ;   in Loop: Header=BB6_3598 Depth=2
	v_and_b32_e32 v2, 0x7fffffff, v7
	v_cmp_gt_u64_e32 vcc, s[56:57], v[2:3]
	v_and_b32_sdwa v6, v7, s49 dst_sel:DWORD dst_unused:UNUSED_PAD src0_sel:BYTE_3 src1_sel:DWORD
                                        ; implicit-def: $vgpr50
	s_and_saveexec_b64 s[18:19], vcc
	s_xor_b64 s[78:79], exec, s[18:19]
	s_cbranch_execz .LBB6_4769
; %bb.4760:                             ;   in Loop: Header=BB6_3598 Depth=2
	v_mov_b32_e32 v50, 0
	v_cmp_ne_u32_e32 vcc, 0, v7
	s_and_saveexec_b64 s[88:89], vcc
	s_cbranch_execz .LBB6_4768
; %bb.4761:                             ;   in Loop: Header=BB6_3598 Depth=2
	v_and_b32_e32 v2, 0x7fffff, v7
	v_bfe_u32 v7, v7, 23, 8
	v_cmp_gt_u32_e64 s[18:19], s51, v7
	v_sub_u32_e32 v8, 0x79, v7
	v_cmp_eq_u32_e32 vcc, 0, v7
	v_cndmask_b32_e64 v8, 0, v8, s[18:19]
	v_mov_b32_e32 v18, 0x78
	v_or_b32_e32 v9, 0x800000, v2
	v_cndmask_b32_e32 v8, v8, v18, vcc
	v_cndmask_b32_e32 v2, v9, v2, vcc
	v_add_u32_e32 v9, 20, v8
	v_lshlrev_b64 v[18:19], v9, -1
	v_add_u32_e32 v9, 19, v8
	v_lshlrev_b64 v[22:23], v9, 1
	v_bfi_b32 v19, v19, 0, 0
	v_bfi_b32 v18, v18, 0, v2
	v_cmp_eq_u64_e64 s[18:19], v[18:19], v[22:23]
	v_lshrrev_b64 v[18:19], v8, v[2:3]
	v_mov_b32_e32 v23, v19
	v_mov_b32_e32 v22, v18
	s_and_saveexec_b64 s[90:91], s[18:19]
; %bb.4762:                             ;   in Loop: Header=BB6_3598 Depth=2
	v_bfe_u32 v2, v18, 20, 1
	v_add_co_u32_e64 v2, s[18:19], v18, v2
	v_add_co_u32_e64 v22, s[18:19], -1, v2
; %bb.4763:                             ;   in Loop: Header=BB6_3598 Depth=2
	s_or_b64 exec, exec, s[90:91]
	v_add_u32_e32 v2, 0xffffff81, v7
	v_mov_b32_e32 v7, 0xffffff82
	v_cndmask_b32_e32 v2, v2, v7, vcc
	v_lshrrev_b32_e32 v7, 23, v18
	v_add3_u32 v9, v8, v2, v7
	v_add_u32_e32 v8, 6, v9
	v_and_b32_e32 v2, 0xfffff, v22
	v_add_u32_e32 v2, v2, v18
	v_cmp_ne_u32_e32 vcc, 0, v8
                                        ; implicit-def: $vgpr18_vgpr19
                                        ; implicit-def: $vgpr7
	s_and_saveexec_b64 s[18:19], vcc
	s_xor_b64 s[18:19], exec, s[18:19]
; %bb.4764:                             ;   in Loop: Header=BB6_3598 Depth=2
	v_cmp_lt_u64_e32 vcc, s[58:59], v[2:3]
	v_add_u32_e32 v7, 7, v9
	v_cndmask_b32_e32 v7, v8, v7, vcc
	v_cndmask_b32_e64 v8, 0, 1, vcc
	v_lshrrev_b64 v[18:19], v8, v[2:3]
; %bb.4765:                             ;   in Loop: Header=BB6_3598 Depth=2
	s_andn2_saveexec_b64 s[18:19], s[18:19]
; %bb.4766:                             ;   in Loop: Header=BB6_3598 Depth=2
	v_mov_b32_e32 v19, v3
	v_bfe_u32 v7, v2, 23, 1
	v_mov_b32_e32 v18, v2
; %bb.4767:                             ;   in Loop: Header=BB6_3598 Depth=2
	s_or_b64 exec, exec, s[18:19]
	v_lshrrev_b64 v[8:9], 20, v[18:19]
	v_cmp_gt_i32_e32 vcc, 16, v7
	v_cndmask_b32_e32 v9, 0, v9, vcc
	v_cndmask_b32_e32 v8, 7, v8, vcc
	v_min_i32_e32 v2, 15, v7
	v_cmp_eq_u64_e64 s[18:19], 0, v[8:9]
	v_lshlrev_b32_e32 v2, 3, v2
	v_cmp_eq_u32_e32 vcc, 0, v7
	v_and_b32_e32 v2, 0xf8, v2
	v_and_or_b32 v2, v8, 7, v2
	s_and_b64 s[18:19], vcc, s[18:19]
	v_cndmask_b32_e64 v2, v2, 0, s[18:19]
	v_or_b32_e32 v50, v2, v6
.LBB6_4768:                             ;   in Loop: Header=BB6_3598 Depth=2
	s_or_b64 exec, exec, s[88:89]
                                        ; implicit-def: $vgpr6
.LBB6_4769:                             ;   in Loop: Header=BB6_3598 Depth=2
	s_andn2_saveexec_b64 s[18:19], s[78:79]
; %bb.4770:                             ;   in Loop: Header=BB6_3598 Depth=2
	v_or_b32_e32 v50, 0x7e, v6
; %bb.4771:                             ;   in Loop: Header=BB6_3598 Depth=2
	s_or_b64 exec, exec, s[18:19]
                                        ; implicit-def: $vgpr7
.LBB6_4772:                             ;   in Loop: Header=BB6_3598 Depth=2
	s_andn2_saveexec_b64 s[18:19], s[76:77]
; %bb.4773:                             ;   in Loop: Header=BB6_3598 Depth=2
	v_or_b32_sdwa v50, v7, s50 dst_sel:DWORD dst_unused:UNUSED_PAD src0_sel:BYTE_3 src1_sel:DWORD
; %bb.4774:                             ;   in Loop: Header=BB6_3598 Depth=2
	s_or_b64 exec, exec, s[18:19]
	v_lshrrev_b32_e32 v2, 16, v24
	v_cmp_ne_u16_sdwa s[76:77], v2, v3 src0_sel:BYTE_0 src1_sel:DWORD
	v_mov_b32_e32 v6, 0
	v_mov_b32_e32 v7, 0
	s_and_saveexec_b64 s[18:19], s[76:77]
	s_cbranch_execz .LBB6_4780
; %bb.4775:                             ;   in Loop: Header=BB6_3598 Depth=2
	v_cmp_ne_u16_sdwa s[78:79], v2, s49 src0_sel:BYTE_0 src1_sel:DWORD
	v_bfrev_b32_e32 v7, 1
	s_and_saveexec_b64 s[76:77], s[78:79]
	s_cbranch_execz .LBB6_4779
; %bb.4776:                             ;   in Loop: Header=BB6_3598 Depth=2
	v_bfe_u32 v8, v24, 16, 7
	v_cmp_ne_u32_e32 vcc, s50, v8
	v_mov_b32_e32 v7, 0x7f800001
	s_and_saveexec_b64 s[78:79], vcc
	s_cbranch_execz .LBB6_4778
; %bb.4777:                             ;   in Loop: Header=BB6_3598 Depth=2
	v_and_b32_e32 v9, 7, v2
	v_ffbh_u32_e32 v7, v9
	v_min_u32_e32 v19, 32, v7
	v_subrev_u32_e32 v7, 28, v19
	v_lshrrev_b32_e32 v18, 3, v8
	v_cmp_gt_u32_e32 vcc, 8, v8
	v_lshlrev_b64 v[7:8], v7, v[2:3]
	v_sub_u32_e32 v8, 29, v19
	v_and_b32_e32 v7, 7, v7
	v_cndmask_b32_e32 v8, v18, v8, vcc
	v_cndmask_b32_e32 v7, v9, v7, vcc
	v_lshlrev_b32_e32 v2, 24, v2
	v_lshlrev_b32_e32 v7, 20, v7
	v_and_b32_e32 v2, 0x80000000, v2
	v_lshl_add_u32 v8, v8, 23, v57
	v_or3_b32 v7, v2, v8, v7
.LBB6_4778:                             ;   in Loop: Header=BB6_3598 Depth=2
	s_or_b64 exec, exec, s[78:79]
.LBB6_4779:                             ;   in Loop: Header=BB6_3598 Depth=2
	s_or_b64 exec, exec, s[76:77]
.LBB6_4780:                             ;   in Loop: Header=BB6_3598 Depth=2
	s_or_b64 exec, exec, s[18:19]
	v_lshrrev_b32_e32 v2, 16, v20
	v_cmp_ne_u16_sdwa s[76:77], v2, v3 src0_sel:BYTE_0 src1_sel:DWORD
	s_and_saveexec_b64 s[18:19], s[76:77]
	s_cbranch_execz .LBB6_4786
; %bb.4781:                             ;   in Loop: Header=BB6_3598 Depth=2
	v_cmp_ne_u16_sdwa s[78:79], v2, s49 src0_sel:BYTE_0 src1_sel:DWORD
	v_bfrev_b32_e32 v6, 1
	s_and_saveexec_b64 s[76:77], s[78:79]
	s_cbranch_execz .LBB6_4785
; %bb.4782:                             ;   in Loop: Header=BB6_3598 Depth=2
	v_bfe_u32 v8, v20, 16, 7
	v_cmp_ne_u32_e32 vcc, s50, v8
	v_mov_b32_e32 v6, 0x7f800001
	s_and_saveexec_b64 s[78:79], vcc
	s_cbranch_execz .LBB6_4784
; %bb.4783:                             ;   in Loop: Header=BB6_3598 Depth=2
	v_and_b32_e32 v6, 7, v2
	v_lshrrev_b32_e32 v18, 3, v8
	v_cmp_gt_u32_e32 vcc, 8, v8
	v_ffbh_u32_e32 v8, v6
	v_min_u32_e32 v19, 32, v8
	v_subrev_u32_e32 v8, 28, v19
	v_lshlrev_b64 v[8:9], v8, v[2:3]
	v_sub_u32_e32 v2, 29, v19
	v_and_b32_e32 v8, 7, v8
	v_cndmask_b32_e32 v2, v18, v2, vcc
	v_cndmask_b32_e32 v6, v6, v8, vcc
	v_lshlrev_b32_e32 v8, 8, v20
	v_lshlrev_b32_e32 v6, 20, v6
	v_and_b32_e32 v8, 0x80000000, v8
	v_lshl_add_u32 v2, v2, 23, v57
	v_or3_b32 v6, v8, v2, v6
.LBB6_4784:                             ;   in Loop: Header=BB6_3598 Depth=2
	s_or_b64 exec, exec, s[78:79]
.LBB6_4785:                             ;   in Loop: Header=BB6_3598 Depth=2
	s_or_b64 exec, exec, s[76:77]
.LBB6_4786:                             ;   in Loop: Header=BB6_3598 Depth=2
	s_or_b64 exec, exec, s[18:19]
	v_add_f32_e32 v7, v7, v6
	v_and_b32_e32 v2, 0x7f800000, v7
	v_cmp_ne_u64_e32 vcc, s[46:47], v[2:3]
                                        ; implicit-def: $vgpr51
	s_and_saveexec_b64 s[18:19], vcc
	s_xor_b64 s[76:77], exec, s[18:19]
	s_cbranch_execz .LBB6_4800
; %bb.4787:                             ;   in Loop: Header=BB6_3598 Depth=2
	v_and_b32_e32 v2, 0x7fffffff, v7
	v_cmp_gt_u64_e32 vcc, s[56:57], v[2:3]
	v_and_b32_sdwa v6, v7, s49 dst_sel:DWORD dst_unused:UNUSED_PAD src0_sel:BYTE_3 src1_sel:DWORD
                                        ; implicit-def: $vgpr51
	s_and_saveexec_b64 s[18:19], vcc
	s_xor_b64 s[78:79], exec, s[18:19]
	s_cbranch_execz .LBB6_4797
; %bb.4788:                             ;   in Loop: Header=BB6_3598 Depth=2
	v_mov_b32_e32 v51, 0
	v_cmp_ne_u32_e32 vcc, 0, v7
	s_and_saveexec_b64 s[88:89], vcc
	s_cbranch_execz .LBB6_4796
; %bb.4789:                             ;   in Loop: Header=BB6_3598 Depth=2
	v_and_b32_e32 v2, 0x7fffff, v7
	v_bfe_u32 v7, v7, 23, 8
	v_cmp_gt_u32_e64 s[18:19], s51, v7
	v_sub_u32_e32 v8, 0x79, v7
	v_cmp_eq_u32_e32 vcc, 0, v7
	v_cndmask_b32_e64 v8, 0, v8, s[18:19]
	v_mov_b32_e32 v18, 0x78
	v_or_b32_e32 v9, 0x800000, v2
	v_cndmask_b32_e32 v8, v8, v18, vcc
	v_cndmask_b32_e32 v2, v9, v2, vcc
	v_add_u32_e32 v9, 20, v8
	v_lshlrev_b64 v[18:19], v9, -1
	v_add_u32_e32 v9, 19, v8
	v_lshlrev_b64 v[22:23], v9, 1
	v_bfi_b32 v19, v19, 0, 0
	v_bfi_b32 v18, v18, 0, v2
	v_cmp_eq_u64_e64 s[18:19], v[18:19], v[22:23]
	v_lshrrev_b64 v[18:19], v8, v[2:3]
	v_mov_b32_e32 v23, v19
	v_mov_b32_e32 v22, v18
	s_and_saveexec_b64 s[90:91], s[18:19]
; %bb.4790:                             ;   in Loop: Header=BB6_3598 Depth=2
	v_bfe_u32 v2, v18, 20, 1
	v_add_co_u32_e64 v2, s[18:19], v18, v2
	v_add_co_u32_e64 v22, s[18:19], -1, v2
; %bb.4791:                             ;   in Loop: Header=BB6_3598 Depth=2
	s_or_b64 exec, exec, s[90:91]
	v_add_u32_e32 v2, 0xffffff81, v7
	v_mov_b32_e32 v7, 0xffffff82
	v_cndmask_b32_e32 v2, v2, v7, vcc
	v_lshrrev_b32_e32 v7, 23, v18
	v_add3_u32 v9, v8, v2, v7
	v_add_u32_e32 v8, 6, v9
	v_and_b32_e32 v2, 0xfffff, v22
	v_add_u32_e32 v2, v2, v18
	v_cmp_ne_u32_e32 vcc, 0, v8
                                        ; implicit-def: $vgpr18_vgpr19
                                        ; implicit-def: $vgpr7
	s_and_saveexec_b64 s[18:19], vcc
	s_xor_b64 s[18:19], exec, s[18:19]
; %bb.4792:                             ;   in Loop: Header=BB6_3598 Depth=2
	v_cmp_lt_u64_e32 vcc, s[58:59], v[2:3]
	v_add_u32_e32 v7, 7, v9
	v_cndmask_b32_e32 v7, v8, v7, vcc
	v_cndmask_b32_e64 v8, 0, 1, vcc
	v_lshrrev_b64 v[18:19], v8, v[2:3]
; %bb.4793:                             ;   in Loop: Header=BB6_3598 Depth=2
	s_andn2_saveexec_b64 s[18:19], s[18:19]
; %bb.4794:                             ;   in Loop: Header=BB6_3598 Depth=2
	v_mov_b32_e32 v19, v3
	v_bfe_u32 v7, v2, 23, 1
	v_mov_b32_e32 v18, v2
; %bb.4795:                             ;   in Loop: Header=BB6_3598 Depth=2
	s_or_b64 exec, exec, s[18:19]
	v_lshrrev_b64 v[8:9], 20, v[18:19]
	v_cmp_gt_i32_e32 vcc, 16, v7
	v_cndmask_b32_e32 v9, 0, v9, vcc
	v_cndmask_b32_e32 v8, 7, v8, vcc
	v_min_i32_e32 v2, 15, v7
	v_cmp_eq_u64_e64 s[18:19], 0, v[8:9]
	v_lshlrev_b32_e32 v2, 3, v2
	v_cmp_eq_u32_e32 vcc, 0, v7
	v_and_b32_e32 v2, 0xf8, v2
	v_and_or_b32 v2, v8, 7, v2
	s_and_b64 s[18:19], vcc, s[18:19]
	v_cndmask_b32_e64 v2, v2, 0, s[18:19]
	v_or_b32_e32 v51, v2, v6
.LBB6_4796:                             ;   in Loop: Header=BB6_3598 Depth=2
	s_or_b64 exec, exec, s[88:89]
                                        ; implicit-def: $vgpr6
.LBB6_4797:                             ;   in Loop: Header=BB6_3598 Depth=2
	s_andn2_saveexec_b64 s[18:19], s[78:79]
; %bb.4798:                             ;   in Loop: Header=BB6_3598 Depth=2
	v_or_b32_e32 v51, 0x7e, v6
; %bb.4799:                             ;   in Loop: Header=BB6_3598 Depth=2
	s_or_b64 exec, exec, s[18:19]
                                        ; implicit-def: $vgpr7
.LBB6_4800:                             ;   in Loop: Header=BB6_3598 Depth=2
	s_andn2_saveexec_b64 s[18:19], s[76:77]
; %bb.4801:                             ;   in Loop: Header=BB6_3598 Depth=2
	v_or_b32_sdwa v51, v7, s50 dst_sel:DWORD dst_unused:UNUSED_PAD src0_sel:BYTE_3 src1_sel:DWORD
; %bb.4802:                             ;   in Loop: Header=BB6_3598 Depth=2
	s_or_b64 exec, exec, s[18:19]
	v_cmp_lt_u32_e32 vcc, s61, v24
	v_mov_b32_e32 v6, 0
	v_mov_b32_e32 v7, 0
	s_and_saveexec_b64 s[18:19], vcc
	s_cbranch_execz .LBB6_4808
; %bb.4803:                             ;   in Loop: Header=BB6_3598 Depth=2
	v_lshrrev_b32_e32 v2, 24, v24
	v_cmp_ne_u32_e32 vcc, s49, v2
	v_bfrev_b32_e32 v7, 1
	s_and_saveexec_b64 s[76:77], vcc
	s_cbranch_execz .LBB6_4807
; %bb.4804:                             ;   in Loop: Header=BB6_3598 Depth=2
	v_bfe_u32 v8, v24, 24, 7
	v_cmp_ne_u32_e32 vcc, s50, v8
	v_mov_b32_e32 v7, 0x7f800001
	s_and_saveexec_b64 s[78:79], vcc
	s_cbranch_execz .LBB6_4806
; %bb.4805:                             ;   in Loop: Header=BB6_3598 Depth=2
	v_and_b32_e32 v9, 7, v2
	v_ffbh_u32_e32 v7, v9
	v_min_u32_e32 v19, 32, v7
	v_subrev_u32_e32 v7, 28, v19
	v_lshrrev_b32_e32 v18, 3, v8
	v_cmp_gt_u32_e32 vcc, 8, v8
	v_lshlrev_b64 v[7:8], v7, v[2:3]
	v_sub_u32_e32 v8, 29, v19
	v_and_b32_e32 v7, 7, v7
	v_cndmask_b32_e32 v8, v18, v8, vcc
	v_cndmask_b32_e32 v7, v9, v7, vcc
	v_lshlrev_b32_e32 v2, 24, v2
	v_lshlrev_b32_e32 v7, 20, v7
	v_and_b32_e32 v2, 0x80000000, v2
	v_lshl_add_u32 v8, v8, 23, v57
	v_or3_b32 v7, v2, v8, v7
.LBB6_4806:                             ;   in Loop: Header=BB6_3598 Depth=2
	s_or_b64 exec, exec, s[78:79]
.LBB6_4807:                             ;   in Loop: Header=BB6_3598 Depth=2
	s_or_b64 exec, exec, s[76:77]
.LBB6_4808:                             ;   in Loop: Header=BB6_3598 Depth=2
	s_or_b64 exec, exec, s[18:19]
	v_cmp_lt_u32_e32 vcc, s61, v20
	s_and_saveexec_b64 s[18:19], vcc
	s_cbranch_execz .LBB6_4814
; %bb.4809:                             ;   in Loop: Header=BB6_3598 Depth=2
	v_lshrrev_b32_e32 v2, 24, v20
	v_cmp_ne_u32_e32 vcc, s49, v2
	v_bfrev_b32_e32 v6, 1
	s_and_saveexec_b64 s[76:77], vcc
	s_cbranch_execz .LBB6_4813
; %bb.4810:                             ;   in Loop: Header=BB6_3598 Depth=2
	v_bfe_u32 v8, v20, 24, 7
	v_cmp_ne_u32_e32 vcc, s50, v8
	v_mov_b32_e32 v6, 0x7f800001
	s_and_saveexec_b64 s[78:79], vcc
	s_cbranch_execz .LBB6_4812
; %bb.4811:                             ;   in Loop: Header=BB6_3598 Depth=2
	v_and_b32_e32 v6, 7, v2
	v_lshrrev_b32_e32 v18, 3, v8
	v_cmp_gt_u32_e32 vcc, 8, v8
	v_ffbh_u32_e32 v8, v6
	v_min_u32_e32 v19, 32, v8
	v_subrev_u32_e32 v8, 28, v19
	v_lshlrev_b64 v[8:9], v8, v[2:3]
	v_sub_u32_e32 v9, 29, v19
	v_and_b32_e32 v8, 7, v8
	v_cndmask_b32_e32 v9, v18, v9, vcc
	v_cndmask_b32_e32 v6, v6, v8, vcc
	v_lshlrev_b32_e32 v2, 24, v2
	v_lshlrev_b32_e32 v6, 20, v6
	v_and_b32_e32 v2, 0x80000000, v2
	v_lshl_add_u32 v8, v9, 23, v57
	v_or3_b32 v6, v2, v8, v6
.LBB6_4812:                             ;   in Loop: Header=BB6_3598 Depth=2
	s_or_b64 exec, exec, s[78:79]
.LBB6_4813:                             ;   in Loop: Header=BB6_3598 Depth=2
	s_or_b64 exec, exec, s[76:77]
.LBB6_4814:                             ;   in Loop: Header=BB6_3598 Depth=2
	s_or_b64 exec, exec, s[18:19]
	v_add_f32_e32 v7, v7, v6
	v_and_b32_e32 v2, 0x7f800000, v7
	v_cmp_ne_u64_e32 vcc, s[46:47], v[2:3]
                                        ; implicit-def: $vgpr55
	s_and_saveexec_b64 s[18:19], vcc
	s_xor_b64 s[76:77], exec, s[18:19]
	s_cbranch_execz .LBB6_4828
; %bb.4815:                             ;   in Loop: Header=BB6_3598 Depth=2
	v_and_b32_e32 v2, 0x7fffffff, v7
	v_cmp_gt_u64_e32 vcc, s[56:57], v[2:3]
	v_and_b32_sdwa v6, v7, s49 dst_sel:DWORD dst_unused:UNUSED_PAD src0_sel:BYTE_3 src1_sel:DWORD
                                        ; implicit-def: $vgpr55
	s_and_saveexec_b64 s[18:19], vcc
	s_xor_b64 s[78:79], exec, s[18:19]
	s_cbranch_execz .LBB6_4825
; %bb.4816:                             ;   in Loop: Header=BB6_3598 Depth=2
	v_mov_b32_e32 v55, 0
	v_cmp_ne_u32_e32 vcc, 0, v7
	s_and_saveexec_b64 s[88:89], vcc
	s_cbranch_execz .LBB6_4824
; %bb.4817:                             ;   in Loop: Header=BB6_3598 Depth=2
	v_and_b32_e32 v2, 0x7fffff, v7
	v_bfe_u32 v7, v7, 23, 8
	v_cmp_gt_u32_e64 s[18:19], s51, v7
	v_sub_u32_e32 v8, 0x79, v7
	v_cmp_eq_u32_e32 vcc, 0, v7
	v_cndmask_b32_e64 v8, 0, v8, s[18:19]
	v_mov_b32_e32 v18, 0x78
	v_or_b32_e32 v9, 0x800000, v2
	v_cndmask_b32_e32 v8, v8, v18, vcc
	v_cndmask_b32_e32 v2, v9, v2, vcc
	v_add_u32_e32 v9, 20, v8
	v_lshlrev_b64 v[18:19], v9, -1
	v_add_u32_e32 v9, 19, v8
	v_lshlrev_b64 v[22:23], v9, 1
	v_bfi_b32 v19, v19, 0, 0
	v_bfi_b32 v18, v18, 0, v2
	v_cmp_eq_u64_e64 s[18:19], v[18:19], v[22:23]
	v_lshrrev_b64 v[18:19], v8, v[2:3]
	v_mov_b32_e32 v23, v19
	v_mov_b32_e32 v22, v18
	s_and_saveexec_b64 s[90:91], s[18:19]
; %bb.4818:                             ;   in Loop: Header=BB6_3598 Depth=2
	v_bfe_u32 v2, v18, 20, 1
	v_add_co_u32_e64 v2, s[18:19], v18, v2
	v_add_co_u32_e64 v22, s[18:19], -1, v2
; %bb.4819:                             ;   in Loop: Header=BB6_3598 Depth=2
	s_or_b64 exec, exec, s[90:91]
	v_add_u32_e32 v2, 0xffffff81, v7
	v_mov_b32_e32 v7, 0xffffff82
	v_cndmask_b32_e32 v2, v2, v7, vcc
	v_lshrrev_b32_e32 v7, 23, v18
	v_add3_u32 v9, v8, v2, v7
	v_add_u32_e32 v8, 6, v9
	v_and_b32_e32 v2, 0xfffff, v22
	v_add_u32_e32 v2, v2, v18
	v_cmp_ne_u32_e32 vcc, 0, v8
                                        ; implicit-def: $vgpr18_vgpr19
                                        ; implicit-def: $vgpr7
	s_and_saveexec_b64 s[18:19], vcc
	s_xor_b64 s[18:19], exec, s[18:19]
; %bb.4820:                             ;   in Loop: Header=BB6_3598 Depth=2
	v_cmp_lt_u64_e32 vcc, s[58:59], v[2:3]
	v_add_u32_e32 v7, 7, v9
	v_cndmask_b32_e32 v7, v8, v7, vcc
	v_cndmask_b32_e64 v8, 0, 1, vcc
	v_lshrrev_b64 v[18:19], v8, v[2:3]
; %bb.4821:                             ;   in Loop: Header=BB6_3598 Depth=2
	s_andn2_saveexec_b64 s[18:19], s[18:19]
; %bb.4822:                             ;   in Loop: Header=BB6_3598 Depth=2
	v_mov_b32_e32 v19, v3
	v_bfe_u32 v7, v2, 23, 1
	v_mov_b32_e32 v18, v2
; %bb.4823:                             ;   in Loop: Header=BB6_3598 Depth=2
	s_or_b64 exec, exec, s[18:19]
	v_lshrrev_b64 v[8:9], 20, v[18:19]
	v_cmp_gt_i32_e32 vcc, 16, v7
	v_cndmask_b32_e32 v9, 0, v9, vcc
	v_cndmask_b32_e32 v8, 7, v8, vcc
	v_min_i32_e32 v2, 15, v7
	v_cmp_eq_u64_e64 s[18:19], 0, v[8:9]
	v_lshlrev_b32_e32 v2, 3, v2
	v_cmp_eq_u32_e32 vcc, 0, v7
	v_and_b32_e32 v2, 0xf8, v2
	v_and_or_b32 v2, v8, 7, v2
	s_and_b64 s[18:19], vcc, s[18:19]
	v_cndmask_b32_e64 v2, v2, 0, s[18:19]
	v_or_b32_e32 v55, v2, v6
.LBB6_4824:                             ;   in Loop: Header=BB6_3598 Depth=2
	s_or_b64 exec, exec, s[88:89]
                                        ; implicit-def: $vgpr6
.LBB6_4825:                             ;   in Loop: Header=BB6_3598 Depth=2
	s_andn2_saveexec_b64 s[18:19], s[78:79]
; %bb.4826:                             ;   in Loop: Header=BB6_3598 Depth=2
	v_or_b32_e32 v55, 0x7e, v6
; %bb.4827:                             ;   in Loop: Header=BB6_3598 Depth=2
	s_or_b64 exec, exec, s[18:19]
                                        ; implicit-def: $vgpr7
.LBB6_4828:                             ;   in Loop: Header=BB6_3598 Depth=2
	s_andn2_saveexec_b64 s[18:19], s[76:77]
; %bb.4829:                             ;   in Loop: Header=BB6_3598 Depth=2
	v_or_b32_sdwa v55, v7, s50 dst_sel:DWORD dst_unused:UNUSED_PAD src0_sel:BYTE_3 src1_sel:DWORD
; %bb.4830:                             ;   in Loop: Header=BB6_3598 Depth=2
	s_or_b64 exec, exec, s[18:19]
	v_mov_b32_e32 v2, v25
	v_cmp_ne_u16_sdwa s[76:77], v25, v3 src0_sel:BYTE_0 src1_sel:DWORD
	v_mov_b32_e32 v7, 0
	v_mov_b32_e32 v6, 0
	s_and_saveexec_b64 s[18:19], s[76:77]
	s_cbranch_execz .LBB6_4836
; %bb.4831:                             ;   in Loop: Header=BB6_3598 Depth=2
	v_cmp_ne_u16_sdwa s[78:79], v25, s49 src0_sel:BYTE_0 src1_sel:DWORD
	v_bfrev_b32_e32 v6, 1
	s_and_saveexec_b64 s[76:77], s[78:79]
	s_cbranch_execz .LBB6_4835
; %bb.4832:                             ;   in Loop: Header=BB6_3598 Depth=2
	v_and_b32_e32 v8, 0x7f, v25
	v_cmp_ne_u32_e32 vcc, s50, v8
	v_mov_b32_e32 v6, 0x7f800001
	s_and_saveexec_b64 s[78:79], vcc
	s_cbranch_execz .LBB6_4834
; %bb.4833:                             ;   in Loop: Header=BB6_3598 Depth=2
	v_and_b32_e32 v6, 7, v25
	v_ffbh_u32_e32 v6, v6
	v_min_u32_e32 v6, 32, v6
	v_lshrrev_b32_e32 v9, 3, v8
	v_cmp_gt_u32_e32 vcc, 8, v8
	v_subrev_u32_e32 v8, 28, v6
	v_sub_u32_e32 v6, 29, v6
	v_cndmask_b32_e32 v8, 0, v8, vcc
	v_cndmask_b32_e32 v6, v9, v6, vcc
	v_lshlrev_b64 v[8:9], v8, v[2:3]
	v_lshlrev_b32_e32 v9, 24, v2
	v_lshlrev_b32_e32 v8, 20, v8
	v_and_b32_e32 v8, 0x700000, v8
	v_and_b32_e32 v9, 0x80000000, v9
	v_lshl_add_u32 v6, v6, 23, v57
	v_or3_b32 v6, v9, v6, v8
.LBB6_4834:                             ;   in Loop: Header=BB6_3598 Depth=2
	s_or_b64 exec, exec, s[78:79]
.LBB6_4835:                             ;   in Loop: Header=BB6_3598 Depth=2
	s_or_b64 exec, exec, s[76:77]
.LBB6_4836:                             ;   in Loop: Header=BB6_3598 Depth=2
	s_or_b64 exec, exec, s[18:19]
	v_cmp_ne_u16_sdwa s[76:77], v21, v3 src0_sel:BYTE_0 src1_sel:DWORD
	s_and_saveexec_b64 s[18:19], s[76:77]
	s_cbranch_execz .LBB6_4842
; %bb.4837:                             ;   in Loop: Header=BB6_3598 Depth=2
	v_cmp_ne_u16_sdwa s[78:79], v21, s49 src0_sel:BYTE_0 src1_sel:DWORD
	v_bfrev_b32_e32 v7, 1
	s_and_saveexec_b64 s[76:77], s[78:79]
	s_cbranch_execz .LBB6_4841
; %bb.4838:                             ;   in Loop: Header=BB6_3598 Depth=2
	v_and_b32_e32 v8, 0x7f, v21
	v_cmp_ne_u32_e32 vcc, s50, v8
	v_mov_b32_e32 v7, 0x7f800001
	s_and_saveexec_b64 s[78:79], vcc
	s_cbranch_execz .LBB6_4840
; %bb.4839:                             ;   in Loop: Header=BB6_3598 Depth=2
	v_and_b32_e32 v7, 7, v21
	v_ffbh_u32_e32 v7, v7
	v_min_u32_e32 v7, 32, v7
	v_lshrrev_b32_e32 v9, 3, v8
	v_cmp_gt_u32_e32 vcc, 8, v8
	v_subrev_u32_e32 v8, 28, v7
	v_sub_u32_e32 v7, 29, v7
	v_mov_b32_e32 v18, v21
	v_mov_b32_e32 v19, v3
	v_cndmask_b32_e32 v9, v9, v7, vcc
	v_cndmask_b32_e32 v7, 0, v8, vcc
	v_lshlrev_b64 v[7:8], v7, v[18:19]
	v_lshlrev_b32_e32 v8, 24, v18
	v_lshlrev_b32_e32 v7, 20, v7
	v_and_b32_e32 v7, 0x700000, v7
	v_and_b32_e32 v8, 0x80000000, v8
	v_lshl_add_u32 v9, v9, 23, v57
	v_or3_b32 v7, v8, v9, v7
.LBB6_4840:                             ;   in Loop: Header=BB6_3598 Depth=2
	s_or_b64 exec, exec, s[78:79]
.LBB6_4841:                             ;   in Loop: Header=BB6_3598 Depth=2
	s_or_b64 exec, exec, s[76:77]
.LBB6_4842:                             ;   in Loop: Header=BB6_3598 Depth=2
	s_or_b64 exec, exec, s[18:19]
	v_add_f32_e32 v8, v6, v7
	v_and_b32_e32 v6, 0x7f800000, v8
	v_mov_b32_e32 v7, v3
	v_cmp_ne_u64_e32 vcc, s[46:47], v[6:7]
                                        ; implicit-def: $vgpr6
	s_and_saveexec_b64 s[18:19], vcc
	s_xor_b64 s[76:77], exec, s[18:19]
	s_cbranch_execz .LBB6_4856
; %bb.4843:                             ;   in Loop: Header=BB6_3598 Depth=2
	v_and_b32_e32 v6, 0x7fffffff, v8
	v_mov_b32_e32 v7, v3
	v_cmp_gt_u64_e32 vcc, s[56:57], v[6:7]
	v_and_b32_sdwa v7, v8, s49 dst_sel:DWORD dst_unused:UNUSED_PAD src0_sel:BYTE_3 src1_sel:DWORD
                                        ; implicit-def: $vgpr6
	s_and_saveexec_b64 s[18:19], vcc
	s_xor_b64 s[78:79], exec, s[18:19]
	s_cbranch_execz .LBB6_4853
; %bb.4844:                             ;   in Loop: Header=BB6_3598 Depth=2
	v_mov_b32_e32 v6, 0
	v_cmp_ne_u32_e32 vcc, 0, v8
	s_and_saveexec_b64 s[88:89], vcc
	s_cbranch_execz .LBB6_4852
; %bb.4845:                             ;   in Loop: Header=BB6_3598 Depth=2
	v_bfe_u32 v6, v8, 23, 8
	v_and_b32_e32 v9, 0x7fffff, v8
	v_cmp_gt_u32_e64 s[18:19], s51, v6
	v_sub_u32_e32 v8, 0x79, v6
	v_cmp_eq_u32_e32 vcc, 0, v6
	v_cndmask_b32_e64 v8, 0, v8, s[18:19]
	v_mov_b32_e32 v19, 0x78
	v_or_b32_e32 v18, 0x800000, v9
	v_cndmask_b32_e32 v8, v8, v19, vcc
	v_cndmask_b32_e32 v18, v18, v9, vcc
	v_add_u32_e32 v9, 20, v8
	v_lshlrev_b64 v[22:23], v9, -1
	v_mov_b32_e32 v19, v3
	v_add_u32_e32 v9, 19, v8
	v_bfi_b32 v22, v22, 0, v18
	v_lshlrev_b64 v[48:49], v9, 1
	v_lshrrev_b64 v[18:19], v8, v[18:19]
	v_bfi_b32 v23, v23, 0, 0
	v_cmp_eq_u64_e64 s[18:19], v[22:23], v[48:49]
	v_mov_b32_e32 v23, v19
	v_mov_b32_e32 v22, v18
	s_and_saveexec_b64 s[90:91], s[18:19]
; %bb.4846:                             ;   in Loop: Header=BB6_3598 Depth=2
	v_bfe_u32 v9, v18, 20, 1
	v_add_co_u32_e64 v9, s[18:19], v18, v9
	v_add_co_u32_e64 v22, s[18:19], -1, v9
; %bb.4847:                             ;   in Loop: Header=BB6_3598 Depth=2
	s_or_b64 exec, exec, s[90:91]
	v_add_u32_e32 v6, 0xffffff81, v6
	v_mov_b32_e32 v9, 0xffffff82
	v_cndmask_b32_e32 v6, v6, v9, vcc
	v_lshrrev_b32_e32 v9, 23, v18
	v_add3_u32 v9, v8, v6, v9
	v_add_u32_e32 v8, 6, v9
	v_and_b32_e32 v6, 0xfffff, v22
	v_add_u32_e32 v18, v6, v18
	v_mov_b32_e32 v19, v3
	v_cmp_ne_u32_e32 vcc, 0, v8
                                        ; implicit-def: $vgpr6
	s_and_saveexec_b64 s[18:19], vcc
	s_xor_b64 s[18:19], exec, s[18:19]
; %bb.4848:                             ;   in Loop: Header=BB6_3598 Depth=2
	v_cmp_lt_u64_e32 vcc, s[58:59], v[18:19]
	v_add_u32_e32 v6, 7, v9
	v_cndmask_b32_e32 v6, v8, v6, vcc
	v_cndmask_b32_e64 v8, 0, 1, vcc
	v_lshrrev_b64 v[18:19], v8, v[18:19]
; %bb.4849:                             ;   in Loop: Header=BB6_3598 Depth=2
	s_andn2_saveexec_b64 s[18:19], s[18:19]
; %bb.4850:                             ;   in Loop: Header=BB6_3598 Depth=2
	v_bfe_u32 v6, v18, 23, 1
; %bb.4851:                             ;   in Loop: Header=BB6_3598 Depth=2
	s_or_b64 exec, exec, s[18:19]
	v_lshrrev_b64 v[8:9], 20, v[18:19]
	v_cmp_gt_i32_e32 vcc, 16, v6
	v_cndmask_b32_e32 v9, 0, v9, vcc
	v_cndmask_b32_e32 v8, 7, v8, vcc
	v_cmp_eq_u32_e32 vcc, 0, v6
	v_min_i32_e32 v6, 15, v6
	v_cmp_eq_u64_e64 s[18:19], 0, v[8:9]
	v_lshlrev_b32_e32 v6, 3, v6
	v_and_b32_e32 v6, 0xf8, v6
	v_and_or_b32 v6, v8, 7, v6
	s_and_b64 s[18:19], vcc, s[18:19]
	v_cndmask_b32_e64 v6, v6, 0, s[18:19]
	v_or_b32_e32 v6, v6, v7
.LBB6_4852:                             ;   in Loop: Header=BB6_3598 Depth=2
	s_or_b64 exec, exec, s[88:89]
                                        ; implicit-def: $vgpr7
.LBB6_4853:                             ;   in Loop: Header=BB6_3598 Depth=2
	s_andn2_saveexec_b64 s[18:19], s[78:79]
; %bb.4854:                             ;   in Loop: Header=BB6_3598 Depth=2
	v_or_b32_e32 v6, 0x7e, v7
; %bb.4855:                             ;   in Loop: Header=BB6_3598 Depth=2
	s_or_b64 exec, exec, s[18:19]
                                        ; implicit-def: $vgpr8
.LBB6_4856:                             ;   in Loop: Header=BB6_3598 Depth=2
	s_andn2_saveexec_b64 s[18:19], s[76:77]
; %bb.4857:                             ;   in Loop: Header=BB6_3598 Depth=2
	v_or_b32_sdwa v6, v8, s50 dst_sel:DWORD dst_unused:UNUSED_PAD src0_sel:BYTE_3 src1_sel:DWORD
; %bb.4858:                             ;   in Loop: Header=BB6_3598 Depth=2
	s_or_b64 exec, exec, s[18:19]
	v_lshrrev_b16_e32 v18, 8, v2
	v_cmp_ne_u16_e32 vcc, 0, v18
	v_mov_b32_e32 v7, 0
	v_mov_b32_e32 v8, 0
	s_and_saveexec_b64 s[18:19], vcc
	s_cbranch_execz .LBB6_4864
; %bb.4859:                             ;   in Loop: Header=BB6_3598 Depth=2
	v_cmp_ne_u16_e32 vcc, s49, v18
	v_bfrev_b32_e32 v8, 1
	s_and_saveexec_b64 s[76:77], vcc
	s_cbranch_execz .LBB6_4863
; %bb.4860:                             ;   in Loop: Header=BB6_3598 Depth=2
	v_and_b32_e32 v9, 0x7f, v18
	v_cmp_ne_u32_e32 vcc, s50, v9
	v_mov_b32_e32 v8, 0x7f800001
	s_and_saveexec_b64 s[78:79], vcc
	s_cbranch_execz .LBB6_4862
; %bb.4861:                             ;   in Loop: Header=BB6_3598 Depth=2
	v_and_b32_e32 v19, 7, v18
	v_ffbh_u32_e32 v8, v19
	v_min_u32_e32 v23, 32, v8
	v_subrev_u32_e32 v8, 28, v23
	v_lshrrev_b32_e32 v22, 3, v9
	v_cmp_gt_u32_e32 vcc, 8, v9
	v_lshlrev_b64 v[8:9], v8, v[18:19]
	v_sub_u32_e32 v9, 29, v23
	v_and_b32_e32 v8, 7, v8
	v_cndmask_b32_e32 v9, v22, v9, vcc
	v_cndmask_b32_e32 v8, v19, v8, vcc
	v_lshlrev_b32_e32 v2, 16, v2
	v_lshlrev_b32_e32 v8, 20, v8
	v_and_b32_e32 v2, 0x80000000, v2
	v_lshl_add_u32 v9, v9, 23, v57
	v_or3_b32 v8, v2, v9, v8
.LBB6_4862:                             ;   in Loop: Header=BB6_3598 Depth=2
	s_or_b64 exec, exec, s[78:79]
.LBB6_4863:                             ;   in Loop: Header=BB6_3598 Depth=2
	s_or_b64 exec, exec, s[76:77]
.LBB6_4864:                             ;   in Loop: Header=BB6_3598 Depth=2
	s_or_b64 exec, exec, s[18:19]
	v_lshrrev_b16_e32 v2, 8, v21
	v_cmp_ne_u16_e32 vcc, 0, v2
	s_and_saveexec_b64 s[18:19], vcc
	s_cbranch_execz .LBB6_4870
; %bb.4865:                             ;   in Loop: Header=BB6_3598 Depth=2
	v_cmp_ne_u16_e32 vcc, s49, v2
	v_bfrev_b32_e32 v7, 1
	s_and_saveexec_b64 s[76:77], vcc
	s_cbranch_execz .LBB6_4869
; %bb.4866:                             ;   in Loop: Header=BB6_3598 Depth=2
	v_and_b32_e32 v9, 0x7f, v2
	v_cmp_ne_u32_e32 vcc, s50, v9
	v_mov_b32_e32 v7, 0x7f800001
	s_and_saveexec_b64 s[78:79], vcc
	s_cbranch_execz .LBB6_4868
; %bb.4867:                             ;   in Loop: Header=BB6_3598 Depth=2
	v_and_b32_e32 v7, 7, v2
	v_lshrrev_b32_e32 v22, 3, v9
	v_cmp_gt_u32_e32 vcc, 8, v9
	v_ffbh_u32_e32 v9, v7
	v_min_u32_e32 v9, 32, v9
	v_subrev_u32_e32 v18, 28, v9
	v_lshlrev_b64 v[18:19], v18, v[2:3]
	v_sub_u32_e32 v2, 29, v9
	v_and_b32_e32 v9, 7, v18
	v_cndmask_b32_e32 v2, v22, v2, vcc
	v_cndmask_b32_e32 v7, v7, v9, vcc
	v_lshlrev_b32_e32 v9, 16, v21
	v_lshlrev_b32_e32 v7, 20, v7
	v_and_b32_e32 v9, 0x80000000, v9
	v_lshl_add_u32 v2, v2, 23, v57
	v_or3_b32 v7, v9, v2, v7
.LBB6_4868:                             ;   in Loop: Header=BB6_3598 Depth=2
	s_or_b64 exec, exec, s[78:79]
.LBB6_4869:                             ;   in Loop: Header=BB6_3598 Depth=2
	s_or_b64 exec, exec, s[76:77]
.LBB6_4870:                             ;   in Loop: Header=BB6_3598 Depth=2
	s_or_b64 exec, exec, s[18:19]
	v_add_f32_e32 v9, v8, v7
	v_and_b32_e32 v2, 0x7f800000, v9
	v_cmp_ne_u64_e32 vcc, s[46:47], v[2:3]
                                        ; implicit-def: $vgpr7
	s_and_saveexec_b64 s[18:19], vcc
	s_xor_b64 s[76:77], exec, s[18:19]
	s_cbranch_execz .LBB6_4884
; %bb.4871:                             ;   in Loop: Header=BB6_3598 Depth=2
	v_and_b32_e32 v2, 0x7fffffff, v9
	v_cmp_gt_u64_e32 vcc, s[56:57], v[2:3]
	v_and_b32_sdwa v8, v9, s49 dst_sel:DWORD dst_unused:UNUSED_PAD src0_sel:BYTE_3 src1_sel:DWORD
                                        ; implicit-def: $vgpr7
	s_and_saveexec_b64 s[18:19], vcc
	s_xor_b64 s[78:79], exec, s[18:19]
	s_cbranch_execz .LBB6_4881
; %bb.4872:                             ;   in Loop: Header=BB6_3598 Depth=2
	v_mov_b32_e32 v7, 0
	v_cmp_ne_u32_e32 vcc, 0, v9
	s_and_saveexec_b64 s[88:89], vcc
	s_cbranch_execz .LBB6_4880
; %bb.4873:                             ;   in Loop: Header=BB6_3598 Depth=2
	v_bfe_u32 v7, v9, 23, 8
	v_and_b32_e32 v2, 0x7fffff, v9
	v_cmp_gt_u32_e64 s[18:19], s51, v7
	v_sub_u32_e32 v9, 0x79, v7
	v_cmp_eq_u32_e32 vcc, 0, v7
	v_cndmask_b32_e64 v9, 0, v9, s[18:19]
	v_mov_b32_e32 v19, 0x78
	v_or_b32_e32 v18, 0x800000, v2
	v_cndmask_b32_e32 v9, v9, v19, vcc
	v_cndmask_b32_e32 v2, v18, v2, vcc
	v_add_u32_e32 v18, 20, v9
	v_lshlrev_b64 v[18:19], v18, -1
	v_add_u32_e32 v22, 19, v9
	v_lshlrev_b64 v[22:23], v22, 1
	v_bfi_b32 v19, v19, 0, 0
	v_bfi_b32 v18, v18, 0, v2
	v_cmp_eq_u64_e64 s[18:19], v[18:19], v[22:23]
	v_lshrrev_b64 v[18:19], v9, v[2:3]
	v_mov_b32_e32 v23, v19
	v_mov_b32_e32 v22, v18
	s_and_saveexec_b64 s[90:91], s[18:19]
; %bb.4874:                             ;   in Loop: Header=BB6_3598 Depth=2
	v_bfe_u32 v2, v18, 20, 1
	v_add_co_u32_e64 v2, s[18:19], v18, v2
	v_add_co_u32_e64 v22, s[18:19], -1, v2
; %bb.4875:                             ;   in Loop: Header=BB6_3598 Depth=2
	s_or_b64 exec, exec, s[90:91]
	v_add_u32_e32 v2, 0xffffff81, v7
	v_mov_b32_e32 v7, 0xffffff82
	v_cndmask_b32_e32 v2, v2, v7, vcc
	v_lshrrev_b32_e32 v7, 23, v18
	v_add3_u32 v23, v9, v2, v7
	v_add_u32_e32 v9, 6, v23
	v_and_b32_e32 v2, 0xfffff, v22
	v_add_u32_e32 v2, v2, v18
	v_cmp_ne_u32_e32 vcc, 0, v9
                                        ; implicit-def: $vgpr18_vgpr19
                                        ; implicit-def: $vgpr7
	s_and_saveexec_b64 s[18:19], vcc
	s_xor_b64 s[18:19], exec, s[18:19]
; %bb.4876:                             ;   in Loop: Header=BB6_3598 Depth=2
	v_cmp_lt_u64_e32 vcc, s[58:59], v[2:3]
	v_add_u32_e32 v7, 7, v23
	v_cndmask_b32_e32 v7, v9, v7, vcc
	v_cndmask_b32_e64 v9, 0, 1, vcc
	v_lshrrev_b64 v[18:19], v9, v[2:3]
; %bb.4877:                             ;   in Loop: Header=BB6_3598 Depth=2
	s_andn2_saveexec_b64 s[18:19], s[18:19]
; %bb.4878:                             ;   in Loop: Header=BB6_3598 Depth=2
	v_mov_b32_e32 v19, v3
	v_bfe_u32 v7, v2, 23, 1
	v_mov_b32_e32 v18, v2
; %bb.4879:                             ;   in Loop: Header=BB6_3598 Depth=2
	s_or_b64 exec, exec, s[18:19]
	v_lshrrev_b64 v[18:19], 20, v[18:19]
	v_cmp_gt_i32_e32 vcc, 16, v7
	v_cndmask_b32_e32 v19, 0, v19, vcc
	v_cndmask_b32_e32 v18, 7, v18, vcc
	v_min_i32_e32 v2, 15, v7
	v_cmp_eq_u64_e64 s[18:19], 0, v[18:19]
	v_lshlrev_b32_e32 v2, 3, v2
	v_cmp_eq_u32_e32 vcc, 0, v7
	v_and_b32_e32 v2, 0xf8, v2
	v_and_or_b32 v2, v18, 7, v2
	s_and_b64 s[18:19], vcc, s[18:19]
	v_cndmask_b32_e64 v2, v2, 0, s[18:19]
	v_or_b32_e32 v7, v2, v8
.LBB6_4880:                             ;   in Loop: Header=BB6_3598 Depth=2
	s_or_b64 exec, exec, s[88:89]
                                        ; implicit-def: $vgpr8
.LBB6_4881:                             ;   in Loop: Header=BB6_3598 Depth=2
	s_andn2_saveexec_b64 s[18:19], s[78:79]
; %bb.4882:                             ;   in Loop: Header=BB6_3598 Depth=2
	v_or_b32_e32 v7, 0x7e, v8
; %bb.4883:                             ;   in Loop: Header=BB6_3598 Depth=2
	s_or_b64 exec, exec, s[18:19]
                                        ; implicit-def: $vgpr9
.LBB6_4884:                             ;   in Loop: Header=BB6_3598 Depth=2
	s_andn2_saveexec_b64 s[18:19], s[76:77]
; %bb.4885:                             ;   in Loop: Header=BB6_3598 Depth=2
	v_or_b32_sdwa v7, v9, s50 dst_sel:DWORD dst_unused:UNUSED_PAD src0_sel:BYTE_3 src1_sel:DWORD
; %bb.4886:                             ;   in Loop: Header=BB6_3598 Depth=2
	s_or_b64 exec, exec, s[18:19]
	v_lshrrev_b32_e32 v2, 16, v25
	v_cmp_ne_u16_sdwa s[76:77], v2, v3 src0_sel:BYTE_0 src1_sel:DWORD
	v_mov_b32_e32 v8, 0
	v_mov_b32_e32 v9, 0
	s_and_saveexec_b64 s[18:19], s[76:77]
	s_cbranch_execz .LBB6_4892
; %bb.4887:                             ;   in Loop: Header=BB6_3598 Depth=2
	v_cmp_ne_u16_sdwa s[78:79], v2, s49 src0_sel:BYTE_0 src1_sel:DWORD
	v_bfrev_b32_e32 v9, 1
	s_and_saveexec_b64 s[76:77], s[78:79]
	s_cbranch_execz .LBB6_4891
; %bb.4888:                             ;   in Loop: Header=BB6_3598 Depth=2
	v_bfe_u32 v18, v25, 16, 7
	v_cmp_ne_u32_e32 vcc, s50, v18
	v_mov_b32_e32 v9, 0x7f800001
	s_and_saveexec_b64 s[78:79], vcc
	s_cbranch_execz .LBB6_4890
; %bb.4889:                             ;   in Loop: Header=BB6_3598 Depth=2
	v_and_b32_e32 v9, 7, v2
	v_lshrrev_b32_e32 v22, 3, v18
	v_cmp_gt_u32_e32 vcc, 8, v18
	v_ffbh_u32_e32 v18, v9
	v_min_u32_e32 v23, 32, v18
	v_subrev_u32_e32 v18, 28, v23
	v_lshlrev_b64 v[18:19], v18, v[2:3]
	v_sub_u32_e32 v19, 29, v23
	v_and_b32_e32 v18, 7, v18
	v_cndmask_b32_e32 v19, v22, v19, vcc
	v_cndmask_b32_e32 v9, v9, v18, vcc
	v_lshlrev_b32_e32 v2, 24, v2
	v_lshlrev_b32_e32 v9, 20, v9
	v_and_b32_e32 v2, 0x80000000, v2
	v_lshl_add_u32 v18, v19, 23, v57
	v_or3_b32 v9, v2, v18, v9
.LBB6_4890:                             ;   in Loop: Header=BB6_3598 Depth=2
	s_or_b64 exec, exec, s[78:79]
.LBB6_4891:                             ;   in Loop: Header=BB6_3598 Depth=2
	s_or_b64 exec, exec, s[76:77]
.LBB6_4892:                             ;   in Loop: Header=BB6_3598 Depth=2
	s_or_b64 exec, exec, s[18:19]
	v_lshrrev_b32_e32 v2, 16, v21
	v_cmp_ne_u16_sdwa s[76:77], v2, v3 src0_sel:BYTE_0 src1_sel:DWORD
	s_and_saveexec_b64 s[18:19], s[76:77]
	s_cbranch_execz .LBB6_4898
; %bb.4893:                             ;   in Loop: Header=BB6_3598 Depth=2
	v_cmp_ne_u16_sdwa s[78:79], v2, s49 src0_sel:BYTE_0 src1_sel:DWORD
	v_bfrev_b32_e32 v8, 1
	s_and_saveexec_b64 s[76:77], s[78:79]
	s_cbranch_execz .LBB6_4897
; %bb.4894:                             ;   in Loop: Header=BB6_3598 Depth=2
	v_bfe_u32 v18, v21, 16, 7
	v_cmp_ne_u32_e32 vcc, s50, v18
	v_mov_b32_e32 v8, 0x7f800001
	s_and_saveexec_b64 s[78:79], vcc
	s_cbranch_execz .LBB6_4896
; %bb.4895:                             ;   in Loop: Header=BB6_3598 Depth=2
	v_and_b32_e32 v8, 7, v2
	v_lshrrev_b32_e32 v22, 3, v18
	v_cmp_gt_u32_e32 vcc, 8, v18
	v_ffbh_u32_e32 v18, v8
	v_min_u32_e32 v23, 32, v18
	v_subrev_u32_e32 v18, 28, v23
	v_lshlrev_b64 v[18:19], v18, v[2:3]
	v_sub_u32_e32 v2, 29, v23
	v_and_b32_e32 v18, 7, v18
	v_cndmask_b32_e32 v2, v22, v2, vcc
	v_cndmask_b32_e32 v8, v8, v18, vcc
	v_lshlrev_b32_e32 v18, 8, v21
	v_lshlrev_b32_e32 v8, 20, v8
	v_and_b32_e32 v18, 0x80000000, v18
	v_lshl_add_u32 v2, v2, 23, v57
	v_or3_b32 v8, v18, v2, v8
.LBB6_4896:                             ;   in Loop: Header=BB6_3598 Depth=2
	s_or_b64 exec, exec, s[78:79]
.LBB6_4897:                             ;   in Loop: Header=BB6_3598 Depth=2
	s_or_b64 exec, exec, s[76:77]
.LBB6_4898:                             ;   in Loop: Header=BB6_3598 Depth=2
	s_or_b64 exec, exec, s[18:19]
	v_add_f32_e32 v18, v9, v8
	v_and_b32_e32 v2, 0x7f800000, v18
	v_cmp_ne_u64_e32 vcc, s[46:47], v[2:3]
                                        ; implicit-def: $vgpr8
	s_and_saveexec_b64 s[18:19], vcc
	s_xor_b64 s[76:77], exec, s[18:19]
	s_cbranch_execz .LBB6_4912
; %bb.4899:                             ;   in Loop: Header=BB6_3598 Depth=2
	v_and_b32_e32 v2, 0x7fffffff, v18
	v_cmp_gt_u64_e32 vcc, s[56:57], v[2:3]
	v_and_b32_sdwa v9, v18, s49 dst_sel:DWORD dst_unused:UNUSED_PAD src0_sel:BYTE_3 src1_sel:DWORD
                                        ; implicit-def: $vgpr8
	s_and_saveexec_b64 s[18:19], vcc
	s_xor_b64 s[78:79], exec, s[18:19]
	s_cbranch_execz .LBB6_4909
; %bb.4900:                             ;   in Loop: Header=BB6_3598 Depth=2
	v_mov_b32_e32 v8, 0
	v_cmp_ne_u32_e32 vcc, 0, v18
	s_and_saveexec_b64 s[88:89], vcc
	s_cbranch_execz .LBB6_4908
; %bb.4901:                             ;   in Loop: Header=BB6_3598 Depth=2
	v_bfe_u32 v8, v18, 23, 8
	v_and_b32_e32 v2, 0x7fffff, v18
	v_cmp_gt_u32_e64 s[18:19], s51, v8
	v_sub_u32_e32 v18, 0x79, v8
	v_cmp_eq_u32_e32 vcc, 0, v8
	v_cndmask_b32_e64 v18, 0, v18, s[18:19]
	v_mov_b32_e32 v22, 0x78
	v_cndmask_b32_e32 v48, v18, v22, vcc
	v_or_b32_e32 v19, 0x800000, v2
	v_add_u32_e32 v18, 20, v48
	v_cndmask_b32_e32 v2, v19, v2, vcc
	v_lshlrev_b64 v[18:19], v18, -1
	v_add_u32_e32 v22, 19, v48
	v_lshlrev_b64 v[22:23], v22, 1
	v_bfi_b32 v19, v19, 0, 0
	v_bfi_b32 v18, v18, 0, v2
	v_cmp_eq_u64_e64 s[18:19], v[18:19], v[22:23]
	v_lshrrev_b64 v[18:19], v48, v[2:3]
	v_mov_b32_e32 v23, v19
	v_mov_b32_e32 v22, v18
	s_and_saveexec_b64 s[90:91], s[18:19]
; %bb.4902:                             ;   in Loop: Header=BB6_3598 Depth=2
	v_bfe_u32 v2, v18, 20, 1
	v_add_co_u32_e64 v2, s[18:19], v18, v2
	v_add_co_u32_e64 v22, s[18:19], -1, v2
; %bb.4903:                             ;   in Loop: Header=BB6_3598 Depth=2
	s_or_b64 exec, exec, s[90:91]
	v_add_u32_e32 v2, 0xffffff81, v8
	v_mov_b32_e32 v8, 0xffffff82
	v_cndmask_b32_e32 v2, v2, v8, vcc
	v_lshrrev_b32_e32 v8, 23, v18
	v_add3_u32 v48, v48, v2, v8
	v_add_u32_e32 v23, 6, v48
	v_and_b32_e32 v2, 0xfffff, v22
	v_add_u32_e32 v2, v2, v18
	v_cmp_ne_u32_e32 vcc, 0, v23
                                        ; implicit-def: $vgpr18_vgpr19
                                        ; implicit-def: $vgpr8
	s_and_saveexec_b64 s[18:19], vcc
	s_xor_b64 s[18:19], exec, s[18:19]
; %bb.4904:                             ;   in Loop: Header=BB6_3598 Depth=2
	v_cmp_lt_u64_e32 vcc, s[58:59], v[2:3]
	v_add_u32_e32 v8, 7, v48
	v_cndmask_b32_e64 v18, 0, 1, vcc
	v_lshrrev_b64 v[18:19], v18, v[2:3]
	v_cndmask_b32_e32 v8, v23, v8, vcc
; %bb.4905:                             ;   in Loop: Header=BB6_3598 Depth=2
	s_andn2_saveexec_b64 s[18:19], s[18:19]
; %bb.4906:                             ;   in Loop: Header=BB6_3598 Depth=2
	v_mov_b32_e32 v19, v3
	v_bfe_u32 v8, v2, 23, 1
	v_mov_b32_e32 v18, v2
; %bb.4907:                             ;   in Loop: Header=BB6_3598 Depth=2
	s_or_b64 exec, exec, s[18:19]
	v_lshrrev_b64 v[18:19], 20, v[18:19]
	v_cmp_gt_i32_e32 vcc, 16, v8
	v_cndmask_b32_e32 v19, 0, v19, vcc
	v_cndmask_b32_e32 v18, 7, v18, vcc
	v_min_i32_e32 v2, 15, v8
	v_cmp_eq_u64_e64 s[18:19], 0, v[18:19]
	v_lshlrev_b32_e32 v2, 3, v2
	v_cmp_eq_u32_e32 vcc, 0, v8
	v_and_b32_e32 v2, 0xf8, v2
	v_and_or_b32 v2, v18, 7, v2
	s_and_b64 s[18:19], vcc, s[18:19]
	v_cndmask_b32_e64 v2, v2, 0, s[18:19]
	v_or_b32_e32 v8, v2, v9
.LBB6_4908:                             ;   in Loop: Header=BB6_3598 Depth=2
	s_or_b64 exec, exec, s[88:89]
                                        ; implicit-def: $vgpr9
.LBB6_4909:                             ;   in Loop: Header=BB6_3598 Depth=2
	s_andn2_saveexec_b64 s[18:19], s[78:79]
; %bb.4910:                             ;   in Loop: Header=BB6_3598 Depth=2
	v_or_b32_e32 v8, 0x7e, v9
; %bb.4911:                             ;   in Loop: Header=BB6_3598 Depth=2
	s_or_b64 exec, exec, s[18:19]
                                        ; implicit-def: $vgpr18
.LBB6_4912:                             ;   in Loop: Header=BB6_3598 Depth=2
	s_andn2_saveexec_b64 s[18:19], s[76:77]
; %bb.4913:                             ;   in Loop: Header=BB6_3598 Depth=2
	v_or_b32_sdwa v8, v18, s50 dst_sel:DWORD dst_unused:UNUSED_PAD src0_sel:BYTE_3 src1_sel:DWORD
; %bb.4914:                             ;   in Loop: Header=BB6_3598 Depth=2
	s_or_b64 exec, exec, s[18:19]
	v_cmp_lt_u64_e32 vcc, s[60:61], v[24:25]
	v_mov_b32_e32 v9, 0
	v_mov_b32_e32 v18, 0
	s_and_saveexec_b64 s[18:19], vcc
	s_cbranch_execz .LBB6_4920
; %bb.4915:                             ;   in Loop: Header=BB6_3598 Depth=2
	v_lshrrev_b32_e32 v2, 24, v25
	v_cmp_ne_u32_e32 vcc, s49, v2
	v_bfrev_b32_e32 v18, 1
	s_and_saveexec_b64 s[76:77], vcc
	s_cbranch_execz .LBB6_4919
; %bb.4916:                             ;   in Loop: Header=BB6_3598 Depth=2
	v_bfe_u32 v19, v25, 24, 7
	v_cmp_ne_u32_e32 vcc, s50, v19
	v_mov_b32_e32 v18, 0x7f800001
	s_and_saveexec_b64 s[78:79], vcc
	s_cbranch_execz .LBB6_4918
; %bb.4917:                             ;   in Loop: Header=BB6_3598 Depth=2
	v_and_b32_e32 v22, 7, v2
	v_ffbh_u32_e32 v18, v22
	v_min_u32_e32 v24, 32, v18
	v_subrev_u32_e32 v18, 28, v24
	v_lshrrev_b32_e32 v23, 3, v19
	v_cmp_gt_u32_e32 vcc, 8, v19
	v_lshlrev_b64 v[18:19], v18, v[2:3]
	v_sub_u32_e32 v19, 29, v24
	v_and_b32_e32 v18, 7, v18
	v_cndmask_b32_e32 v19, v23, v19, vcc
	v_cndmask_b32_e32 v18, v22, v18, vcc
	v_lshlrev_b32_e32 v2, 24, v2
	v_lshlrev_b32_e32 v18, 20, v18
	v_and_b32_e32 v2, 0x80000000, v2
	v_lshl_add_u32 v19, v19, 23, v57
	v_or3_b32 v18, v2, v19, v18
.LBB6_4918:                             ;   in Loop: Header=BB6_3598 Depth=2
	s_or_b64 exec, exec, s[78:79]
.LBB6_4919:                             ;   in Loop: Header=BB6_3598 Depth=2
	s_or_b64 exec, exec, s[76:77]
.LBB6_4920:                             ;   in Loop: Header=BB6_3598 Depth=2
	s_or_b64 exec, exec, s[18:19]
	v_cmp_lt_u64_e32 vcc, s[60:61], v[20:21]
	s_and_saveexec_b64 s[18:19], vcc
	s_cbranch_execz .LBB6_4926
; %bb.4921:                             ;   in Loop: Header=BB6_3598 Depth=2
	v_lshrrev_b32_e32 v2, 24, v21
	v_cmp_ne_u32_e32 vcc, s49, v2
	v_bfrev_b32_e32 v9, 1
	s_and_saveexec_b64 s[76:77], vcc
	s_cbranch_execz .LBB6_4925
; %bb.4922:                             ;   in Loop: Header=BB6_3598 Depth=2
	v_bfe_u32 v19, v21, 24, 7
	v_cmp_ne_u32_e32 vcc, s50, v19
	v_mov_b32_e32 v9, 0x7f800001
	s_and_saveexec_b64 s[78:79], vcc
	s_cbranch_execz .LBB6_4924
; %bb.4923:                             ;   in Loop: Header=BB6_3598 Depth=2
	v_and_b32_e32 v9, 7, v2
	v_lshrrev_b32_e32 v21, 3, v19
	v_cmp_gt_u32_e32 vcc, 8, v19
	v_ffbh_u32_e32 v19, v9
	v_min_u32_e32 v22, 32, v19
	v_subrev_u32_e32 v19, 28, v22
	v_lshlrev_b64 v[19:20], v19, v[2:3]
	v_sub_u32_e32 v20, 29, v22
	v_and_b32_e32 v19, 7, v19
	v_cndmask_b32_e32 v20, v21, v20, vcc
	v_cndmask_b32_e32 v9, v9, v19, vcc
	v_lshlrev_b32_e32 v2, 24, v2
	v_lshlrev_b32_e32 v9, 20, v9
	v_and_b32_e32 v2, 0x80000000, v2
	v_lshl_add_u32 v19, v20, 23, v57
	v_or3_b32 v9, v2, v19, v9
.LBB6_4924:                             ;   in Loop: Header=BB6_3598 Depth=2
	s_or_b64 exec, exec, s[78:79]
.LBB6_4925:                             ;   in Loop: Header=BB6_3598 Depth=2
	s_or_b64 exec, exec, s[76:77]
.LBB6_4926:                             ;   in Loop: Header=BB6_3598 Depth=2
	s_or_b64 exec, exec, s[18:19]
	v_add_f32_e32 v18, v18, v9
	v_and_b32_e32 v2, 0x7f800000, v18
	v_cmp_ne_u64_e32 vcc, s[46:47], v[2:3]
                                        ; implicit-def: $vgpr9
	s_and_saveexec_b64 s[18:19], vcc
	s_xor_b64 s[76:77], exec, s[18:19]
	s_cbranch_execz .LBB6_4940
; %bb.4927:                             ;   in Loop: Header=BB6_3598 Depth=2
	v_and_b32_e32 v2, 0x7fffffff, v18
	v_cmp_gt_u64_e32 vcc, s[56:57], v[2:3]
	v_and_b32_sdwa v21, v18, s49 dst_sel:DWORD dst_unused:UNUSED_PAD src0_sel:BYTE_3 src1_sel:DWORD
                                        ; implicit-def: $vgpr9
	s_and_saveexec_b64 s[18:19], vcc
	s_xor_b64 s[78:79], exec, s[18:19]
	s_cbranch_execz .LBB6_4937
; %bb.4928:                             ;   in Loop: Header=BB6_3598 Depth=2
	v_mov_b32_e32 v9, 0
	v_cmp_ne_u32_e32 vcc, 0, v18
	s_and_saveexec_b64 s[88:89], vcc
	s_cbranch_execz .LBB6_4936
; %bb.4929:                             ;   in Loop: Header=BB6_3598 Depth=2
	v_bfe_u32 v9, v18, 23, 8
	v_and_b32_e32 v2, 0x7fffff, v18
	v_cmp_gt_u32_e64 s[18:19], s51, v9
	v_sub_u32_e32 v18, 0x79, v9
	v_cmp_eq_u32_e32 vcc, 0, v9
	v_cndmask_b32_e64 v18, 0, v18, s[18:19]
	v_mov_b32_e32 v20, 0x78
	v_cndmask_b32_e32 v22, v18, v20, vcc
	v_or_b32_e32 v19, 0x800000, v2
	v_add_u32_e32 v18, 20, v22
	v_cndmask_b32_e32 v2, v19, v2, vcc
	v_lshlrev_b64 v[18:19], v18, -1
	v_add_u32_e32 v20, 19, v22
	v_lshlrev_b64 v[23:24], v20, 1
	v_bfi_b32 v19, v19, 0, 0
	v_bfi_b32 v18, v18, 0, v2
	v_cmp_eq_u64_e64 s[18:19], v[18:19], v[23:24]
	v_lshrrev_b64 v[18:19], v22, v[2:3]
	v_mov_b32_e32 v20, v19
	v_mov_b32_e32 v19, v18
	s_and_saveexec_b64 s[90:91], s[18:19]
; %bb.4930:                             ;   in Loop: Header=BB6_3598 Depth=2
	v_bfe_u32 v2, v18, 20, 1
	v_add_co_u32_e64 v2, s[18:19], v18, v2
	v_add_co_u32_e64 v19, s[18:19], -1, v2
; %bb.4931:                             ;   in Loop: Header=BB6_3598 Depth=2
	s_or_b64 exec, exec, s[90:91]
	v_add_u32_e32 v2, 0xffffff81, v9
	v_mov_b32_e32 v9, 0xffffff82
	v_cndmask_b32_e32 v2, v2, v9, vcc
	v_lshrrev_b32_e32 v9, 23, v18
	v_add3_u32 v22, v22, v2, v9
	v_add_u32_e32 v20, 6, v22
	v_and_b32_e32 v2, 0xfffff, v19
	v_add_u32_e32 v2, v2, v18
	v_cmp_ne_u32_e32 vcc, 0, v20
                                        ; implicit-def: $vgpr18_vgpr19
                                        ; implicit-def: $vgpr9
	s_and_saveexec_b64 s[18:19], vcc
	s_xor_b64 s[18:19], exec, s[18:19]
; %bb.4932:                             ;   in Loop: Header=BB6_3598 Depth=2
	v_cmp_lt_u64_e32 vcc, s[58:59], v[2:3]
	v_add_u32_e32 v9, 7, v22
	v_cndmask_b32_e64 v18, 0, 1, vcc
	v_lshrrev_b64 v[18:19], v18, v[2:3]
	v_cndmask_b32_e32 v9, v20, v9, vcc
; %bb.4933:                             ;   in Loop: Header=BB6_3598 Depth=2
	s_andn2_saveexec_b64 s[18:19], s[18:19]
; %bb.4934:                             ;   in Loop: Header=BB6_3598 Depth=2
	v_mov_b32_e32 v19, v3
	v_bfe_u32 v9, v2, 23, 1
	v_mov_b32_e32 v18, v2
; %bb.4935:                             ;   in Loop: Header=BB6_3598 Depth=2
	s_or_b64 exec, exec, s[18:19]
	v_lshrrev_b64 v[18:19], 20, v[18:19]
	v_cmp_gt_i32_e32 vcc, 16, v9
	v_cndmask_b32_e32 v19, 0, v19, vcc
	v_cndmask_b32_e32 v18, 7, v18, vcc
	v_min_i32_e32 v2, 15, v9
	v_cmp_eq_u64_e64 s[18:19], 0, v[18:19]
	v_lshlrev_b32_e32 v2, 3, v2
	v_cmp_eq_u32_e32 vcc, 0, v9
	v_and_b32_e32 v2, 0xf8, v2
	v_and_or_b32 v2, v18, 7, v2
	s_and_b64 s[18:19], vcc, s[18:19]
	v_cndmask_b32_e64 v2, v2, 0, s[18:19]
	v_or_b32_e32 v9, v2, v21
.LBB6_4936:                             ;   in Loop: Header=BB6_3598 Depth=2
	s_or_b64 exec, exec, s[88:89]
                                        ; implicit-def: $vgpr21
.LBB6_4937:                             ;   in Loop: Header=BB6_3598 Depth=2
	s_andn2_saveexec_b64 s[18:19], s[78:79]
; %bb.4938:                             ;   in Loop: Header=BB6_3598 Depth=2
	v_or_b32_e32 v9, 0x7e, v21
; %bb.4939:                             ;   in Loop: Header=BB6_3598 Depth=2
	s_or_b64 exec, exec, s[18:19]
                                        ; implicit-def: $vgpr18
.LBB6_4940:                             ;   in Loop: Header=BB6_3598 Depth=2
	s_andn2_saveexec_b64 s[18:19], s[76:77]
; %bb.4941:                             ;   in Loop: Header=BB6_3598 Depth=2
	v_or_b32_sdwa v9, v18, s50 dst_sel:DWORD dst_unused:UNUSED_PAD src0_sel:BYTE_3 src1_sel:DWORD
; %bb.4942:                             ;   in Loop: Header=BB6_3598 Depth=2
	s_or_b64 exec, exec, s[18:19]
	v_cmp_ne_u16_sdwa s[76:77], v14, v3 src0_sel:BYTE_0 src1_sel:DWORD
	v_mov_b32_e32 v2, 0
	v_mov_b32_e32 v18, 0
	s_and_saveexec_b64 s[18:19], s[76:77]
	s_cbranch_execz .LBB6_4948
; %bb.4943:                             ;   in Loop: Header=BB6_3598 Depth=2
	v_cmp_ne_u16_sdwa s[78:79], v14, s49 src0_sel:BYTE_0 src1_sel:DWORD
	v_bfrev_b32_e32 v18, 1
	s_and_saveexec_b64 s[76:77], s[78:79]
	s_cbranch_execz .LBB6_4947
; %bb.4944:                             ;   in Loop: Header=BB6_3598 Depth=2
	v_and_b32_e32 v19, 0x7f, v14
	v_cmp_ne_u32_e32 vcc, s50, v19
	v_mov_b32_e32 v18, 0x7f800001
	s_and_saveexec_b64 s[78:79], vcc
	s_cbranch_execz .LBB6_4946
; %bb.4945:                             ;   in Loop: Header=BB6_3598 Depth=2
	v_and_b32_e32 v18, 7, v14
	v_ffbh_u32_e32 v18, v18
	v_min_u32_e32 v18, 32, v18
	v_lshrrev_b32_e32 v20, 3, v19
	v_cmp_gt_u32_e32 vcc, 8, v19
	v_subrev_u32_e32 v19, 28, v18
	v_sub_u32_e32 v18, 29, v18
	v_cndmask_b32_e32 v20, v20, v18, vcc
	v_cndmask_b32_e32 v18, 0, v19, vcc
	v_lshlrev_b64 v[18:19], v18, v[14:15]
	v_lshlrev_b32_e32 v19, 24, v14
	v_lshlrev_b32_e32 v18, 20, v18
	v_and_b32_e32 v18, 0x700000, v18
	v_and_b32_e32 v19, 0x80000000, v19
	v_lshl_add_u32 v20, v20, 23, v57
	v_or3_b32 v18, v19, v20, v18
.LBB6_4946:                             ;   in Loop: Header=BB6_3598 Depth=2
	s_or_b64 exec, exec, s[78:79]
.LBB6_4947:                             ;   in Loop: Header=BB6_3598 Depth=2
	s_or_b64 exec, exec, s[76:77]
.LBB6_4948:                             ;   in Loop: Header=BB6_3598 Depth=2
	s_or_b64 exec, exec, s[18:19]
	s_waitcnt vmcnt(0)
	v_cmp_ne_u16_sdwa s[76:77], v10, v3 src0_sel:BYTE_0 src1_sel:DWORD
	s_and_saveexec_b64 s[18:19], s[76:77]
	s_cbranch_execz .LBB6_4954
; %bb.4949:                             ;   in Loop: Header=BB6_3598 Depth=2
	v_cmp_ne_u16_sdwa s[78:79], v10, s49 src0_sel:BYTE_0 src1_sel:DWORD
	v_bfrev_b32_e32 v2, 1
	s_and_saveexec_b64 s[76:77], s[78:79]
	s_cbranch_execz .LBB6_4953
; %bb.4950:                             ;   in Loop: Header=BB6_3598 Depth=2
	v_and_b32_e32 v19, 0x7f, v10
	v_cmp_ne_u32_e32 vcc, s50, v19
	v_mov_b32_e32 v2, 0x7f800001
	s_and_saveexec_b64 s[78:79], vcc
	s_cbranch_execz .LBB6_4952
; %bb.4951:                             ;   in Loop: Header=BB6_3598 Depth=2
	v_and_b32_e32 v2, 7, v10
	v_ffbh_u32_e32 v2, v2
	v_min_u32_e32 v2, 32, v2
	v_lshrrev_b32_e32 v20, 3, v19
	v_cmp_gt_u32_e32 vcc, 8, v19
	v_subrev_u32_e32 v19, 28, v2
	v_sub_u32_e32 v2, 29, v2
	v_cndmask_b32_e32 v19, 0, v19, vcc
	v_cndmask_b32_e32 v2, v20, v2, vcc
	v_lshlrev_b64 v[19:20], v19, v[10:11]
	v_lshlrev_b32_e32 v20, 24, v10
	v_lshlrev_b32_e32 v19, 20, v19
	v_and_b32_e32 v19, 0x700000, v19
	v_and_b32_e32 v20, 0x80000000, v20
	v_lshl_add_u32 v2, v2, 23, v57
	v_or3_b32 v2, v20, v2, v19
.LBB6_4952:                             ;   in Loop: Header=BB6_3598 Depth=2
	s_or_b64 exec, exec, s[78:79]
.LBB6_4953:                             ;   in Loop: Header=BB6_3598 Depth=2
	s_or_b64 exec, exec, s[76:77]
.LBB6_4954:                             ;   in Loop: Header=BB6_3598 Depth=2
	s_or_b64 exec, exec, s[18:19]
	v_add_f32_e32 v18, v18, v2
	v_and_b32_e32 v2, 0x7f800000, v18
	v_cmp_ne_u64_e32 vcc, s[46:47], v[2:3]
                                        ; implicit-def: $vgpr21
	s_and_saveexec_b64 s[18:19], vcc
	s_xor_b64 s[76:77], exec, s[18:19]
	s_cbranch_execz .LBB6_4968
; %bb.4955:                             ;   in Loop: Header=BB6_3598 Depth=2
	v_and_b32_e32 v2, 0x7fffffff, v18
	v_cmp_gt_u64_e32 vcc, s[56:57], v[2:3]
	v_and_b32_sdwa v22, v18, s49 dst_sel:DWORD dst_unused:UNUSED_PAD src0_sel:BYTE_3 src1_sel:DWORD
                                        ; implicit-def: $vgpr21
	s_and_saveexec_b64 s[18:19], vcc
	s_xor_b64 s[78:79], exec, s[18:19]
	s_cbranch_execz .LBB6_4965
; %bb.4956:                             ;   in Loop: Header=BB6_3598 Depth=2
	v_mov_b32_e32 v21, 0
	v_cmp_ne_u32_e32 vcc, 0, v18
	s_and_saveexec_b64 s[88:89], vcc
	s_cbranch_execz .LBB6_4964
; %bb.4957:                             ;   in Loop: Header=BB6_3598 Depth=2
	v_bfe_u32 v21, v18, 23, 8
	v_and_b32_e32 v2, 0x7fffff, v18
	v_cmp_gt_u32_e64 s[18:19], s51, v21
	v_sub_u32_e32 v18, 0x79, v21
	v_cmp_eq_u32_e32 vcc, 0, v21
	v_cndmask_b32_e64 v18, 0, v18, s[18:19]
	v_mov_b32_e32 v20, 0x78
	v_cndmask_b32_e32 v23, v18, v20, vcc
	v_or_b32_e32 v19, 0x800000, v2
	v_add_u32_e32 v18, 20, v23
	v_cndmask_b32_e32 v2, v19, v2, vcc
	v_lshlrev_b64 v[18:19], v18, -1
	v_add_u32_e32 v20, 19, v23
	v_lshlrev_b64 v[24:25], v20, 1
	v_bfi_b32 v19, v19, 0, 0
	v_bfi_b32 v18, v18, 0, v2
	v_cmp_eq_u64_e64 s[18:19], v[18:19], v[24:25]
	v_lshrrev_b64 v[18:19], v23, v[2:3]
	v_mov_b32_e32 v20, v19
	v_mov_b32_e32 v19, v18
	s_and_saveexec_b64 s[90:91], s[18:19]
; %bb.4958:                             ;   in Loop: Header=BB6_3598 Depth=2
	v_bfe_u32 v2, v18, 20, 1
	v_add_co_u32_e64 v2, s[18:19], v18, v2
	v_add_co_u32_e64 v19, s[18:19], -1, v2
; %bb.4959:                             ;   in Loop: Header=BB6_3598 Depth=2
	s_or_b64 exec, exec, s[90:91]
	v_add_u32_e32 v2, 0xffffff81, v21
	v_mov_b32_e32 v20, 0xffffff82
	v_cndmask_b32_e32 v2, v2, v20, vcc
	v_lshrrev_b32_e32 v20, 23, v18
	v_add3_u32 v23, v23, v2, v20
	v_add_u32_e32 v21, 6, v23
	v_and_b32_e32 v2, 0xfffff, v19
	v_add_u32_e32 v2, v2, v18
	v_cmp_ne_u32_e32 vcc, 0, v21
                                        ; implicit-def: $vgpr18_vgpr19
                                        ; implicit-def: $vgpr20
	s_and_saveexec_b64 s[18:19], vcc
	s_xor_b64 s[18:19], exec, s[18:19]
; %bb.4960:                             ;   in Loop: Header=BB6_3598 Depth=2
	v_cmp_lt_u64_e32 vcc, s[58:59], v[2:3]
	v_add_u32_e32 v18, 7, v23
	v_cndmask_b32_e32 v20, v21, v18, vcc
	v_cndmask_b32_e64 v18, 0, 1, vcc
	v_lshrrev_b64 v[18:19], v18, v[2:3]
; %bb.4961:                             ;   in Loop: Header=BB6_3598 Depth=2
	s_andn2_saveexec_b64 s[18:19], s[18:19]
; %bb.4962:                             ;   in Loop: Header=BB6_3598 Depth=2
	v_mov_b32_e32 v19, v3
	v_bfe_u32 v20, v2, 23, 1
	v_mov_b32_e32 v18, v2
; %bb.4963:                             ;   in Loop: Header=BB6_3598 Depth=2
	s_or_b64 exec, exec, s[18:19]
	v_lshrrev_b64 v[18:19], 20, v[18:19]
	v_cmp_gt_i32_e32 vcc, 16, v20
	v_cndmask_b32_e32 v19, 0, v19, vcc
	v_cndmask_b32_e32 v18, 7, v18, vcc
	v_min_i32_e32 v2, 15, v20
	v_cmp_eq_u64_e64 s[18:19], 0, v[18:19]
	v_lshlrev_b32_e32 v2, 3, v2
	v_cmp_eq_u32_e32 vcc, 0, v20
	v_and_b32_e32 v2, 0xf8, v2
	v_and_or_b32 v2, v18, 7, v2
	s_and_b64 s[18:19], vcc, s[18:19]
	v_cndmask_b32_e64 v2, v2, 0, s[18:19]
	v_or_b32_e32 v21, v2, v22
.LBB6_4964:                             ;   in Loop: Header=BB6_3598 Depth=2
	s_or_b64 exec, exec, s[88:89]
                                        ; implicit-def: $vgpr22
.LBB6_4965:                             ;   in Loop: Header=BB6_3598 Depth=2
	s_andn2_saveexec_b64 s[18:19], s[78:79]
; %bb.4966:                             ;   in Loop: Header=BB6_3598 Depth=2
	v_or_b32_e32 v21, 0x7e, v22
; %bb.4967:                             ;   in Loop: Header=BB6_3598 Depth=2
	s_or_b64 exec, exec, s[18:19]
                                        ; implicit-def: $vgpr18
.LBB6_4968:                             ;   in Loop: Header=BB6_3598 Depth=2
	s_andn2_saveexec_b64 s[18:19], s[76:77]
; %bb.4969:                             ;   in Loop: Header=BB6_3598 Depth=2
	v_or_b32_sdwa v21, v18, s50 dst_sel:DWORD dst_unused:UNUSED_PAD src0_sel:BYTE_3 src1_sel:DWORD
; %bb.4970:                             ;   in Loop: Header=BB6_3598 Depth=2
	s_or_b64 exec, exec, s[18:19]
	v_lshrrev_b16_e32 v2, 8, v14
	v_cmp_ne_u16_e32 vcc, 0, v2
	v_mov_b32_e32 v18, 0
	v_mov_b32_e32 v19, 0
	s_and_saveexec_b64 s[18:19], vcc
	s_cbranch_execz .LBB6_4976
; %bb.4971:                             ;   in Loop: Header=BB6_3598 Depth=2
	v_cmp_ne_u16_e32 vcc, s49, v2
	v_bfrev_b32_e32 v19, 1
	s_and_saveexec_b64 s[76:77], vcc
	s_cbranch_execz .LBB6_4975
; %bb.4972:                             ;   in Loop: Header=BB6_3598 Depth=2
	v_and_b32_e32 v20, 0x7f, v2
	v_cmp_ne_u32_e32 vcc, s50, v20
	v_mov_b32_e32 v19, 0x7f800001
	s_and_saveexec_b64 s[78:79], vcc
	s_cbranch_execz .LBB6_4974
; %bb.4973:                             ;   in Loop: Header=BB6_3598 Depth=2
	v_and_b32_e32 v22, 7, v2
	v_ffbh_u32_e32 v19, v22
	v_min_u32_e32 v24, 32, v19
	v_subrev_u32_e32 v19, 28, v24
	v_lshrrev_b32_e32 v23, 3, v20
	v_cmp_gt_u32_e32 vcc, 8, v20
	v_lshlrev_b64 v[19:20], v19, v[2:3]
	v_sub_u32_e32 v2, 29, v24
	v_and_b32_e32 v19, 7, v19
	v_cndmask_b32_e32 v2, v23, v2, vcc
	v_cndmask_b32_e32 v19, v22, v19, vcc
	v_lshlrev_b32_e32 v20, 16, v14
	v_lshlrev_b32_e32 v19, 20, v19
	v_and_b32_e32 v20, 0x80000000, v20
	v_lshl_add_u32 v2, v2, 23, v57
	v_or3_b32 v19, v20, v2, v19
.LBB6_4974:                             ;   in Loop: Header=BB6_3598 Depth=2
	s_or_b64 exec, exec, s[78:79]
.LBB6_4975:                             ;   in Loop: Header=BB6_3598 Depth=2
	s_or_b64 exec, exec, s[76:77]
.LBB6_4976:                             ;   in Loop: Header=BB6_3598 Depth=2
	s_or_b64 exec, exec, s[18:19]
	v_lshrrev_b16_e32 v2, 8, v10
	v_cmp_ne_u16_e32 vcc, 0, v2
	s_and_saveexec_b64 s[18:19], vcc
	s_cbranch_execz .LBB6_4982
; %bb.4977:                             ;   in Loop: Header=BB6_3598 Depth=2
	v_cmp_ne_u16_e32 vcc, s49, v2
	v_bfrev_b32_e32 v18, 1
	s_and_saveexec_b64 s[76:77], vcc
	s_cbranch_execz .LBB6_4981
; %bb.4978:                             ;   in Loop: Header=BB6_3598 Depth=2
	v_and_b32_e32 v20, 0x7f, v2
	v_cmp_ne_u32_e32 vcc, s50, v20
	v_mov_b32_e32 v18, 0x7f800001
	s_and_saveexec_b64 s[78:79], vcc
	s_cbranch_execz .LBB6_4980
; %bb.4979:                             ;   in Loop: Header=BB6_3598 Depth=2
	v_and_b32_e32 v18, 7, v2
	v_lshrrev_b32_e32 v24, 3, v20
	v_cmp_gt_u32_e32 vcc, 8, v20
	v_ffbh_u32_e32 v20, v18
	v_min_u32_e32 v20, 32, v20
	v_subrev_u32_e32 v22, 28, v20
	v_lshlrev_b64 v[22:23], v22, v[2:3]
	v_sub_u32_e32 v2, 29, v20
	v_and_b32_e32 v20, 7, v22
	v_cndmask_b32_e32 v2, v24, v2, vcc
	v_cndmask_b32_e32 v18, v18, v20, vcc
	v_lshlrev_b32_e32 v20, 16, v10
	v_lshlrev_b32_e32 v18, 20, v18
	v_and_b32_e32 v20, 0x80000000, v20
	v_lshl_add_u32 v2, v2, 23, v57
	v_or3_b32 v18, v20, v2, v18
.LBB6_4980:                             ;   in Loop: Header=BB6_3598 Depth=2
	s_or_b64 exec, exec, s[78:79]
.LBB6_4981:                             ;   in Loop: Header=BB6_3598 Depth=2
	s_or_b64 exec, exec, s[76:77]
.LBB6_4982:                             ;   in Loop: Header=BB6_3598 Depth=2
	s_or_b64 exec, exec, s[18:19]
	v_add_f32_e32 v18, v19, v18
	v_and_b32_e32 v2, 0x7f800000, v18
	v_cmp_ne_u64_e32 vcc, s[46:47], v[2:3]
                                        ; implicit-def: $vgpr22
	s_and_saveexec_b64 s[18:19], vcc
	s_xor_b64 s[76:77], exec, s[18:19]
	s_cbranch_execz .LBB6_4996
; %bb.4983:                             ;   in Loop: Header=BB6_3598 Depth=2
	v_and_b32_e32 v2, 0x7fffffff, v18
	v_cmp_gt_u64_e32 vcc, s[56:57], v[2:3]
	v_and_b32_sdwa v23, v18, s49 dst_sel:DWORD dst_unused:UNUSED_PAD src0_sel:BYTE_3 src1_sel:DWORD
                                        ; implicit-def: $vgpr22
	s_and_saveexec_b64 s[18:19], vcc
	s_xor_b64 s[78:79], exec, s[18:19]
	s_cbranch_execz .LBB6_4993
; %bb.4984:                             ;   in Loop: Header=BB6_3598 Depth=2
	v_mov_b32_e32 v22, 0
	v_cmp_ne_u32_e32 vcc, 0, v18
	s_and_saveexec_b64 s[88:89], vcc
	s_cbranch_execz .LBB6_4992
; %bb.4985:                             ;   in Loop: Header=BB6_3598 Depth=2
	v_bfe_u32 v22, v18, 23, 8
	v_and_b32_e32 v2, 0x7fffff, v18
	v_cmp_gt_u32_e64 s[18:19], s51, v22
	v_sub_u32_e32 v18, 0x79, v22
	v_cmp_eq_u32_e32 vcc, 0, v22
	v_cndmask_b32_e64 v18, 0, v18, s[18:19]
	v_mov_b32_e32 v20, 0x78
	v_cndmask_b32_e32 v24, v18, v20, vcc
	v_or_b32_e32 v19, 0x800000, v2
	v_add_u32_e32 v18, 20, v24
	v_cndmask_b32_e32 v2, v19, v2, vcc
	v_lshlrev_b64 v[18:19], v18, -1
	v_add_u32_e32 v20, 19, v24
	v_lshlrev_b64 v[48:49], v20, 1
	v_bfi_b32 v19, v19, 0, 0
	v_bfi_b32 v18, v18, 0, v2
	v_cmp_eq_u64_e64 s[18:19], v[18:19], v[48:49]
	v_lshrrev_b64 v[18:19], v24, v[2:3]
	v_mov_b32_e32 v20, v19
	v_mov_b32_e32 v19, v18
	s_and_saveexec_b64 s[90:91], s[18:19]
; %bb.4986:                             ;   in Loop: Header=BB6_3598 Depth=2
	v_bfe_u32 v2, v18, 20, 1
	v_add_co_u32_e64 v2, s[18:19], v18, v2
	v_add_co_u32_e64 v19, s[18:19], -1, v2
; %bb.4987:                             ;   in Loop: Header=BB6_3598 Depth=2
	s_or_b64 exec, exec, s[90:91]
	v_add_u32_e32 v2, 0xffffff81, v22
	v_mov_b32_e32 v20, 0xffffff82
	v_cndmask_b32_e32 v2, v2, v20, vcc
	v_lshrrev_b32_e32 v20, 23, v18
	v_add3_u32 v24, v24, v2, v20
	v_add_u32_e32 v22, 6, v24
	v_and_b32_e32 v2, 0xfffff, v19
	v_add_u32_e32 v2, v2, v18
	v_cmp_ne_u32_e32 vcc, 0, v22
                                        ; implicit-def: $vgpr18_vgpr19
                                        ; implicit-def: $vgpr20
	s_and_saveexec_b64 s[18:19], vcc
	s_xor_b64 s[18:19], exec, s[18:19]
; %bb.4988:                             ;   in Loop: Header=BB6_3598 Depth=2
	v_cmp_lt_u64_e32 vcc, s[58:59], v[2:3]
	v_add_u32_e32 v18, 7, v24
	v_cndmask_b32_e32 v20, v22, v18, vcc
	v_cndmask_b32_e64 v18, 0, 1, vcc
	v_lshrrev_b64 v[18:19], v18, v[2:3]
; %bb.4989:                             ;   in Loop: Header=BB6_3598 Depth=2
	s_andn2_saveexec_b64 s[18:19], s[18:19]
; %bb.4990:                             ;   in Loop: Header=BB6_3598 Depth=2
	v_mov_b32_e32 v19, v3
	v_bfe_u32 v20, v2, 23, 1
	v_mov_b32_e32 v18, v2
; %bb.4991:                             ;   in Loop: Header=BB6_3598 Depth=2
	s_or_b64 exec, exec, s[18:19]
	v_lshrrev_b64 v[18:19], 20, v[18:19]
	v_cmp_gt_i32_e32 vcc, 16, v20
	v_cndmask_b32_e32 v19, 0, v19, vcc
	v_cndmask_b32_e32 v18, 7, v18, vcc
	v_min_i32_e32 v2, 15, v20
	v_cmp_eq_u64_e64 s[18:19], 0, v[18:19]
	v_lshlrev_b32_e32 v2, 3, v2
	v_cmp_eq_u32_e32 vcc, 0, v20
	v_and_b32_e32 v2, 0xf8, v2
	v_and_or_b32 v2, v18, 7, v2
	s_and_b64 s[18:19], vcc, s[18:19]
	v_cndmask_b32_e64 v2, v2, 0, s[18:19]
	v_or_b32_e32 v22, v2, v23
.LBB6_4992:                             ;   in Loop: Header=BB6_3598 Depth=2
	s_or_b64 exec, exec, s[88:89]
                                        ; implicit-def: $vgpr23
.LBB6_4993:                             ;   in Loop: Header=BB6_3598 Depth=2
	s_andn2_saveexec_b64 s[18:19], s[78:79]
; %bb.4994:                             ;   in Loop: Header=BB6_3598 Depth=2
	v_or_b32_e32 v22, 0x7e, v23
; %bb.4995:                             ;   in Loop: Header=BB6_3598 Depth=2
	s_or_b64 exec, exec, s[18:19]
                                        ; implicit-def: $vgpr18
.LBB6_4996:                             ;   in Loop: Header=BB6_3598 Depth=2
	s_andn2_saveexec_b64 s[18:19], s[76:77]
; %bb.4997:                             ;   in Loop: Header=BB6_3598 Depth=2
	v_or_b32_sdwa v22, v18, s50 dst_sel:DWORD dst_unused:UNUSED_PAD src0_sel:BYTE_3 src1_sel:DWORD
; %bb.4998:                             ;   in Loop: Header=BB6_3598 Depth=2
	s_or_b64 exec, exec, s[18:19]
	v_lshrrev_b32_e32 v2, 16, v14
	v_cmp_ne_u16_sdwa s[76:77], v2, v3 src0_sel:BYTE_0 src1_sel:DWORD
	v_mov_b32_e32 v18, 0
	v_mov_b32_e32 v19, 0
	s_and_saveexec_b64 s[18:19], s[76:77]
	s_cbranch_execz .LBB6_5004
; %bb.4999:                             ;   in Loop: Header=BB6_3598 Depth=2
	v_cmp_ne_u16_sdwa s[78:79], v2, s49 src0_sel:BYTE_0 src1_sel:DWORD
	v_bfrev_b32_e32 v19, 1
	s_and_saveexec_b64 s[76:77], s[78:79]
	s_cbranch_execz .LBB6_5003
; %bb.5000:                             ;   in Loop: Header=BB6_3598 Depth=2
	v_bfe_u32 v20, v14, 16, 7
	v_cmp_ne_u32_e32 vcc, s50, v20
	v_mov_b32_e32 v19, 0x7f800001
	s_and_saveexec_b64 s[78:79], vcc
	s_cbranch_execz .LBB6_5002
; %bb.5001:                             ;   in Loop: Header=BB6_3598 Depth=2
	v_and_b32_e32 v23, 7, v2
	v_ffbh_u32_e32 v19, v23
	v_min_u32_e32 v25, 32, v19
	v_subrev_u32_e32 v19, 28, v25
	v_lshrrev_b32_e32 v24, 3, v20
	v_cmp_gt_u32_e32 vcc, 8, v20
	v_lshlrev_b64 v[19:20], v19, v[2:3]
	v_sub_u32_e32 v20, 29, v25
	v_and_b32_e32 v19, 7, v19
	v_cndmask_b32_e32 v20, v24, v20, vcc
	v_cndmask_b32_e32 v19, v23, v19, vcc
	v_lshlrev_b32_e32 v2, 24, v2
	v_lshlrev_b32_e32 v19, 20, v19
	v_and_b32_e32 v2, 0x80000000, v2
	v_lshl_add_u32 v20, v20, 23, v57
	v_or3_b32 v19, v2, v20, v19
.LBB6_5002:                             ;   in Loop: Header=BB6_3598 Depth=2
	s_or_b64 exec, exec, s[78:79]
.LBB6_5003:                             ;   in Loop: Header=BB6_3598 Depth=2
	s_or_b64 exec, exec, s[76:77]
.LBB6_5004:                             ;   in Loop: Header=BB6_3598 Depth=2
	s_or_b64 exec, exec, s[18:19]
	v_lshrrev_b32_e32 v2, 16, v10
	v_cmp_ne_u16_sdwa s[76:77], v2, v3 src0_sel:BYTE_0 src1_sel:DWORD
	s_and_saveexec_b64 s[18:19], s[76:77]
	s_cbranch_execz .LBB6_5010
; %bb.5005:                             ;   in Loop: Header=BB6_3598 Depth=2
	v_cmp_ne_u16_sdwa s[78:79], v2, s49 src0_sel:BYTE_0 src1_sel:DWORD
	v_bfrev_b32_e32 v18, 1
	s_and_saveexec_b64 s[76:77], s[78:79]
	s_cbranch_execz .LBB6_5009
; %bb.5006:                             ;   in Loop: Header=BB6_3598 Depth=2
	v_bfe_u32 v20, v10, 16, 7
	v_cmp_ne_u32_e32 vcc, s50, v20
	v_mov_b32_e32 v18, 0x7f800001
	s_and_saveexec_b64 s[78:79], vcc
	s_cbranch_execz .LBB6_5008
; %bb.5007:                             ;   in Loop: Header=BB6_3598 Depth=2
	v_and_b32_e32 v18, 7, v2
	v_lshrrev_b32_e32 v25, 3, v20
	v_cmp_gt_u32_e32 vcc, 8, v20
	v_ffbh_u32_e32 v20, v18
	v_min_u32_e32 v20, 32, v20
	v_subrev_u32_e32 v23, 28, v20
	v_lshlrev_b64 v[23:24], v23, v[2:3]
	v_sub_u32_e32 v2, 29, v20
	v_and_b32_e32 v20, 7, v23
	v_cndmask_b32_e32 v2, v25, v2, vcc
	v_cndmask_b32_e32 v18, v18, v20, vcc
	v_lshlrev_b32_e32 v20, 8, v10
	v_lshlrev_b32_e32 v18, 20, v18
	v_and_b32_e32 v20, 0x80000000, v20
	v_lshl_add_u32 v2, v2, 23, v57
	v_or3_b32 v18, v20, v2, v18
.LBB6_5008:                             ;   in Loop: Header=BB6_3598 Depth=2
	s_or_b64 exec, exec, s[78:79]
.LBB6_5009:                             ;   in Loop: Header=BB6_3598 Depth=2
	s_or_b64 exec, exec, s[76:77]
.LBB6_5010:                             ;   in Loop: Header=BB6_3598 Depth=2
	s_or_b64 exec, exec, s[18:19]
	v_add_f32_e32 v18, v19, v18
	v_and_b32_e32 v2, 0x7f800000, v18
	v_cmp_ne_u64_e32 vcc, s[46:47], v[2:3]
                                        ; implicit-def: $vgpr23
	s_and_saveexec_b64 s[18:19], vcc
	s_xor_b64 s[76:77], exec, s[18:19]
	s_cbranch_execz .LBB6_5024
; %bb.5011:                             ;   in Loop: Header=BB6_3598 Depth=2
	v_and_b32_e32 v2, 0x7fffffff, v18
	v_cmp_gt_u64_e32 vcc, s[56:57], v[2:3]
	v_and_b32_sdwa v24, v18, s49 dst_sel:DWORD dst_unused:UNUSED_PAD src0_sel:BYTE_3 src1_sel:DWORD
                                        ; implicit-def: $vgpr23
	s_and_saveexec_b64 s[18:19], vcc
	s_xor_b64 s[78:79], exec, s[18:19]
	s_cbranch_execz .LBB6_5021
; %bb.5012:                             ;   in Loop: Header=BB6_3598 Depth=2
	v_mov_b32_e32 v23, 0
	v_cmp_ne_u32_e32 vcc, 0, v18
	s_and_saveexec_b64 s[88:89], vcc
	s_cbranch_execz .LBB6_5020
; %bb.5013:                             ;   in Loop: Header=BB6_3598 Depth=2
	v_bfe_u32 v23, v18, 23, 8
	v_and_b32_e32 v2, 0x7fffff, v18
	v_cmp_gt_u32_e64 s[18:19], s51, v23
	v_sub_u32_e32 v18, 0x79, v23
	v_cmp_eq_u32_e32 vcc, 0, v23
	v_cndmask_b32_e64 v18, 0, v18, s[18:19]
	v_mov_b32_e32 v20, 0x78
	v_cndmask_b32_e32 v25, v18, v20, vcc
	v_or_b32_e32 v19, 0x800000, v2
	v_add_u32_e32 v18, 20, v25
	v_cndmask_b32_e32 v2, v19, v2, vcc
	v_lshlrev_b64 v[18:19], v18, -1
	v_add_u32_e32 v20, 19, v25
	v_lshlrev_b64 v[48:49], v20, 1
	v_bfi_b32 v19, v19, 0, 0
	v_bfi_b32 v18, v18, 0, v2
	v_cmp_eq_u64_e64 s[18:19], v[18:19], v[48:49]
	v_lshrrev_b64 v[18:19], v25, v[2:3]
	v_mov_b32_e32 v20, v19
	v_mov_b32_e32 v19, v18
	s_and_saveexec_b64 s[90:91], s[18:19]
; %bb.5014:                             ;   in Loop: Header=BB6_3598 Depth=2
	v_bfe_u32 v2, v18, 20, 1
	v_add_co_u32_e64 v2, s[18:19], v18, v2
	v_add_co_u32_e64 v19, s[18:19], -1, v2
; %bb.5015:                             ;   in Loop: Header=BB6_3598 Depth=2
	s_or_b64 exec, exec, s[90:91]
	v_add_u32_e32 v2, 0xffffff81, v23
	v_mov_b32_e32 v20, 0xffffff82
	v_cndmask_b32_e32 v2, v2, v20, vcc
	v_lshrrev_b32_e32 v20, 23, v18
	v_add3_u32 v25, v25, v2, v20
	v_add_u32_e32 v23, 6, v25
	v_and_b32_e32 v2, 0xfffff, v19
	v_add_u32_e32 v2, v2, v18
	v_cmp_ne_u32_e32 vcc, 0, v23
                                        ; implicit-def: $vgpr18_vgpr19
                                        ; implicit-def: $vgpr20
	s_and_saveexec_b64 s[18:19], vcc
	s_xor_b64 s[18:19], exec, s[18:19]
; %bb.5016:                             ;   in Loop: Header=BB6_3598 Depth=2
	v_cmp_lt_u64_e32 vcc, s[58:59], v[2:3]
	v_add_u32_e32 v18, 7, v25
	v_cndmask_b32_e32 v20, v23, v18, vcc
	v_cndmask_b32_e64 v18, 0, 1, vcc
	v_lshrrev_b64 v[18:19], v18, v[2:3]
; %bb.5017:                             ;   in Loop: Header=BB6_3598 Depth=2
	s_andn2_saveexec_b64 s[18:19], s[18:19]
; %bb.5018:                             ;   in Loop: Header=BB6_3598 Depth=2
	v_mov_b32_e32 v19, v3
	v_bfe_u32 v20, v2, 23, 1
	v_mov_b32_e32 v18, v2
; %bb.5019:                             ;   in Loop: Header=BB6_3598 Depth=2
	s_or_b64 exec, exec, s[18:19]
	v_lshrrev_b64 v[18:19], 20, v[18:19]
	v_cmp_gt_i32_e32 vcc, 16, v20
	v_cndmask_b32_e32 v19, 0, v19, vcc
	v_cndmask_b32_e32 v18, 7, v18, vcc
	v_min_i32_e32 v2, 15, v20
	v_cmp_eq_u64_e64 s[18:19], 0, v[18:19]
	v_lshlrev_b32_e32 v2, 3, v2
	v_cmp_eq_u32_e32 vcc, 0, v20
	v_and_b32_e32 v2, 0xf8, v2
	v_and_or_b32 v2, v18, 7, v2
	s_and_b64 s[18:19], vcc, s[18:19]
	v_cndmask_b32_e64 v2, v2, 0, s[18:19]
	v_or_b32_e32 v23, v2, v24
.LBB6_5020:                             ;   in Loop: Header=BB6_3598 Depth=2
	s_or_b64 exec, exec, s[88:89]
                                        ; implicit-def: $vgpr24
.LBB6_5021:                             ;   in Loop: Header=BB6_3598 Depth=2
	s_andn2_saveexec_b64 s[18:19], s[78:79]
; %bb.5022:                             ;   in Loop: Header=BB6_3598 Depth=2
	v_or_b32_e32 v23, 0x7e, v24
; %bb.5023:                             ;   in Loop: Header=BB6_3598 Depth=2
	s_or_b64 exec, exec, s[18:19]
                                        ; implicit-def: $vgpr18
.LBB6_5024:                             ;   in Loop: Header=BB6_3598 Depth=2
	s_andn2_saveexec_b64 s[18:19], s[76:77]
; %bb.5025:                             ;   in Loop: Header=BB6_3598 Depth=2
	v_or_b32_sdwa v23, v18, s50 dst_sel:DWORD dst_unused:UNUSED_PAD src0_sel:BYTE_3 src1_sel:DWORD
; %bb.5026:                             ;   in Loop: Header=BB6_3598 Depth=2
	s_or_b64 exec, exec, s[18:19]
	v_cmp_lt_u32_e32 vcc, s61, v14
	v_mov_b32_e32 v18, 0
	v_mov_b32_e32 v19, 0
	s_and_saveexec_b64 s[18:19], vcc
	s_cbranch_execz .LBB6_5032
; %bb.5027:                             ;   in Loop: Header=BB6_3598 Depth=2
	v_lshrrev_b32_e32 v2, 24, v14
	v_cmp_ne_u32_e32 vcc, s49, v2
	v_bfrev_b32_e32 v19, 1
	s_and_saveexec_b64 s[76:77], vcc
	s_cbranch_execz .LBB6_5031
; %bb.5028:                             ;   in Loop: Header=BB6_3598 Depth=2
	v_bfe_u32 v20, v14, 24, 7
	v_cmp_ne_u32_e32 vcc, s50, v20
	v_mov_b32_e32 v19, 0x7f800001
	s_and_saveexec_b64 s[78:79], vcc
	s_cbranch_execz .LBB6_5030
; %bb.5029:                             ;   in Loop: Header=BB6_3598 Depth=2
	v_and_b32_e32 v24, 7, v2
	v_ffbh_u32_e32 v19, v24
	v_min_u32_e32 v32, 32, v19
	v_subrev_u32_e32 v19, 28, v32
	v_lshrrev_b32_e32 v25, 3, v20
	v_cmp_gt_u32_e32 vcc, 8, v20
	v_lshlrev_b64 v[19:20], v19, v[2:3]
	v_sub_u32_e32 v20, 29, v32
	v_and_b32_e32 v19, 7, v19
	v_cndmask_b32_e32 v20, v25, v20, vcc
	v_cndmask_b32_e32 v19, v24, v19, vcc
	v_lshlrev_b32_e32 v2, 24, v2
	v_lshlrev_b32_e32 v19, 20, v19
	v_and_b32_e32 v2, 0x80000000, v2
	v_lshl_add_u32 v20, v20, 23, v57
	v_or3_b32 v19, v2, v20, v19
.LBB6_5030:                             ;   in Loop: Header=BB6_3598 Depth=2
	s_or_b64 exec, exec, s[78:79]
.LBB6_5031:                             ;   in Loop: Header=BB6_3598 Depth=2
	s_or_b64 exec, exec, s[76:77]
.LBB6_5032:                             ;   in Loop: Header=BB6_3598 Depth=2
	s_or_b64 exec, exec, s[18:19]
	v_cmp_lt_u32_e32 vcc, s61, v10
	s_and_saveexec_b64 s[18:19], vcc
	s_cbranch_execz .LBB6_5038
; %bb.5033:                             ;   in Loop: Header=BB6_3598 Depth=2
	v_lshrrev_b32_e32 v2, 24, v10
	v_cmp_ne_u32_e32 vcc, s49, v2
	v_bfrev_b32_e32 v18, 1
	s_and_saveexec_b64 s[76:77], vcc
	s_cbranch_execz .LBB6_5037
; %bb.5034:                             ;   in Loop: Header=BB6_3598 Depth=2
	v_bfe_u32 v20, v10, 24, 7
	v_cmp_ne_u32_e32 vcc, s50, v20
	v_mov_b32_e32 v18, 0x7f800001
	s_and_saveexec_b64 s[78:79], vcc
	s_cbranch_execz .LBB6_5036
; %bb.5035:                             ;   in Loop: Header=BB6_3598 Depth=2
	v_and_b32_e32 v18, 7, v2
	v_lshrrev_b32_e32 v32, 3, v20
	v_cmp_gt_u32_e32 vcc, 8, v20
	v_ffbh_u32_e32 v20, v18
	v_min_u32_e32 v20, 32, v20
	v_subrev_u32_e32 v24, 28, v20
	v_lshlrev_b64 v[24:25], v24, v[2:3]
	v_sub_u32_e32 v20, 29, v20
	v_and_b32_e32 v24, 7, v24
	v_cndmask_b32_e32 v20, v32, v20, vcc
	v_cndmask_b32_e32 v18, v18, v24, vcc
	v_lshlrev_b32_e32 v2, 24, v2
	v_lshlrev_b32_e32 v18, 20, v18
	v_and_b32_e32 v2, 0x80000000, v2
	v_lshl_add_u32 v20, v20, 23, v57
	v_or3_b32 v18, v2, v20, v18
.LBB6_5036:                             ;   in Loop: Header=BB6_3598 Depth=2
	s_or_b64 exec, exec, s[78:79]
.LBB6_5037:                             ;   in Loop: Header=BB6_3598 Depth=2
	s_or_b64 exec, exec, s[76:77]
.LBB6_5038:                             ;   in Loop: Header=BB6_3598 Depth=2
	s_or_b64 exec, exec, s[18:19]
	v_add_f32_e32 v18, v19, v18
	v_and_b32_e32 v2, 0x7f800000, v18
	v_cmp_ne_u64_e32 vcc, s[46:47], v[2:3]
                                        ; implicit-def: $vgpr24
	s_and_saveexec_b64 s[18:19], vcc
	s_xor_b64 s[76:77], exec, s[18:19]
	s_cbranch_execz .LBB6_5052
; %bb.5039:                             ;   in Loop: Header=BB6_3598 Depth=2
	v_and_b32_e32 v2, 0x7fffffff, v18
	v_cmp_gt_u64_e32 vcc, s[56:57], v[2:3]
	v_and_b32_sdwa v25, v18, s49 dst_sel:DWORD dst_unused:UNUSED_PAD src0_sel:BYTE_3 src1_sel:DWORD
                                        ; implicit-def: $vgpr24
	s_and_saveexec_b64 s[18:19], vcc
	s_xor_b64 s[78:79], exec, s[18:19]
	s_cbranch_execz .LBB6_5049
; %bb.5040:                             ;   in Loop: Header=BB6_3598 Depth=2
	v_mov_b32_e32 v24, 0
	v_cmp_ne_u32_e32 vcc, 0, v18
	s_and_saveexec_b64 s[88:89], vcc
	s_cbranch_execz .LBB6_5048
; %bb.5041:                             ;   in Loop: Header=BB6_3598 Depth=2
	v_bfe_u32 v24, v18, 23, 8
	v_and_b32_e32 v2, 0x7fffff, v18
	v_cmp_gt_u32_e64 s[18:19], s51, v24
	v_sub_u32_e32 v18, 0x79, v24
	v_cmp_eq_u32_e32 vcc, 0, v24
	v_cndmask_b32_e64 v18, 0, v18, s[18:19]
	v_mov_b32_e32 v20, 0x78
	v_cndmask_b32_e32 v48, v18, v20, vcc
	v_or_b32_e32 v19, 0x800000, v2
	v_add_u32_e32 v18, 20, v48
	v_cndmask_b32_e32 v2, v19, v2, vcc
	v_lshlrev_b64 v[18:19], v18, -1
	v_add_u32_e32 v20, 19, v48
	v_lshlrev_b64 v[40:41], v20, 1
	v_bfi_b32 v19, v19, 0, 0
	v_bfi_b32 v18, v18, 0, v2
	v_cmp_eq_u64_e64 s[18:19], v[18:19], v[40:41]
	v_lshrrev_b64 v[18:19], v48, v[2:3]
	v_mov_b32_e32 v20, v19
	v_mov_b32_e32 v19, v18
	s_and_saveexec_b64 s[90:91], s[18:19]
; %bb.5042:                             ;   in Loop: Header=BB6_3598 Depth=2
	v_bfe_u32 v2, v18, 20, 1
	v_add_co_u32_e64 v2, s[18:19], v18, v2
	v_add_co_u32_e64 v19, s[18:19], -1, v2
; %bb.5043:                             ;   in Loop: Header=BB6_3598 Depth=2
	s_or_b64 exec, exec, s[90:91]
	v_add_u32_e32 v2, 0xffffff81, v24
	v_mov_b32_e32 v20, 0xffffff82
	v_cndmask_b32_e32 v2, v2, v20, vcc
	v_lshrrev_b32_e32 v20, 23, v18
	v_add3_u32 v48, v48, v2, v20
	v_add_u32_e32 v24, 6, v48
	v_and_b32_e32 v2, 0xfffff, v19
	v_add_u32_e32 v2, v2, v18
	v_cmp_ne_u32_e32 vcc, 0, v24
                                        ; implicit-def: $vgpr18_vgpr19
                                        ; implicit-def: $vgpr20
	s_and_saveexec_b64 s[18:19], vcc
	s_xor_b64 s[18:19], exec, s[18:19]
; %bb.5044:                             ;   in Loop: Header=BB6_3598 Depth=2
	v_cmp_lt_u64_e32 vcc, s[58:59], v[2:3]
	v_add_u32_e32 v18, 7, v48
	v_cndmask_b32_e32 v20, v24, v18, vcc
	v_cndmask_b32_e64 v18, 0, 1, vcc
	v_lshrrev_b64 v[18:19], v18, v[2:3]
; %bb.5045:                             ;   in Loop: Header=BB6_3598 Depth=2
	s_andn2_saveexec_b64 s[18:19], s[18:19]
; %bb.5046:                             ;   in Loop: Header=BB6_3598 Depth=2
	v_mov_b32_e32 v19, v3
	v_bfe_u32 v20, v2, 23, 1
	v_mov_b32_e32 v18, v2
; %bb.5047:                             ;   in Loop: Header=BB6_3598 Depth=2
	s_or_b64 exec, exec, s[18:19]
	v_lshrrev_b64 v[18:19], 20, v[18:19]
	v_cmp_gt_i32_e32 vcc, 16, v20
	v_cndmask_b32_e32 v19, 0, v19, vcc
	v_cndmask_b32_e32 v18, 7, v18, vcc
	v_min_i32_e32 v2, 15, v20
	v_cmp_eq_u64_e64 s[18:19], 0, v[18:19]
	v_lshlrev_b32_e32 v2, 3, v2
	v_cmp_eq_u32_e32 vcc, 0, v20
	v_and_b32_e32 v2, 0xf8, v2
	v_and_or_b32 v2, v18, 7, v2
	s_and_b64 s[18:19], vcc, s[18:19]
	v_cndmask_b32_e64 v2, v2, 0, s[18:19]
	v_or_b32_e32 v24, v2, v25
.LBB6_5048:                             ;   in Loop: Header=BB6_3598 Depth=2
	s_or_b64 exec, exec, s[88:89]
                                        ; implicit-def: $vgpr25
.LBB6_5049:                             ;   in Loop: Header=BB6_3598 Depth=2
	s_andn2_saveexec_b64 s[18:19], s[78:79]
; %bb.5050:                             ;   in Loop: Header=BB6_3598 Depth=2
	v_or_b32_e32 v24, 0x7e, v25
; %bb.5051:                             ;   in Loop: Header=BB6_3598 Depth=2
	s_or_b64 exec, exec, s[18:19]
                                        ; implicit-def: $vgpr18
.LBB6_5052:                             ;   in Loop: Header=BB6_3598 Depth=2
	s_andn2_saveexec_b64 s[18:19], s[76:77]
; %bb.5053:                             ;   in Loop: Header=BB6_3598 Depth=2
	v_or_b32_sdwa v24, v18, s50 dst_sel:DWORD dst_unused:UNUSED_PAD src0_sel:BYTE_3 src1_sel:DWORD
; %bb.5054:                             ;   in Loop: Header=BB6_3598 Depth=2
	s_or_b64 exec, exec, s[18:19]
	v_mov_b32_e32 v2, v15
	v_cmp_ne_u16_sdwa s[76:77], v15, v3 src0_sel:BYTE_0 src1_sel:DWORD
	v_mov_b32_e32 v19, 0
	v_mov_b32_e32 v18, 0
	s_and_saveexec_b64 s[18:19], s[76:77]
	s_cbranch_execz .LBB6_5060
; %bb.5055:                             ;   in Loop: Header=BB6_3598 Depth=2
	v_cmp_ne_u16_sdwa s[78:79], v15, s49 src0_sel:BYTE_0 src1_sel:DWORD
	v_bfrev_b32_e32 v18, 1
	s_and_saveexec_b64 s[76:77], s[78:79]
	s_cbranch_execz .LBB6_5059
; %bb.5056:                             ;   in Loop: Header=BB6_3598 Depth=2
	v_and_b32_e32 v20, 0x7f, v15
	v_cmp_ne_u32_e32 vcc, s50, v20
	v_mov_b32_e32 v18, 0x7f800001
	s_and_saveexec_b64 s[78:79], vcc
	s_cbranch_execz .LBB6_5058
; %bb.5057:                             ;   in Loop: Header=BB6_3598 Depth=2
	v_and_b32_e32 v18, 7, v15
	v_ffbh_u32_e32 v18, v18
	v_min_u32_e32 v18, 32, v18
	v_lshrrev_b32_e32 v25, 3, v20
	v_cmp_gt_u32_e32 vcc, 8, v20
	v_subrev_u32_e32 v20, 28, v18
	v_cndmask_b32_e32 v20, 0, v20, vcc
	v_lshlrev_b64 v[48:49], v20, v[2:3]
	v_sub_u32_e32 v18, 29, v18
	v_cndmask_b32_e32 v18, v25, v18, vcc
	v_lshlrev_b32_e32 v20, 20, v48
	v_lshlrev_b32_e32 v25, 24, v2
	v_and_b32_e32 v20, 0x700000, v20
	v_and_b32_e32 v25, 0x80000000, v25
	v_lshl_add_u32 v18, v18, 23, v57
	v_or3_b32 v18, v25, v18, v20
.LBB6_5058:                             ;   in Loop: Header=BB6_3598 Depth=2
	s_or_b64 exec, exec, s[78:79]
.LBB6_5059:                             ;   in Loop: Header=BB6_3598 Depth=2
	s_or_b64 exec, exec, s[76:77]
.LBB6_5060:                             ;   in Loop: Header=BB6_3598 Depth=2
	s_or_b64 exec, exec, s[18:19]
	v_cmp_ne_u16_sdwa s[76:77], v11, v3 src0_sel:BYTE_0 src1_sel:DWORD
	s_and_saveexec_b64 s[18:19], s[76:77]
	s_cbranch_execz .LBB6_5066
; %bb.5061:                             ;   in Loop: Header=BB6_3598 Depth=2
	v_cmp_ne_u16_sdwa s[78:79], v11, s49 src0_sel:BYTE_0 src1_sel:DWORD
	v_bfrev_b32_e32 v19, 1
	s_and_saveexec_b64 s[76:77], s[78:79]
	s_cbranch_execz .LBB6_5065
; %bb.5062:                             ;   in Loop: Header=BB6_3598 Depth=2
	v_and_b32_e32 v20, 0x7f, v11
	v_cmp_ne_u32_e32 vcc, s50, v20
	v_mov_b32_e32 v19, 0x7f800001
	s_and_saveexec_b64 s[78:79], vcc
	s_cbranch_execz .LBB6_5064
; %bb.5063:                             ;   in Loop: Header=BB6_3598 Depth=2
	v_and_b32_e32 v19, 7, v11
	v_ffbh_u32_e32 v19, v19
	v_min_u32_e32 v19, 32, v19
	v_lshrrev_b32_e32 v25, 3, v20
	v_cmp_gt_u32_e32 vcc, 8, v20
	v_subrev_u32_e32 v20, 28, v19
	v_sub_u32_e32 v19, 29, v19
	v_mov_b32_e32 v48, v11
	v_mov_b32_e32 v49, v3
	v_cndmask_b32_e32 v25, v25, v19, vcc
	v_cndmask_b32_e32 v19, 0, v20, vcc
	v_lshlrev_b64 v[19:20], v19, v[48:49]
	v_lshlrev_b32_e32 v20, 24, v48
	v_lshlrev_b32_e32 v19, 20, v19
	v_and_b32_e32 v19, 0x700000, v19
	v_and_b32_e32 v20, 0x80000000, v20
	v_lshl_add_u32 v25, v25, 23, v57
	v_or3_b32 v19, v20, v25, v19
.LBB6_5064:                             ;   in Loop: Header=BB6_3598 Depth=2
	s_or_b64 exec, exec, s[78:79]
.LBB6_5065:                             ;   in Loop: Header=BB6_3598 Depth=2
	s_or_b64 exec, exec, s[76:77]
.LBB6_5066:                             ;   in Loop: Header=BB6_3598 Depth=2
	s_or_b64 exec, exec, s[18:19]
	v_add_f32_e32 v18, v18, v19
	v_and_b32_e32 v19, 0x7f800000, v18
	v_mov_b32_e32 v20, v3
	v_cmp_ne_u64_e32 vcc, s[46:47], v[19:20]
                                        ; implicit-def: $vgpr25
	s_and_saveexec_b64 s[18:19], vcc
	s_xor_b64 s[76:77], exec, s[18:19]
	s_cbranch_execz .LBB6_5080
; %bb.5067:                             ;   in Loop: Header=BB6_3598 Depth=2
	v_and_b32_e32 v19, 0x7fffffff, v18
	v_mov_b32_e32 v20, v3
	v_cmp_gt_u64_e32 vcc, s[56:57], v[19:20]
	v_and_b32_sdwa v48, v18, s49 dst_sel:DWORD dst_unused:UNUSED_PAD src0_sel:BYTE_3 src1_sel:DWORD
                                        ; implicit-def: $vgpr25
	s_and_saveexec_b64 s[18:19], vcc
	s_xor_b64 s[78:79], exec, s[18:19]
	s_cbranch_execz .LBB6_5077
; %bb.5068:                             ;   in Loop: Header=BB6_3598 Depth=2
	v_mov_b32_e32 v25, 0
	v_cmp_ne_u32_e32 vcc, 0, v18
	s_and_saveexec_b64 s[88:89], vcc
	s_cbranch_execz .LBB6_5076
; %bb.5069:                             ;   in Loop: Header=BB6_3598 Depth=2
	v_bfe_u32 v25, v18, 23, 8
	v_and_b32_e32 v19, 0x7fffff, v18
	v_cmp_gt_u32_e64 s[18:19], s51, v25
	v_sub_u32_e32 v18, 0x79, v25
	v_cmp_eq_u32_e32 vcc, 0, v25
	v_cndmask_b32_e64 v18, 0, v18, s[18:19]
	v_mov_b32_e32 v32, 0x78
	v_or_b32_e32 v20, 0x800000, v19
	v_cndmask_b32_e32 v49, v18, v32, vcc
	v_cndmask_b32_e32 v18, v20, v19, vcc
	v_add_u32_e32 v20, 20, v49
	v_lshlrev_b64 v[40:41], v20, -1
	v_mov_b32_e32 v19, v3
	v_add_u32_e32 v20, 19, v49
	v_bfi_b32 v40, v40, 0, v18
	v_lshlrev_b64 v[58:59], v20, 1
	v_lshrrev_b64 v[18:19], v49, v[18:19]
	v_bfi_b32 v41, v41, 0, 0
	v_cmp_eq_u64_e64 s[18:19], v[40:41], v[58:59]
	v_mov_b32_e32 v20, v19
	v_mov_b32_e32 v19, v18
	s_and_saveexec_b64 s[90:91], s[18:19]
; %bb.5070:                             ;   in Loop: Header=BB6_3598 Depth=2
	v_bfe_u32 v19, v18, 20, 1
	v_add_co_u32_e64 v19, s[18:19], v18, v19
	v_add_co_u32_e64 v19, s[18:19], -1, v19
; %bb.5071:                             ;   in Loop: Header=BB6_3598 Depth=2
	s_or_b64 exec, exec, s[90:91]
	v_add_u32_e32 v20, 0xffffff81, v25
	v_mov_b32_e32 v25, 0xffffff82
	v_cndmask_b32_e32 v20, v20, v25, vcc
	v_lshrrev_b32_e32 v25, 23, v18
	v_add3_u32 v49, v49, v20, v25
	v_add_u32_e32 v25, 6, v49
	v_and_b32_e32 v19, 0xfffff, v19
	v_add_u32_e32 v18, v19, v18
	v_mov_b32_e32 v19, v3
	v_cmp_ne_u32_e32 vcc, 0, v25
                                        ; implicit-def: $vgpr20
	s_and_saveexec_b64 s[18:19], vcc
	s_xor_b64 s[18:19], exec, s[18:19]
; %bb.5072:                             ;   in Loop: Header=BB6_3598 Depth=2
	v_cmp_lt_u64_e32 vcc, s[58:59], v[18:19]
	v_add_u32_e32 v20, 7, v49
	v_cndmask_b32_e32 v20, v25, v20, vcc
	v_cndmask_b32_e64 v25, 0, 1, vcc
	v_lshrrev_b64 v[18:19], v25, v[18:19]
; %bb.5073:                             ;   in Loop: Header=BB6_3598 Depth=2
	s_andn2_saveexec_b64 s[18:19], s[18:19]
; %bb.5074:                             ;   in Loop: Header=BB6_3598 Depth=2
	v_bfe_u32 v20, v18, 23, 1
; %bb.5075:                             ;   in Loop: Header=BB6_3598 Depth=2
	s_or_b64 exec, exec, s[18:19]
	v_lshrrev_b64 v[18:19], 20, v[18:19]
	v_cmp_gt_i32_e32 vcc, 16, v20
	v_cndmask_b32_e32 v19, 0, v19, vcc
	v_cndmask_b32_e32 v18, 7, v18, vcc
	v_cmp_eq_u64_e64 s[18:19], 0, v[18:19]
	v_min_i32_e32 v19, 15, v20
	v_lshlrev_b32_e32 v19, 3, v19
	v_cmp_eq_u32_e32 vcc, 0, v20
	v_and_b32_e32 v19, 0xf8, v19
	v_and_or_b32 v18, v18, 7, v19
	s_and_b64 s[18:19], vcc, s[18:19]
	v_cndmask_b32_e64 v18, v18, 0, s[18:19]
	v_or_b32_e32 v25, v18, v48
.LBB6_5076:                             ;   in Loop: Header=BB6_3598 Depth=2
	s_or_b64 exec, exec, s[88:89]
                                        ; implicit-def: $vgpr48
.LBB6_5077:                             ;   in Loop: Header=BB6_3598 Depth=2
	s_andn2_saveexec_b64 s[18:19], s[78:79]
; %bb.5078:                             ;   in Loop: Header=BB6_3598 Depth=2
	v_or_b32_e32 v25, 0x7e, v48
; %bb.5079:                             ;   in Loop: Header=BB6_3598 Depth=2
	s_or_b64 exec, exec, s[18:19]
                                        ; implicit-def: $vgpr18
.LBB6_5080:                             ;   in Loop: Header=BB6_3598 Depth=2
	s_andn2_saveexec_b64 s[18:19], s[76:77]
; %bb.5081:                             ;   in Loop: Header=BB6_3598 Depth=2
	v_or_b32_sdwa v25, v18, s50 dst_sel:DWORD dst_unused:UNUSED_PAD src0_sel:BYTE_3 src1_sel:DWORD
; %bb.5082:                             ;   in Loop: Header=BB6_3598 Depth=2
	s_or_b64 exec, exec, s[18:19]
	v_lshrrev_b16_e32 v18, 8, v2
	v_cmp_ne_u16_e32 vcc, 0, v18
	v_mov_b32_e32 v19, 0
	v_mov_b32_e32 v20, 0
	s_and_saveexec_b64 s[18:19], vcc
	s_cbranch_execz .LBB6_5088
; %bb.5083:                             ;   in Loop: Header=BB6_3598 Depth=2
	v_cmp_ne_u16_e32 vcc, s49, v18
	v_bfrev_b32_e32 v20, 1
	s_and_saveexec_b64 s[76:77], vcc
	s_cbranch_execz .LBB6_5087
; %bb.5084:                             ;   in Loop: Header=BB6_3598 Depth=2
	v_and_b32_e32 v48, 0x7f, v18
	v_cmp_ne_u32_e32 vcc, s50, v48
	v_mov_b32_e32 v20, 0x7f800001
	s_and_saveexec_b64 s[78:79], vcc
	s_cbranch_execz .LBB6_5086
; %bb.5085:                             ;   in Loop: Header=BB6_3598 Depth=2
	v_and_b32_e32 v20, 7, v18
	v_ffbh_u32_e32 v33, v20
	v_min_u32_e32 v33, 32, v33
	v_lshrrev_b32_e32 v32, 3, v48
	v_cmp_gt_u32_e32 vcc, 8, v48
	v_subrev_u32_e32 v48, 28, v33
	v_lshlrev_b64 v[48:49], v48, v[18:19]
	v_sub_u32_e32 v18, 29, v33
	v_and_b32_e32 v33, 7, v48
	v_cndmask_b32_e32 v18, v32, v18, vcc
	v_cndmask_b32_e32 v20, v20, v33, vcc
	v_lshlrev_b32_e32 v2, 16, v2
	v_lshlrev_b32_e32 v20, 20, v20
	v_and_b32_e32 v2, 0x80000000, v2
	v_lshl_add_u32 v18, v18, 23, v57
	v_or3_b32 v20, v2, v18, v20
.LBB6_5086:                             ;   in Loop: Header=BB6_3598 Depth=2
	s_or_b64 exec, exec, s[78:79]
.LBB6_5087:                             ;   in Loop: Header=BB6_3598 Depth=2
	s_or_b64 exec, exec, s[76:77]
.LBB6_5088:                             ;   in Loop: Header=BB6_3598 Depth=2
	s_or_b64 exec, exec, s[18:19]
	v_lshrrev_b16_e32 v2, 8, v11
	v_cmp_ne_u16_e32 vcc, 0, v2
	s_and_saveexec_b64 s[18:19], vcc
	s_cbranch_execz .LBB6_5094
; %bb.5089:                             ;   in Loop: Header=BB6_3598 Depth=2
	v_cmp_ne_u16_e32 vcc, s49, v2
	v_bfrev_b32_e32 v19, 1
	s_and_saveexec_b64 s[76:77], vcc
	s_cbranch_execz .LBB6_5093
; %bb.5090:                             ;   in Loop: Header=BB6_3598 Depth=2
	v_and_b32_e32 v18, 0x7f, v2
	v_cmp_ne_u32_e32 vcc, s50, v18
	v_mov_b32_e32 v19, 0x7f800001
	s_and_saveexec_b64 s[78:79], vcc
	s_cbranch_execz .LBB6_5092
; %bb.5091:                             ;   in Loop: Header=BB6_3598 Depth=2
	v_and_b32_e32 v32, 7, v2
	v_lshrrev_b32_e32 v33, 3, v18
	v_cmp_gt_u32_e32 vcc, 8, v18
	v_ffbh_u32_e32 v18, v32
	v_min_u32_e32 v48, 32, v18
	v_subrev_u32_e32 v18, 28, v48
	v_lshlrev_b64 v[18:19], v18, v[2:3]
	v_sub_u32_e32 v2, 29, v48
	v_and_b32_e32 v18, 7, v18
	v_cndmask_b32_e32 v2, v33, v2, vcc
	v_cndmask_b32_e32 v18, v32, v18, vcc
	v_lshlrev_b32_e32 v19, 16, v11
	v_lshlrev_b32_e32 v18, 20, v18
	v_and_b32_e32 v19, 0x80000000, v19
	v_lshl_add_u32 v2, v2, 23, v57
	v_or3_b32 v19, v19, v2, v18
.LBB6_5092:                             ;   in Loop: Header=BB6_3598 Depth=2
	s_or_b64 exec, exec, s[78:79]
.LBB6_5093:                             ;   in Loop: Header=BB6_3598 Depth=2
	s_or_b64 exec, exec, s[76:77]
.LBB6_5094:                             ;   in Loop: Header=BB6_3598 Depth=2
	s_or_b64 exec, exec, s[18:19]
	v_add_f32_e32 v18, v20, v19
	v_and_b32_e32 v2, 0x7f800000, v18
	v_cmp_ne_u64_e32 vcc, s[46:47], v[2:3]
                                        ; implicit-def: $vgpr54
	s_and_saveexec_b64 s[18:19], vcc
	s_xor_b64 s[76:77], exec, s[18:19]
	s_cbranch_execz .LBB6_5108
; %bb.5095:                             ;   in Loop: Header=BB6_3598 Depth=2
	v_and_b32_e32 v2, 0x7fffffff, v18
	v_cmp_gt_u64_e32 vcc, s[56:57], v[2:3]
	v_and_b32_sdwa v48, v18, s49 dst_sel:DWORD dst_unused:UNUSED_PAD src0_sel:BYTE_3 src1_sel:DWORD
                                        ; implicit-def: $vgpr54
	s_and_saveexec_b64 s[18:19], vcc
	s_xor_b64 s[78:79], exec, s[18:19]
	s_cbranch_execz .LBB6_5105
; %bb.5096:                             ;   in Loop: Header=BB6_3598 Depth=2
	v_mov_b32_e32 v54, 0
	v_cmp_ne_u32_e32 vcc, 0, v18
	s_and_saveexec_b64 s[88:89], vcc
	s_cbranch_execz .LBB6_5104
; %bb.5097:                             ;   in Loop: Header=BB6_3598 Depth=2
	v_bfe_u32 v54, v18, 23, 8
	v_and_b32_e32 v2, 0x7fffff, v18
	v_cmp_gt_u32_e64 s[18:19], s51, v54
	v_sub_u32_e32 v18, 0x79, v54
	v_cmp_eq_u32_e32 vcc, 0, v54
	v_cndmask_b32_e64 v18, 0, v18, s[18:19]
	v_mov_b32_e32 v20, 0x78
	v_cndmask_b32_e32 v49, v18, v20, vcc
	v_or_b32_e32 v19, 0x800000, v2
	v_add_u32_e32 v18, 20, v49
	v_cndmask_b32_e32 v2, v19, v2, vcc
	v_lshlrev_b64 v[18:19], v18, -1
	v_add_u32_e32 v20, 19, v49
	v_lshlrev_b64 v[40:41], v20, 1
	v_bfi_b32 v19, v19, 0, 0
	v_bfi_b32 v18, v18, 0, v2
	v_cmp_eq_u64_e64 s[18:19], v[18:19], v[40:41]
	v_lshrrev_b64 v[18:19], v49, v[2:3]
	v_mov_b32_e32 v20, v19
	v_mov_b32_e32 v19, v18
	s_and_saveexec_b64 s[90:91], s[18:19]
; %bb.5098:                             ;   in Loop: Header=BB6_3598 Depth=2
	v_bfe_u32 v2, v18, 20, 1
	v_add_co_u32_e64 v2, s[18:19], v18, v2
	v_add_co_u32_e64 v19, s[18:19], -1, v2
; %bb.5099:                             ;   in Loop: Header=BB6_3598 Depth=2
	s_or_b64 exec, exec, s[90:91]
	v_add_u32_e32 v2, 0xffffff81, v54
	v_mov_b32_e32 v20, 0xffffff82
	v_cndmask_b32_e32 v2, v2, v20, vcc
	v_lshrrev_b32_e32 v20, 23, v18
	v_add3_u32 v54, v49, v2, v20
	v_add_u32_e32 v49, 6, v54
	v_and_b32_e32 v2, 0xfffff, v19
	v_add_u32_e32 v2, v2, v18
	v_cmp_ne_u32_e32 vcc, 0, v49
                                        ; implicit-def: $vgpr18_vgpr19
                                        ; implicit-def: $vgpr20
	s_and_saveexec_b64 s[18:19], vcc
	s_xor_b64 s[18:19], exec, s[18:19]
; %bb.5100:                             ;   in Loop: Header=BB6_3598 Depth=2
	v_cmp_lt_u64_e32 vcc, s[58:59], v[2:3]
	v_add_u32_e32 v18, 7, v54
	v_cndmask_b32_e32 v20, v49, v18, vcc
	v_cndmask_b32_e64 v18, 0, 1, vcc
	v_lshrrev_b64 v[18:19], v18, v[2:3]
; %bb.5101:                             ;   in Loop: Header=BB6_3598 Depth=2
	s_andn2_saveexec_b64 s[18:19], s[18:19]
; %bb.5102:                             ;   in Loop: Header=BB6_3598 Depth=2
	v_mov_b32_e32 v19, v3
	v_bfe_u32 v20, v2, 23, 1
	v_mov_b32_e32 v18, v2
; %bb.5103:                             ;   in Loop: Header=BB6_3598 Depth=2
	s_or_b64 exec, exec, s[18:19]
	v_lshrrev_b64 v[18:19], 20, v[18:19]
	v_cmp_gt_i32_e32 vcc, 16, v20
	v_cndmask_b32_e32 v19, 0, v19, vcc
	v_cndmask_b32_e32 v18, 7, v18, vcc
	v_min_i32_e32 v2, 15, v20
	v_cmp_eq_u64_e64 s[18:19], 0, v[18:19]
	v_lshlrev_b32_e32 v2, 3, v2
	v_cmp_eq_u32_e32 vcc, 0, v20
	v_and_b32_e32 v2, 0xf8, v2
	v_and_or_b32 v2, v18, 7, v2
	s_and_b64 s[18:19], vcc, s[18:19]
	v_cndmask_b32_e64 v2, v2, 0, s[18:19]
	v_or_b32_e32 v54, v2, v48
.LBB6_5104:                             ;   in Loop: Header=BB6_3598 Depth=2
	s_or_b64 exec, exec, s[88:89]
                                        ; implicit-def: $vgpr48
.LBB6_5105:                             ;   in Loop: Header=BB6_3598 Depth=2
	s_andn2_saveexec_b64 s[18:19], s[78:79]
; %bb.5106:                             ;   in Loop: Header=BB6_3598 Depth=2
	v_or_b32_e32 v54, 0x7e, v48
; %bb.5107:                             ;   in Loop: Header=BB6_3598 Depth=2
	s_or_b64 exec, exec, s[18:19]
                                        ; implicit-def: $vgpr18
.LBB6_5108:                             ;   in Loop: Header=BB6_3598 Depth=2
	s_andn2_saveexec_b64 s[18:19], s[76:77]
; %bb.5109:                             ;   in Loop: Header=BB6_3598 Depth=2
	v_or_b32_sdwa v54, v18, s50 dst_sel:DWORD dst_unused:UNUSED_PAD src0_sel:BYTE_3 src1_sel:DWORD
; %bb.5110:                             ;   in Loop: Header=BB6_3598 Depth=2
	s_or_b64 exec, exec, s[18:19]
	v_lshrrev_b32_e32 v2, 16, v15
	v_cmp_ne_u16_sdwa s[76:77], v2, v3 src0_sel:BYTE_0 src1_sel:DWORD
	v_mov_b32_e32 v18, 0
	v_mov_b32_e32 v19, 0
	s_and_saveexec_b64 s[18:19], s[76:77]
	s_cbranch_execz .LBB6_5116
; %bb.5111:                             ;   in Loop: Header=BB6_3598 Depth=2
	v_cmp_ne_u16_sdwa s[78:79], v2, s49 src0_sel:BYTE_0 src1_sel:DWORD
	v_bfrev_b32_e32 v19, 1
	s_and_saveexec_b64 s[76:77], s[78:79]
	s_cbranch_execz .LBB6_5115
; %bb.5112:                             ;   in Loop: Header=BB6_3598 Depth=2
	v_bfe_u32 v20, v15, 16, 7
	v_cmp_ne_u32_e32 vcc, s50, v20
	v_mov_b32_e32 v19, 0x7f800001
	s_and_saveexec_b64 s[78:79], vcc
	s_cbranch_execz .LBB6_5114
; %bb.5113:                             ;   in Loop: Header=BB6_3598 Depth=2
	v_and_b32_e32 v32, 7, v2
	v_ffbh_u32_e32 v19, v32
	v_min_u32_e32 v48, 32, v19
	v_subrev_u32_e32 v19, 28, v48
	v_lshrrev_b32_e32 v33, 3, v20
	v_cmp_gt_u32_e32 vcc, 8, v20
	v_lshlrev_b64 v[19:20], v19, v[2:3]
	v_sub_u32_e32 v20, 29, v48
	v_and_b32_e32 v19, 7, v19
	v_cndmask_b32_e32 v20, v33, v20, vcc
	v_cndmask_b32_e32 v19, v32, v19, vcc
	v_lshlrev_b32_e32 v2, 24, v2
	v_lshlrev_b32_e32 v19, 20, v19
	v_and_b32_e32 v2, 0x80000000, v2
	v_lshl_add_u32 v20, v20, 23, v57
	v_or3_b32 v19, v2, v20, v19
.LBB6_5114:                             ;   in Loop: Header=BB6_3598 Depth=2
	s_or_b64 exec, exec, s[78:79]
.LBB6_5115:                             ;   in Loop: Header=BB6_3598 Depth=2
	s_or_b64 exec, exec, s[76:77]
.LBB6_5116:                             ;   in Loop: Header=BB6_3598 Depth=2
	s_or_b64 exec, exec, s[18:19]
	v_lshrrev_b32_e32 v2, 16, v11
	v_cmp_ne_u16_sdwa s[76:77], v2, v3 src0_sel:BYTE_0 src1_sel:DWORD
	s_and_saveexec_b64 s[18:19], s[76:77]
	s_cbranch_execz .LBB6_5122
; %bb.5117:                             ;   in Loop: Header=BB6_3598 Depth=2
	v_cmp_ne_u16_sdwa s[78:79], v2, s49 src0_sel:BYTE_0 src1_sel:DWORD
	v_bfrev_b32_e32 v18, 1
	s_and_saveexec_b64 s[76:77], s[78:79]
	s_cbranch_execz .LBB6_5121
; %bb.5118:                             ;   in Loop: Header=BB6_3598 Depth=2
	v_bfe_u32 v20, v11, 16, 7
	v_cmp_ne_u32_e32 vcc, s50, v20
	v_mov_b32_e32 v18, 0x7f800001
	s_and_saveexec_b64 s[78:79], vcc
	s_cbranch_execz .LBB6_5120
; %bb.5119:                             ;   in Loop: Header=BB6_3598 Depth=2
	v_and_b32_e32 v18, 7, v2
	v_lshrrev_b32_e32 v32, 3, v20
	v_cmp_gt_u32_e32 vcc, 8, v20
	v_ffbh_u32_e32 v20, v18
	v_min_u32_e32 v20, 32, v20
	v_subrev_u32_e32 v33, 28, v20
	v_lshlrev_b64 v[48:49], v33, v[2:3]
	v_sub_u32_e32 v2, 29, v20
	v_and_b32_e32 v20, 7, v48
	v_cndmask_b32_e32 v2, v32, v2, vcc
	v_cndmask_b32_e32 v18, v18, v20, vcc
	v_lshlrev_b32_e32 v20, 8, v11
	v_lshlrev_b32_e32 v18, 20, v18
	v_and_b32_e32 v20, 0x80000000, v20
	v_lshl_add_u32 v2, v2, 23, v57
	v_or3_b32 v18, v20, v2, v18
.LBB6_5120:                             ;   in Loop: Header=BB6_3598 Depth=2
	s_or_b64 exec, exec, s[78:79]
.LBB6_5121:                             ;   in Loop: Header=BB6_3598 Depth=2
	s_or_b64 exec, exec, s[76:77]
.LBB6_5122:                             ;   in Loop: Header=BB6_3598 Depth=2
	s_or_b64 exec, exec, s[18:19]
	v_add_f32_e32 v19, v19, v18
	v_and_b32_e32 v2, 0x7f800000, v19
	v_cmp_ne_u64_e32 vcc, s[46:47], v[2:3]
                                        ; implicit-def: $vgpr18
	s_and_saveexec_b64 s[18:19], vcc
	s_xor_b64 s[76:77], exec, s[18:19]
	s_cbranch_execz .LBB6_5136
; %bb.5123:                             ;   in Loop: Header=BB6_3598 Depth=2
	v_and_b32_e32 v2, 0x7fffffff, v19
	v_cmp_gt_u64_e32 vcc, s[56:57], v[2:3]
	v_and_b32_sdwa v48, v19, s49 dst_sel:DWORD dst_unused:UNUSED_PAD src0_sel:BYTE_3 src1_sel:DWORD
                                        ; implicit-def: $vgpr18
	s_and_saveexec_b64 s[18:19], vcc
	s_xor_b64 s[78:79], exec, s[18:19]
	s_cbranch_execz .LBB6_5133
; %bb.5124:                             ;   in Loop: Header=BB6_3598 Depth=2
	v_mov_b32_e32 v18, 0
	v_cmp_ne_u32_e32 vcc, 0, v19
	s_and_saveexec_b64 s[88:89], vcc
	s_cbranch_execz .LBB6_5132
; %bb.5125:                             ;   in Loop: Header=BB6_3598 Depth=2
	v_bfe_u32 v40, v19, 23, 8
	v_cmp_gt_u32_e64 s[18:19], s51, v40
	v_sub_u32_e32 v18, 0x79, v40
	v_cmp_eq_u32_e32 vcc, 0, v40
	v_cndmask_b32_e64 v18, 0, v18, s[18:19]
	v_mov_b32_e32 v20, 0x78
	v_and_b32_e32 v2, 0x7fffff, v19
	v_cndmask_b32_e32 v49, v18, v20, vcc
	v_or_b32_e32 v19, 0x800000, v2
	v_add_u32_e32 v18, 20, v49
	v_cndmask_b32_e32 v2, v19, v2, vcc
	v_lshlrev_b64 v[18:19], v18, -1
	v_add_u32_e32 v20, 19, v49
	v_lshlrev_b64 v[58:59], v20, 1
	v_bfi_b32 v19, v19, 0, 0
	v_bfi_b32 v18, v18, 0, v2
	v_cmp_eq_u64_e64 s[18:19], v[18:19], v[58:59]
	v_lshrrev_b64 v[18:19], v49, v[2:3]
	v_mov_b32_e32 v20, v19
	v_mov_b32_e32 v19, v18
	s_and_saveexec_b64 s[90:91], s[18:19]
; %bb.5126:                             ;   in Loop: Header=BB6_3598 Depth=2
	v_bfe_u32 v2, v18, 20, 1
	v_add_co_u32_e64 v2, s[18:19], v18, v2
	v_add_co_u32_e64 v19, s[18:19], -1, v2
; %bb.5127:                             ;   in Loop: Header=BB6_3598 Depth=2
	s_or_b64 exec, exec, s[90:91]
	v_add_u32_e32 v2, 0xffffff81, v40
	v_mov_b32_e32 v20, 0xffffff82
	v_cndmask_b32_e32 v2, v2, v20, vcc
	v_lshrrev_b32_e32 v20, 23, v18
	v_add3_u32 v40, v49, v2, v20
	v_add_u32_e32 v49, 6, v40
	v_and_b32_e32 v2, 0xfffff, v19
	v_add_u32_e32 v2, v2, v18
	v_cmp_ne_u32_e32 vcc, 0, v49
                                        ; implicit-def: $vgpr18_vgpr19
                                        ; implicit-def: $vgpr20
	s_and_saveexec_b64 s[18:19], vcc
	s_xor_b64 s[18:19], exec, s[18:19]
; %bb.5128:                             ;   in Loop: Header=BB6_3598 Depth=2
	v_cmp_lt_u64_e32 vcc, s[58:59], v[2:3]
	v_add_u32_e32 v18, 7, v40
	v_cndmask_b32_e32 v20, v49, v18, vcc
	v_cndmask_b32_e64 v18, 0, 1, vcc
	v_lshrrev_b64 v[18:19], v18, v[2:3]
; %bb.5129:                             ;   in Loop: Header=BB6_3598 Depth=2
	s_andn2_saveexec_b64 s[18:19], s[18:19]
; %bb.5130:                             ;   in Loop: Header=BB6_3598 Depth=2
	v_mov_b32_e32 v19, v3
	v_bfe_u32 v20, v2, 23, 1
	v_mov_b32_e32 v18, v2
; %bb.5131:                             ;   in Loop: Header=BB6_3598 Depth=2
	s_or_b64 exec, exec, s[18:19]
	v_lshrrev_b64 v[18:19], 20, v[18:19]
	v_cmp_gt_i32_e32 vcc, 16, v20
	v_cndmask_b32_e32 v19, 0, v19, vcc
	v_cndmask_b32_e32 v18, 7, v18, vcc
	v_min_i32_e32 v2, 15, v20
	v_cmp_eq_u64_e64 s[18:19], 0, v[18:19]
	v_lshlrev_b32_e32 v2, 3, v2
	v_cmp_eq_u32_e32 vcc, 0, v20
	v_and_b32_e32 v2, 0xf8, v2
	v_and_or_b32 v2, v18, 7, v2
	s_and_b64 s[18:19], vcc, s[18:19]
	v_cndmask_b32_e64 v2, v2, 0, s[18:19]
	v_or_b32_e32 v18, v2, v48
.LBB6_5132:                             ;   in Loop: Header=BB6_3598 Depth=2
	s_or_b64 exec, exec, s[88:89]
                                        ; implicit-def: $vgpr48
.LBB6_5133:                             ;   in Loop: Header=BB6_3598 Depth=2
	s_andn2_saveexec_b64 s[18:19], s[78:79]
; %bb.5134:                             ;   in Loop: Header=BB6_3598 Depth=2
	v_or_b32_e32 v18, 0x7e, v48
; %bb.5135:                             ;   in Loop: Header=BB6_3598 Depth=2
	s_or_b64 exec, exec, s[18:19]
                                        ; implicit-def: $vgpr19
.LBB6_5136:                             ;   in Loop: Header=BB6_3598 Depth=2
	s_andn2_saveexec_b64 s[18:19], s[76:77]
; %bb.5137:                             ;   in Loop: Header=BB6_3598 Depth=2
	v_or_b32_sdwa v18, v19, s50 dst_sel:DWORD dst_unused:UNUSED_PAD src0_sel:BYTE_3 src1_sel:DWORD
; %bb.5138:                             ;   in Loop: Header=BB6_3598 Depth=2
	s_or_b64 exec, exec, s[18:19]
	v_cmp_lt_u64_e32 vcc, s[60:61], v[14:15]
	v_mov_b32_e32 v14, 0
	v_mov_b32_e32 v19, 0
	s_and_saveexec_b64 s[18:19], vcc
	s_cbranch_execz .LBB6_5144
; %bb.5139:                             ;   in Loop: Header=BB6_3598 Depth=2
	v_lshrrev_b32_e32 v2, 24, v15
	v_cmp_ne_u32_e32 vcc, s49, v2
	v_bfrev_b32_e32 v19, 1
	s_and_saveexec_b64 s[76:77], vcc
	s_cbranch_execz .LBB6_5143
; %bb.5140:                             ;   in Loop: Header=BB6_3598 Depth=2
	v_bfe_u32 v15, v15, 24, 7
	v_cmp_ne_u32_e32 vcc, s50, v15
	v_mov_b32_e32 v19, 0x7f800001
	s_and_saveexec_b64 s[78:79], vcc
	s_cbranch_execz .LBB6_5142
; %bb.5141:                             ;   in Loop: Header=BB6_3598 Depth=2
	v_and_b32_e32 v32, 7, v2
	v_lshrrev_b32_e32 v33, 3, v15
	v_cmp_gt_u32_e32 vcc, 8, v15
	v_ffbh_u32_e32 v15, v32
	v_min_u32_e32 v15, 32, v15
	v_subrev_u32_e32 v19, 28, v15
	v_lshlrev_b64 v[19:20], v19, v[2:3]
	v_sub_u32_e32 v15, 29, v15
	v_and_b32_e32 v19, 7, v19
	v_cndmask_b32_e32 v15, v33, v15, vcc
	v_cndmask_b32_e32 v19, v32, v19, vcc
	v_lshlrev_b32_e32 v2, 24, v2
	v_lshlrev_b32_e32 v19, 20, v19
	v_and_b32_e32 v2, 0x80000000, v2
	v_lshl_add_u32 v15, v15, 23, v57
	v_or3_b32 v19, v2, v15, v19
.LBB6_5142:                             ;   in Loop: Header=BB6_3598 Depth=2
	s_or_b64 exec, exec, s[78:79]
.LBB6_5143:                             ;   in Loop: Header=BB6_3598 Depth=2
	s_or_b64 exec, exec, s[76:77]
.LBB6_5144:                             ;   in Loop: Header=BB6_3598 Depth=2
	s_or_b64 exec, exec, s[18:19]
	v_cmp_lt_u64_e32 vcc, s[60:61], v[10:11]
	s_and_saveexec_b64 s[18:19], vcc
	s_cbranch_execz .LBB6_5150
; %bb.5145:                             ;   in Loop: Header=BB6_3598 Depth=2
	v_lshrrev_b32_e32 v2, 24, v11
	v_cmp_ne_u32_e32 vcc, s49, v2
	v_bfrev_b32_e32 v14, 1
	s_and_saveexec_b64 s[76:77], vcc
	s_cbranch_execz .LBB6_5149
; %bb.5146:                             ;   in Loop: Header=BB6_3598 Depth=2
	v_bfe_u32 v10, v11, 24, 7
	v_cmp_ne_u32_e32 vcc, s50, v10
	v_mov_b32_e32 v14, 0x7f800001
	s_and_saveexec_b64 s[78:79], vcc
	s_cbranch_execz .LBB6_5148
; %bb.5147:                             ;   in Loop: Header=BB6_3598 Depth=2
	v_and_b32_e32 v14, 7, v2
	v_lshrrev_b32_e32 v15, 3, v10
	v_cmp_gt_u32_e32 vcc, 8, v10
	v_ffbh_u32_e32 v10, v14
	v_min_u32_e32 v20, 32, v10
	v_subrev_u32_e32 v10, 28, v20
	v_lshlrev_b64 v[10:11], v10, v[2:3]
	v_sub_u32_e32 v11, 29, v20
	v_and_b32_e32 v10, 7, v10
	v_cndmask_b32_e32 v11, v15, v11, vcc
	v_cndmask_b32_e32 v10, v14, v10, vcc
	v_lshlrev_b32_e32 v2, 24, v2
	v_lshlrev_b32_e32 v10, 20, v10
	v_and_b32_e32 v2, 0x80000000, v2
	v_lshl_add_u32 v11, v11, 23, v57
	v_or3_b32 v14, v2, v11, v10
.LBB6_5148:                             ;   in Loop: Header=BB6_3598 Depth=2
	s_or_b64 exec, exec, s[78:79]
.LBB6_5149:                             ;   in Loop: Header=BB6_3598 Depth=2
	s_or_b64 exec, exec, s[76:77]
.LBB6_5150:                             ;   in Loop: Header=BB6_3598 Depth=2
	s_or_b64 exec, exec, s[18:19]
	v_add_f32_e32 v10, v19, v14
	v_and_b32_e32 v2, 0x7f800000, v10
	v_cmp_ne_u64_e32 vcc, s[46:47], v[2:3]
                                        ; implicit-def: $vgpr19
	s_and_saveexec_b64 s[18:19], vcc
	s_xor_b64 s[76:77], exec, s[18:19]
	s_cbranch_execz .LBB6_5164
; %bb.5151:                             ;   in Loop: Header=BB6_3598 Depth=2
	v_and_b32_e32 v2, 0x7fffffff, v10
	v_cmp_gt_u64_e32 vcc, s[56:57], v[2:3]
	v_and_b32_sdwa v20, v10, s49 dst_sel:DWORD dst_unused:UNUSED_PAD src0_sel:BYTE_3 src1_sel:DWORD
                                        ; implicit-def: $vgpr19
	s_and_saveexec_b64 s[18:19], vcc
	s_xor_b64 s[78:79], exec, s[18:19]
	s_cbranch_execz .LBB6_5161
; %bb.5152:                             ;   in Loop: Header=BB6_3598 Depth=2
	v_mov_b32_e32 v19, 0
	v_cmp_ne_u32_e32 vcc, 0, v10
	s_and_saveexec_b64 s[88:89], vcc
	s_cbranch_execz .LBB6_5160
; %bb.5153:                             ;   in Loop: Header=BB6_3598 Depth=2
	v_bfe_u32 v19, v10, 23, 8
	v_and_b32_e32 v2, 0x7fffff, v10
	v_cmp_gt_u32_e64 s[18:19], s51, v19
	v_sub_u32_e32 v10, 0x79, v19
	v_cmp_eq_u32_e32 vcc, 0, v19
	v_cndmask_b32_e64 v10, 0, v10, s[18:19]
	v_mov_b32_e32 v14, 0x78
	v_cndmask_b32_e32 v48, v10, v14, vcc
	v_or_b32_e32 v11, 0x800000, v2
	v_add_u32_e32 v10, 20, v48
	v_cndmask_b32_e32 v2, v11, v2, vcc
	v_lshlrev_b64 v[10:11], v10, -1
	v_add_u32_e32 v14, 19, v48
	v_lshlrev_b64 v[14:15], v14, 1
	v_bfi_b32 v11, v11, 0, 0
	v_bfi_b32 v10, v10, 0, v2
	v_cmp_eq_u64_e64 s[18:19], v[10:11], v[14:15]
	v_lshrrev_b64 v[10:11], v48, v[2:3]
	v_mov_b32_e32 v15, v11
	v_mov_b32_e32 v14, v10
	s_and_saveexec_b64 s[90:91], s[18:19]
; %bb.5154:                             ;   in Loop: Header=BB6_3598 Depth=2
	v_bfe_u32 v2, v10, 20, 1
	v_add_co_u32_e64 v2, s[18:19], v10, v2
	v_add_co_u32_e64 v14, s[18:19], -1, v2
; %bb.5155:                             ;   in Loop: Header=BB6_3598 Depth=2
	s_or_b64 exec, exec, s[90:91]
	v_add_u32_e32 v2, 0xffffff81, v19
	v_mov_b32_e32 v11, 0xffffff82
	v_cndmask_b32_e32 v2, v2, v11, vcc
	v_lshrrev_b32_e32 v11, 23, v10
	v_add3_u32 v19, v48, v2, v11
	v_add_u32_e32 v15, 6, v19
	v_and_b32_e32 v2, 0xfffff, v14
	v_add_u32_e32 v2, v2, v10
	v_cmp_ne_u32_e32 vcc, 0, v15
                                        ; implicit-def: $vgpr10_vgpr11
                                        ; implicit-def: $vgpr14
	s_and_saveexec_b64 s[18:19], vcc
	s_xor_b64 s[18:19], exec, s[18:19]
; %bb.5156:                             ;   in Loop: Header=BB6_3598 Depth=2
	v_cmp_lt_u64_e32 vcc, s[58:59], v[2:3]
	v_add_u32_e32 v10, 7, v19
	v_cndmask_b32_e32 v14, v15, v10, vcc
	v_cndmask_b32_e64 v10, 0, 1, vcc
	v_lshrrev_b64 v[10:11], v10, v[2:3]
; %bb.5157:                             ;   in Loop: Header=BB6_3598 Depth=2
	s_andn2_saveexec_b64 s[18:19], s[18:19]
; %bb.5158:                             ;   in Loop: Header=BB6_3598 Depth=2
	v_mov_b32_e32 v11, v3
	v_bfe_u32 v14, v2, 23, 1
	v_mov_b32_e32 v10, v2
; %bb.5159:                             ;   in Loop: Header=BB6_3598 Depth=2
	s_or_b64 exec, exec, s[18:19]
	v_lshrrev_b64 v[10:11], 20, v[10:11]
	v_cmp_gt_i32_e32 vcc, 16, v14
	v_cndmask_b32_e32 v11, 0, v11, vcc
	v_cndmask_b32_e32 v10, 7, v10, vcc
	v_min_i32_e32 v2, 15, v14
	v_cmp_eq_u64_e64 s[18:19], 0, v[10:11]
	v_lshlrev_b32_e32 v2, 3, v2
	v_cmp_eq_u32_e32 vcc, 0, v14
	v_and_b32_e32 v2, 0xf8, v2
	v_and_or_b32 v2, v10, 7, v2
	s_and_b64 s[18:19], vcc, s[18:19]
	v_cndmask_b32_e64 v2, v2, 0, s[18:19]
	v_or_b32_e32 v19, v2, v20
.LBB6_5160:                             ;   in Loop: Header=BB6_3598 Depth=2
	s_or_b64 exec, exec, s[88:89]
                                        ; implicit-def: $vgpr20
.LBB6_5161:                             ;   in Loop: Header=BB6_3598 Depth=2
	s_andn2_saveexec_b64 s[18:19], s[78:79]
; %bb.5162:                             ;   in Loop: Header=BB6_3598 Depth=2
	v_or_b32_e32 v19, 0x7e, v20
; %bb.5163:                             ;   in Loop: Header=BB6_3598 Depth=2
	s_or_b64 exec, exec, s[18:19]
                                        ; implicit-def: $vgpr10
.LBB6_5164:                             ;   in Loop: Header=BB6_3598 Depth=2
	s_andn2_saveexec_b64 s[18:19], s[76:77]
; %bb.5165:                             ;   in Loop: Header=BB6_3598 Depth=2
	v_or_b32_sdwa v19, v10, s50 dst_sel:DWORD dst_unused:UNUSED_PAD src0_sel:BYTE_3 src1_sel:DWORD
; %bb.5166:                             ;   in Loop: Header=BB6_3598 Depth=2
	s_or_b64 exec, exec, s[18:19]
	v_cmp_ne_u16_sdwa s[76:77], v16, v3 src0_sel:BYTE_0 src1_sel:DWORD
	v_mov_b32_e32 v2, 0
	v_mov_b32_e32 v10, 0
	s_and_saveexec_b64 s[18:19], s[76:77]
	s_cbranch_execz .LBB6_5172
; %bb.5167:                             ;   in Loop: Header=BB6_3598 Depth=2
	v_cmp_ne_u16_sdwa s[78:79], v16, s49 src0_sel:BYTE_0 src1_sel:DWORD
	v_bfrev_b32_e32 v10, 1
	s_and_saveexec_b64 s[76:77], s[78:79]
	s_cbranch_execz .LBB6_5171
; %bb.5168:                             ;   in Loop: Header=BB6_3598 Depth=2
	v_and_b32_e32 v11, 0x7f, v16
	v_cmp_ne_u32_e32 vcc, s50, v11
	v_mov_b32_e32 v10, 0x7f800001
	s_and_saveexec_b64 s[78:79], vcc
	s_cbranch_execz .LBB6_5170
; %bb.5169:                             ;   in Loop: Header=BB6_3598 Depth=2
	v_and_b32_e32 v10, 7, v16
	v_ffbh_u32_e32 v10, v10
	v_min_u32_e32 v10, 32, v10
	v_lshrrev_b32_e32 v14, 3, v11
	v_cmp_gt_u32_e32 vcc, 8, v11
	v_subrev_u32_e32 v11, 28, v10
	v_sub_u32_e32 v10, 29, v10
	v_cndmask_b32_e32 v14, v14, v10, vcc
	v_cndmask_b32_e32 v10, 0, v11, vcc
	v_lshlrev_b64 v[10:11], v10, v[16:17]
	v_lshlrev_b32_e32 v11, 24, v16
	v_lshlrev_b32_e32 v10, 20, v10
	v_and_b32_e32 v10, 0x700000, v10
	v_and_b32_e32 v11, 0x80000000, v11
	v_lshl_add_u32 v14, v14, 23, v57
	v_or3_b32 v10, v11, v14, v10
.LBB6_5170:                             ;   in Loop: Header=BB6_3598 Depth=2
	s_or_b64 exec, exec, s[78:79]
.LBB6_5171:                             ;   in Loop: Header=BB6_3598 Depth=2
	s_or_b64 exec, exec, s[76:77]
.LBB6_5172:                             ;   in Loop: Header=BB6_3598 Depth=2
	s_or_b64 exec, exec, s[18:19]
	v_cmp_ne_u16_sdwa s[76:77], v12, v3 src0_sel:BYTE_0 src1_sel:DWORD
	s_and_saveexec_b64 s[18:19], s[76:77]
	s_cbranch_execz .LBB6_5178
; %bb.5173:                             ;   in Loop: Header=BB6_3598 Depth=2
	v_cmp_ne_u16_sdwa s[78:79], v12, s49 src0_sel:BYTE_0 src1_sel:DWORD
	v_bfrev_b32_e32 v2, 1
	s_and_saveexec_b64 s[76:77], s[78:79]
	s_cbranch_execz .LBB6_5177
; %bb.5174:                             ;   in Loop: Header=BB6_3598 Depth=2
	v_and_b32_e32 v11, 0x7f, v12
	v_cmp_ne_u32_e32 vcc, s50, v11
	v_mov_b32_e32 v2, 0x7f800001
	s_and_saveexec_b64 s[78:79], vcc
	s_cbranch_execz .LBB6_5176
; %bb.5175:                             ;   in Loop: Header=BB6_3598 Depth=2
	v_and_b32_e32 v2, 7, v12
	v_ffbh_u32_e32 v2, v2
	v_min_u32_e32 v2, 32, v2
	v_lshrrev_b32_e32 v14, 3, v11
	v_cmp_gt_u32_e32 vcc, 8, v11
	v_subrev_u32_e32 v11, 28, v2
	v_sub_u32_e32 v2, 29, v2
	v_cndmask_b32_e32 v11, 0, v11, vcc
	v_cndmask_b32_e32 v2, v14, v2, vcc
	v_lshlrev_b64 v[14:15], v11, v[12:13]
	v_lshl_add_u32 v2, v2, 23, v57
	v_lshlrev_b32_e32 v11, 20, v14
	v_lshlrev_b32_e32 v14, 24, v12
	v_and_b32_e32 v11, 0x700000, v11
	v_and_b32_e32 v14, 0x80000000, v14
	v_or3_b32 v2, v14, v2, v11
.LBB6_5176:                             ;   in Loop: Header=BB6_3598 Depth=2
	s_or_b64 exec, exec, s[78:79]
.LBB6_5177:                             ;   in Loop: Header=BB6_3598 Depth=2
	s_or_b64 exec, exec, s[76:77]
.LBB6_5178:                             ;   in Loop: Header=BB6_3598 Depth=2
	s_or_b64 exec, exec, s[18:19]
	v_add_f32_e32 v10, v10, v2
	v_and_b32_e32 v2, 0x7f800000, v10
	v_cmp_ne_u64_e32 vcc, s[46:47], v[2:3]
                                        ; implicit-def: $vgpr20
	s_and_saveexec_b64 s[18:19], vcc
	s_xor_b64 s[76:77], exec, s[18:19]
	s_cbranch_execz .LBB6_5192
; %bb.5179:                             ;   in Loop: Header=BB6_3598 Depth=2
	v_and_b32_e32 v2, 0x7fffffff, v10
	v_cmp_gt_u64_e32 vcc, s[56:57], v[2:3]
	v_and_b32_sdwa v48, v10, s49 dst_sel:DWORD dst_unused:UNUSED_PAD src0_sel:BYTE_3 src1_sel:DWORD
                                        ; implicit-def: $vgpr20
	s_and_saveexec_b64 s[18:19], vcc
	s_xor_b64 s[78:79], exec, s[18:19]
	s_cbranch_execz .LBB6_5189
; %bb.5180:                             ;   in Loop: Header=BB6_3598 Depth=2
	v_mov_b32_e32 v20, 0
	v_cmp_ne_u32_e32 vcc, 0, v10
	s_and_saveexec_b64 s[88:89], vcc
	s_cbranch_execz .LBB6_5188
; %bb.5181:                             ;   in Loop: Header=BB6_3598 Depth=2
	v_bfe_u32 v20, v10, 23, 8
	v_and_b32_e32 v2, 0x7fffff, v10
	v_cmp_gt_u32_e64 s[18:19], s51, v20
	v_sub_u32_e32 v10, 0x79, v20
	v_cmp_eq_u32_e32 vcc, 0, v20
	v_cndmask_b32_e64 v10, 0, v10, s[18:19]
	v_mov_b32_e32 v14, 0x78
	v_cndmask_b32_e32 v49, v10, v14, vcc
	v_or_b32_e32 v11, 0x800000, v2
	v_add_u32_e32 v10, 20, v49
	v_cndmask_b32_e32 v2, v11, v2, vcc
	v_lshlrev_b64 v[10:11], v10, -1
	v_add_u32_e32 v14, 19, v49
	v_lshlrev_b64 v[14:15], v14, 1
	v_bfi_b32 v11, v11, 0, 0
	v_bfi_b32 v10, v10, 0, v2
	v_cmp_eq_u64_e64 s[18:19], v[10:11], v[14:15]
	v_lshrrev_b64 v[10:11], v49, v[2:3]
	v_mov_b32_e32 v15, v11
	v_mov_b32_e32 v14, v10
	s_and_saveexec_b64 s[90:91], s[18:19]
; %bb.5182:                             ;   in Loop: Header=BB6_3598 Depth=2
	v_bfe_u32 v2, v10, 20, 1
	v_add_co_u32_e64 v2, s[18:19], v10, v2
	v_add_co_u32_e64 v14, s[18:19], -1, v2
; %bb.5183:                             ;   in Loop: Header=BB6_3598 Depth=2
	s_or_b64 exec, exec, s[90:91]
	v_add_u32_e32 v2, 0xffffff81, v20
	v_mov_b32_e32 v11, 0xffffff82
	v_cndmask_b32_e32 v2, v2, v11, vcc
	v_lshrrev_b32_e32 v11, 23, v10
	v_add3_u32 v20, v49, v2, v11
	v_add_u32_e32 v15, 6, v20
	v_and_b32_e32 v2, 0xfffff, v14
	v_add_u32_e32 v2, v2, v10
	v_cmp_ne_u32_e32 vcc, 0, v15
                                        ; implicit-def: $vgpr10_vgpr11
                                        ; implicit-def: $vgpr14
	s_and_saveexec_b64 s[18:19], vcc
	s_xor_b64 s[18:19], exec, s[18:19]
; %bb.5184:                             ;   in Loop: Header=BB6_3598 Depth=2
	v_cmp_lt_u64_e32 vcc, s[58:59], v[2:3]
	v_add_u32_e32 v10, 7, v20
	v_cndmask_b32_e32 v14, v15, v10, vcc
	v_cndmask_b32_e64 v10, 0, 1, vcc
	v_lshrrev_b64 v[10:11], v10, v[2:3]
; %bb.5185:                             ;   in Loop: Header=BB6_3598 Depth=2
	s_andn2_saveexec_b64 s[18:19], s[18:19]
; %bb.5186:                             ;   in Loop: Header=BB6_3598 Depth=2
	v_mov_b32_e32 v11, v3
	v_bfe_u32 v14, v2, 23, 1
	v_mov_b32_e32 v10, v2
; %bb.5187:                             ;   in Loop: Header=BB6_3598 Depth=2
	s_or_b64 exec, exec, s[18:19]
	v_lshrrev_b64 v[10:11], 20, v[10:11]
	v_cmp_gt_i32_e32 vcc, 16, v14
	v_cndmask_b32_e32 v11, 0, v11, vcc
	v_cndmask_b32_e32 v10, 7, v10, vcc
	v_min_i32_e32 v2, 15, v14
	v_cmp_eq_u64_e64 s[18:19], 0, v[10:11]
	v_lshlrev_b32_e32 v2, 3, v2
	v_cmp_eq_u32_e32 vcc, 0, v14
	v_and_b32_e32 v2, 0xf8, v2
	v_and_or_b32 v2, v10, 7, v2
	s_and_b64 s[18:19], vcc, s[18:19]
	v_cndmask_b32_e64 v2, v2, 0, s[18:19]
	v_or_b32_e32 v20, v2, v48
.LBB6_5188:                             ;   in Loop: Header=BB6_3598 Depth=2
	s_or_b64 exec, exec, s[88:89]
                                        ; implicit-def: $vgpr48
.LBB6_5189:                             ;   in Loop: Header=BB6_3598 Depth=2
	s_andn2_saveexec_b64 s[18:19], s[78:79]
; %bb.5190:                             ;   in Loop: Header=BB6_3598 Depth=2
	v_or_b32_e32 v20, 0x7e, v48
; %bb.5191:                             ;   in Loop: Header=BB6_3598 Depth=2
	s_or_b64 exec, exec, s[18:19]
                                        ; implicit-def: $vgpr10
.LBB6_5192:                             ;   in Loop: Header=BB6_3598 Depth=2
	s_andn2_saveexec_b64 s[18:19], s[76:77]
; %bb.5193:                             ;   in Loop: Header=BB6_3598 Depth=2
	v_or_b32_sdwa v20, v10, s50 dst_sel:DWORD dst_unused:UNUSED_PAD src0_sel:BYTE_3 src1_sel:DWORD
; %bb.5194:                             ;   in Loop: Header=BB6_3598 Depth=2
	s_or_b64 exec, exec, s[18:19]
	v_lshrrev_b16_e32 v2, 8, v16
	v_cmp_ne_u16_e32 vcc, 0, v2
	v_mov_b32_e32 v10, 0
	v_mov_b32_e32 v11, 0
	s_and_saveexec_b64 s[18:19], vcc
	s_cbranch_execz .LBB6_5200
; %bb.5195:                             ;   in Loop: Header=BB6_3598 Depth=2
	v_cmp_ne_u16_e32 vcc, s49, v2
	v_bfrev_b32_e32 v11, 1
	s_and_saveexec_b64 s[76:77], vcc
	s_cbranch_execz .LBB6_5199
; %bb.5196:                             ;   in Loop: Header=BB6_3598 Depth=2
	v_and_b32_e32 v14, 0x7f, v2
	v_cmp_ne_u32_e32 vcc, s50, v14
	v_mov_b32_e32 v11, 0x7f800001
	s_and_saveexec_b64 s[78:79], vcc
	s_cbranch_execz .LBB6_5198
; %bb.5197:                             ;   in Loop: Header=BB6_3598 Depth=2
	v_and_b32_e32 v11, 7, v2
	v_lshrrev_b32_e32 v32, 3, v14
	v_cmp_gt_u32_e32 vcc, 8, v14
	v_ffbh_u32_e32 v14, v11
	v_min_u32_e32 v33, 32, v14
	v_subrev_u32_e32 v14, 28, v33
	v_lshlrev_b64 v[14:15], v14, v[2:3]
	v_sub_u32_e32 v2, 29, v33
	v_and_b32_e32 v14, 7, v14
	v_cndmask_b32_e32 v2, v32, v2, vcc
	v_cndmask_b32_e32 v11, v11, v14, vcc
	v_lshlrev_b32_e32 v14, 16, v16
	v_lshlrev_b32_e32 v11, 20, v11
	v_and_b32_e32 v14, 0x80000000, v14
	v_lshl_add_u32 v2, v2, 23, v57
	v_or3_b32 v11, v14, v2, v11
.LBB6_5198:                             ;   in Loop: Header=BB6_3598 Depth=2
	s_or_b64 exec, exec, s[78:79]
.LBB6_5199:                             ;   in Loop: Header=BB6_3598 Depth=2
	s_or_b64 exec, exec, s[76:77]
.LBB6_5200:                             ;   in Loop: Header=BB6_3598 Depth=2
	s_or_b64 exec, exec, s[18:19]
	v_lshrrev_b16_e32 v2, 8, v12
	v_cmp_ne_u16_e32 vcc, 0, v2
	s_and_saveexec_b64 s[18:19], vcc
	s_cbranch_execz .LBB6_5206
; %bb.5201:                             ;   in Loop: Header=BB6_3598 Depth=2
	v_cmp_ne_u16_e32 vcc, s49, v2
	v_bfrev_b32_e32 v10, 1
	s_and_saveexec_b64 s[76:77], vcc
	s_cbranch_execz .LBB6_5205
; %bb.5202:                             ;   in Loop: Header=BB6_3598 Depth=2
	v_and_b32_e32 v14, 0x7f, v2
	v_cmp_ne_u32_e32 vcc, s50, v14
	v_mov_b32_e32 v10, 0x7f800001
	s_and_saveexec_b64 s[78:79], vcc
	s_cbranch_execz .LBB6_5204
; %bb.5203:                             ;   in Loop: Header=BB6_3598 Depth=2
	v_and_b32_e32 v10, 7, v2
	v_lshrrev_b32_e32 v32, 3, v14
	v_cmp_gt_u32_e32 vcc, 8, v14
	v_ffbh_u32_e32 v14, v10
	v_min_u32_e32 v33, 32, v14
	v_subrev_u32_e32 v14, 28, v33
	v_lshlrev_b64 v[14:15], v14, v[2:3]
	v_sub_u32_e32 v2, 29, v33
	v_and_b32_e32 v14, 7, v14
	v_cndmask_b32_e32 v2, v32, v2, vcc
	v_cndmask_b32_e32 v10, v10, v14, vcc
	v_lshlrev_b32_e32 v14, 16, v12
	v_lshlrev_b32_e32 v10, 20, v10
	v_and_b32_e32 v14, 0x80000000, v14
	v_lshl_add_u32 v2, v2, 23, v57
	v_or3_b32 v10, v14, v2, v10
.LBB6_5204:                             ;   in Loop: Header=BB6_3598 Depth=2
	s_or_b64 exec, exec, s[78:79]
.LBB6_5205:                             ;   in Loop: Header=BB6_3598 Depth=2
	s_or_b64 exec, exec, s[76:77]
.LBB6_5206:                             ;   in Loop: Header=BB6_3598 Depth=2
	s_or_b64 exec, exec, s[18:19]
	v_add_f32_e32 v10, v11, v10
	v_and_b32_e32 v2, 0x7f800000, v10
	v_cmp_ne_u64_e32 vcc, s[46:47], v[2:3]
                                        ; implicit-def: $vgpr56
	s_and_saveexec_b64 s[18:19], vcc
	s_xor_b64 s[76:77], exec, s[18:19]
	s_cbranch_execz .LBB6_5220
; %bb.5207:                             ;   in Loop: Header=BB6_3598 Depth=2
	v_and_b32_e32 v2, 0x7fffffff, v10
	v_cmp_gt_u64_e32 vcc, s[56:57], v[2:3]
	v_and_b32_sdwa v48, v10, s49 dst_sel:DWORD dst_unused:UNUSED_PAD src0_sel:BYTE_3 src1_sel:DWORD
                                        ; implicit-def: $vgpr56
	s_and_saveexec_b64 s[18:19], vcc
	s_xor_b64 s[78:79], exec, s[18:19]
	s_cbranch_execz .LBB6_5217
; %bb.5208:                             ;   in Loop: Header=BB6_3598 Depth=2
	v_mov_b32_e32 v56, 0
	v_cmp_ne_u32_e32 vcc, 0, v10
	s_and_saveexec_b64 s[88:89], vcc
	s_cbranch_execz .LBB6_5216
; %bb.5209:                             ;   in Loop: Header=BB6_3598 Depth=2
	v_bfe_u32 v40, v10, 23, 8
	v_and_b32_e32 v2, 0x7fffff, v10
	v_cmp_gt_u32_e64 s[18:19], s51, v40
	v_sub_u32_e32 v10, 0x79, v40
	v_cmp_eq_u32_e32 vcc, 0, v40
	v_cndmask_b32_e64 v10, 0, v10, s[18:19]
	v_mov_b32_e32 v14, 0x78
	v_cndmask_b32_e32 v49, v10, v14, vcc
	v_or_b32_e32 v11, 0x800000, v2
	v_add_u32_e32 v10, 20, v49
	v_cndmask_b32_e32 v2, v11, v2, vcc
	v_lshlrev_b64 v[10:11], v10, -1
	v_add_u32_e32 v14, 19, v49
	v_lshlrev_b64 v[14:15], v14, 1
	v_bfi_b32 v11, v11, 0, 0
	v_bfi_b32 v10, v10, 0, v2
	v_cmp_eq_u64_e64 s[18:19], v[10:11], v[14:15]
	v_lshrrev_b64 v[10:11], v49, v[2:3]
	v_mov_b32_e32 v15, v11
	v_mov_b32_e32 v14, v10
	s_and_saveexec_b64 s[90:91], s[18:19]
; %bb.5210:                             ;   in Loop: Header=BB6_3598 Depth=2
	v_bfe_u32 v2, v10, 20, 1
	v_add_co_u32_e64 v2, s[18:19], v10, v2
	v_add_co_u32_e64 v14, s[18:19], -1, v2
; %bb.5211:                             ;   in Loop: Header=BB6_3598 Depth=2
	s_or_b64 exec, exec, s[90:91]
	v_add_u32_e32 v2, 0xffffff81, v40
	v_mov_b32_e32 v11, 0xffffff82
	v_cndmask_b32_e32 v2, v2, v11, vcc
	v_lshrrev_b32_e32 v11, 23, v10
	v_add3_u32 v49, v49, v2, v11
	v_add_u32_e32 v15, 6, v49
	v_and_b32_e32 v2, 0xfffff, v14
	v_add_u32_e32 v2, v2, v10
	v_cmp_ne_u32_e32 vcc, 0, v15
                                        ; implicit-def: $vgpr10_vgpr11
                                        ; implicit-def: $vgpr14
	s_and_saveexec_b64 s[18:19], vcc
	s_xor_b64 s[18:19], exec, s[18:19]
; %bb.5212:                             ;   in Loop: Header=BB6_3598 Depth=2
	v_cmp_lt_u64_e32 vcc, s[58:59], v[2:3]
	v_add_u32_e32 v10, 7, v49
	v_cndmask_b32_e32 v14, v15, v10, vcc
	v_cndmask_b32_e64 v10, 0, 1, vcc
	v_lshrrev_b64 v[10:11], v10, v[2:3]
; %bb.5213:                             ;   in Loop: Header=BB6_3598 Depth=2
	s_andn2_saveexec_b64 s[18:19], s[18:19]
; %bb.5214:                             ;   in Loop: Header=BB6_3598 Depth=2
	v_mov_b32_e32 v11, v3
	v_bfe_u32 v14, v2, 23, 1
	v_mov_b32_e32 v10, v2
; %bb.5215:                             ;   in Loop: Header=BB6_3598 Depth=2
	s_or_b64 exec, exec, s[18:19]
	v_lshrrev_b64 v[10:11], 20, v[10:11]
	v_cmp_gt_i32_e32 vcc, 16, v14
	v_cndmask_b32_e32 v11, 0, v11, vcc
	v_cndmask_b32_e32 v10, 7, v10, vcc
	v_min_i32_e32 v2, 15, v14
	v_cmp_eq_u64_e64 s[18:19], 0, v[10:11]
	v_lshlrev_b32_e32 v2, 3, v2
	v_cmp_eq_u32_e32 vcc, 0, v14
	v_and_b32_e32 v2, 0xf8, v2
	v_and_or_b32 v2, v10, 7, v2
	s_and_b64 s[18:19], vcc, s[18:19]
	v_cndmask_b32_e64 v2, v2, 0, s[18:19]
	v_or_b32_e32 v56, v2, v48
.LBB6_5216:                             ;   in Loop: Header=BB6_3598 Depth=2
	s_or_b64 exec, exec, s[88:89]
                                        ; implicit-def: $vgpr48
.LBB6_5217:                             ;   in Loop: Header=BB6_3598 Depth=2
	s_andn2_saveexec_b64 s[18:19], s[78:79]
; %bb.5218:                             ;   in Loop: Header=BB6_3598 Depth=2
	v_or_b32_e32 v56, 0x7e, v48
; %bb.5219:                             ;   in Loop: Header=BB6_3598 Depth=2
	s_or_b64 exec, exec, s[18:19]
                                        ; implicit-def: $vgpr10
.LBB6_5220:                             ;   in Loop: Header=BB6_3598 Depth=2
	s_andn2_saveexec_b64 s[18:19], s[76:77]
; %bb.5221:                             ;   in Loop: Header=BB6_3598 Depth=2
	v_or_b32_sdwa v56, v10, s50 dst_sel:DWORD dst_unused:UNUSED_PAD src0_sel:BYTE_3 src1_sel:DWORD
; %bb.5222:                             ;   in Loop: Header=BB6_3598 Depth=2
	s_or_b64 exec, exec, s[18:19]
	v_lshrrev_b32_e32 v2, 16, v16
	v_cmp_ne_u16_sdwa s[76:77], v2, v3 src0_sel:BYTE_0 src1_sel:DWORD
	v_mov_b32_e32 v10, 0
	v_mov_b32_e32 v11, 0
	s_and_saveexec_b64 s[18:19], s[76:77]
	s_cbranch_execz .LBB6_5228
; %bb.5223:                             ;   in Loop: Header=BB6_3598 Depth=2
	v_cmp_ne_u16_sdwa s[78:79], v2, s49 src0_sel:BYTE_0 src1_sel:DWORD
	v_bfrev_b32_e32 v11, 1
	s_and_saveexec_b64 s[76:77], s[78:79]
	s_cbranch_execz .LBB6_5227
; %bb.5224:                             ;   in Loop: Header=BB6_3598 Depth=2
	v_bfe_u32 v14, v16, 16, 7
	v_cmp_ne_u32_e32 vcc, s50, v14
	v_mov_b32_e32 v11, 0x7f800001
	s_and_saveexec_b64 s[78:79], vcc
	s_cbranch_execz .LBB6_5226
; %bb.5225:                             ;   in Loop: Header=BB6_3598 Depth=2
	v_and_b32_e32 v11, 7, v2
	v_lshrrev_b32_e32 v32, 3, v14
	v_cmp_gt_u32_e32 vcc, 8, v14
	v_ffbh_u32_e32 v14, v11
	v_min_u32_e32 v33, 32, v14
	v_subrev_u32_e32 v14, 28, v33
	v_lshlrev_b64 v[14:15], v14, v[2:3]
	v_sub_u32_e32 v15, 29, v33
	v_and_b32_e32 v14, 7, v14
	v_cndmask_b32_e32 v15, v32, v15, vcc
	v_cndmask_b32_e32 v11, v11, v14, vcc
	v_lshlrev_b32_e32 v2, 24, v2
	v_lshlrev_b32_e32 v11, 20, v11
	v_and_b32_e32 v2, 0x80000000, v2
	v_lshl_add_u32 v14, v15, 23, v57
	v_or3_b32 v11, v2, v14, v11
.LBB6_5226:                             ;   in Loop: Header=BB6_3598 Depth=2
	s_or_b64 exec, exec, s[78:79]
.LBB6_5227:                             ;   in Loop: Header=BB6_3598 Depth=2
	s_or_b64 exec, exec, s[76:77]
.LBB6_5228:                             ;   in Loop: Header=BB6_3598 Depth=2
	s_or_b64 exec, exec, s[18:19]
	v_lshrrev_b32_e32 v2, 16, v12
	v_cmp_ne_u16_sdwa s[76:77], v2, v3 src0_sel:BYTE_0 src1_sel:DWORD
	s_and_saveexec_b64 s[18:19], s[76:77]
	s_cbranch_execz .LBB6_5234
; %bb.5229:                             ;   in Loop: Header=BB6_3598 Depth=2
	v_cmp_ne_u16_sdwa s[78:79], v2, s49 src0_sel:BYTE_0 src1_sel:DWORD
	v_bfrev_b32_e32 v10, 1
	s_and_saveexec_b64 s[76:77], s[78:79]
	s_cbranch_execz .LBB6_5233
; %bb.5230:                             ;   in Loop: Header=BB6_3598 Depth=2
	v_bfe_u32 v14, v12, 16, 7
	v_cmp_ne_u32_e32 vcc, s50, v14
	v_mov_b32_e32 v10, 0x7f800001
	s_and_saveexec_b64 s[78:79], vcc
	s_cbranch_execz .LBB6_5232
; %bb.5231:                             ;   in Loop: Header=BB6_3598 Depth=2
	v_and_b32_e32 v10, 7, v2
	v_lshrrev_b32_e32 v32, 3, v14
	v_cmp_gt_u32_e32 vcc, 8, v14
	v_ffbh_u32_e32 v14, v10
	v_min_u32_e32 v33, 32, v14
	v_subrev_u32_e32 v14, 28, v33
	v_lshlrev_b64 v[14:15], v14, v[2:3]
	v_sub_u32_e32 v2, 29, v33
	v_and_b32_e32 v14, 7, v14
	v_cndmask_b32_e32 v2, v32, v2, vcc
	v_cndmask_b32_e32 v10, v10, v14, vcc
	v_lshlrev_b32_e32 v14, 8, v12
	v_lshlrev_b32_e32 v10, 20, v10
	v_and_b32_e32 v14, 0x80000000, v14
	v_lshl_add_u32 v2, v2, 23, v57
	v_or3_b32 v10, v14, v2, v10
.LBB6_5232:                             ;   in Loop: Header=BB6_3598 Depth=2
	s_or_b64 exec, exec, s[78:79]
.LBB6_5233:                             ;   in Loop: Header=BB6_3598 Depth=2
	s_or_b64 exec, exec, s[76:77]
.LBB6_5234:                             ;   in Loop: Header=BB6_3598 Depth=2
	s_or_b64 exec, exec, s[18:19]
	v_add_f32_e32 v10, v11, v10
	v_and_b32_e32 v2, 0x7f800000, v10
	v_cmp_ne_u64_e32 vcc, s[46:47], v[2:3]
                                        ; implicit-def: $vgpr58
	s_and_saveexec_b64 s[18:19], vcc
	s_xor_b64 s[76:77], exec, s[18:19]
	s_cbranch_execz .LBB6_5248
; %bb.5235:                             ;   in Loop: Header=BB6_3598 Depth=2
	v_and_b32_e32 v2, 0x7fffffff, v10
	v_cmp_gt_u64_e32 vcc, s[56:57], v[2:3]
	v_and_b32_sdwa v48, v10, s49 dst_sel:DWORD dst_unused:UNUSED_PAD src0_sel:BYTE_3 src1_sel:DWORD
                                        ; implicit-def: $vgpr58
	s_and_saveexec_b64 s[18:19], vcc
	s_xor_b64 s[78:79], exec, s[18:19]
	s_cbranch_execz .LBB6_5245
; %bb.5236:                             ;   in Loop: Header=BB6_3598 Depth=2
	v_mov_b32_e32 v58, 0
	v_cmp_ne_u32_e32 vcc, 0, v10
	s_and_saveexec_b64 s[88:89], vcc
	s_cbranch_execz .LBB6_5244
; %bb.5237:                             ;   in Loop: Header=BB6_3598 Depth=2
	v_bfe_u32 v40, v10, 23, 8
	v_and_b32_e32 v2, 0x7fffff, v10
	v_cmp_gt_u32_e64 s[18:19], s51, v40
	v_sub_u32_e32 v10, 0x79, v40
	v_cmp_eq_u32_e32 vcc, 0, v40
	v_cndmask_b32_e64 v10, 0, v10, s[18:19]
	v_mov_b32_e32 v14, 0x78
	v_cndmask_b32_e32 v49, v10, v14, vcc
	v_or_b32_e32 v11, 0x800000, v2
	v_add_u32_e32 v10, 20, v49
	v_cndmask_b32_e32 v2, v11, v2, vcc
	v_lshlrev_b64 v[10:11], v10, -1
	v_add_u32_e32 v14, 19, v49
	v_lshlrev_b64 v[14:15], v14, 1
	v_bfi_b32 v11, v11, 0, 0
	v_bfi_b32 v10, v10, 0, v2
	v_cmp_eq_u64_e64 s[18:19], v[10:11], v[14:15]
	v_lshrrev_b64 v[10:11], v49, v[2:3]
	v_mov_b32_e32 v15, v11
	v_mov_b32_e32 v14, v10
	s_and_saveexec_b64 s[90:91], s[18:19]
; %bb.5238:                             ;   in Loop: Header=BB6_3598 Depth=2
	v_bfe_u32 v2, v10, 20, 1
	v_add_co_u32_e64 v2, s[18:19], v10, v2
	v_add_co_u32_e64 v14, s[18:19], -1, v2
; %bb.5239:                             ;   in Loop: Header=BB6_3598 Depth=2
	s_or_b64 exec, exec, s[90:91]
	v_add_u32_e32 v2, 0xffffff81, v40
	v_mov_b32_e32 v11, 0xffffff82
	v_cndmask_b32_e32 v2, v2, v11, vcc
	v_lshrrev_b32_e32 v11, 23, v10
	v_add3_u32 v49, v49, v2, v11
	v_add_u32_e32 v15, 6, v49
	v_and_b32_e32 v2, 0xfffff, v14
	v_add_u32_e32 v2, v2, v10
	v_cmp_ne_u32_e32 vcc, 0, v15
                                        ; implicit-def: $vgpr10_vgpr11
                                        ; implicit-def: $vgpr14
	s_and_saveexec_b64 s[18:19], vcc
	s_xor_b64 s[18:19], exec, s[18:19]
; %bb.5240:                             ;   in Loop: Header=BB6_3598 Depth=2
	v_cmp_lt_u64_e32 vcc, s[58:59], v[2:3]
	v_add_u32_e32 v10, 7, v49
	v_cndmask_b32_e32 v14, v15, v10, vcc
	v_cndmask_b32_e64 v10, 0, 1, vcc
	v_lshrrev_b64 v[10:11], v10, v[2:3]
; %bb.5241:                             ;   in Loop: Header=BB6_3598 Depth=2
	s_andn2_saveexec_b64 s[18:19], s[18:19]
; %bb.5242:                             ;   in Loop: Header=BB6_3598 Depth=2
	v_mov_b32_e32 v11, v3
	v_bfe_u32 v14, v2, 23, 1
	v_mov_b32_e32 v10, v2
; %bb.5243:                             ;   in Loop: Header=BB6_3598 Depth=2
	s_or_b64 exec, exec, s[18:19]
	v_lshrrev_b64 v[10:11], 20, v[10:11]
	v_cmp_gt_i32_e32 vcc, 16, v14
	v_cndmask_b32_e32 v11, 0, v11, vcc
	v_cndmask_b32_e32 v10, 7, v10, vcc
	v_min_i32_e32 v2, 15, v14
	v_cmp_eq_u64_e64 s[18:19], 0, v[10:11]
	v_lshlrev_b32_e32 v2, 3, v2
	v_cmp_eq_u32_e32 vcc, 0, v14
	v_and_b32_e32 v2, 0xf8, v2
	v_and_or_b32 v2, v10, 7, v2
	s_and_b64 s[18:19], vcc, s[18:19]
	v_cndmask_b32_e64 v2, v2, 0, s[18:19]
	v_or_b32_e32 v58, v2, v48
.LBB6_5244:                             ;   in Loop: Header=BB6_3598 Depth=2
	s_or_b64 exec, exec, s[88:89]
                                        ; implicit-def: $vgpr48
.LBB6_5245:                             ;   in Loop: Header=BB6_3598 Depth=2
	s_andn2_saveexec_b64 s[18:19], s[78:79]
; %bb.5246:                             ;   in Loop: Header=BB6_3598 Depth=2
	v_or_b32_e32 v58, 0x7e, v48
; %bb.5247:                             ;   in Loop: Header=BB6_3598 Depth=2
	s_or_b64 exec, exec, s[18:19]
                                        ; implicit-def: $vgpr10
.LBB6_5248:                             ;   in Loop: Header=BB6_3598 Depth=2
	s_andn2_saveexec_b64 s[18:19], s[76:77]
; %bb.5249:                             ;   in Loop: Header=BB6_3598 Depth=2
	v_or_b32_sdwa v58, v10, s50 dst_sel:DWORD dst_unused:UNUSED_PAD src0_sel:BYTE_3 src1_sel:DWORD
; %bb.5250:                             ;   in Loop: Header=BB6_3598 Depth=2
	s_or_b64 exec, exec, s[18:19]
	v_cmp_lt_u32_e32 vcc, s61, v16
	v_mov_b32_e32 v10, 0
	v_mov_b32_e32 v11, 0
	s_and_saveexec_b64 s[18:19], vcc
	s_cbranch_execz .LBB6_5256
; %bb.5251:                             ;   in Loop: Header=BB6_3598 Depth=2
	v_lshrrev_b32_e32 v2, 24, v16
	v_cmp_ne_u32_e32 vcc, s49, v2
	v_bfrev_b32_e32 v11, 1
	s_and_saveexec_b64 s[76:77], vcc
	s_cbranch_execz .LBB6_5255
; %bb.5252:                             ;   in Loop: Header=BB6_3598 Depth=2
	v_bfe_u32 v14, v16, 24, 7
	v_cmp_ne_u32_e32 vcc, s50, v14
	v_mov_b32_e32 v11, 0x7f800001
	s_and_saveexec_b64 s[78:79], vcc
	s_cbranch_execz .LBB6_5254
; %bb.5253:                             ;   in Loop: Header=BB6_3598 Depth=2
	v_and_b32_e32 v11, 7, v2
	v_lshrrev_b32_e32 v32, 3, v14
	v_cmp_gt_u32_e32 vcc, 8, v14
	v_ffbh_u32_e32 v14, v11
	v_min_u32_e32 v33, 32, v14
	v_subrev_u32_e32 v14, 28, v33
	v_lshlrev_b64 v[14:15], v14, v[2:3]
	v_sub_u32_e32 v15, 29, v33
	v_and_b32_e32 v14, 7, v14
	v_cndmask_b32_e32 v15, v32, v15, vcc
	v_cndmask_b32_e32 v11, v11, v14, vcc
	v_lshlrev_b32_e32 v2, 24, v2
	v_lshlrev_b32_e32 v11, 20, v11
	v_and_b32_e32 v2, 0x80000000, v2
	v_lshl_add_u32 v14, v15, 23, v57
	v_or3_b32 v11, v2, v14, v11
.LBB6_5254:                             ;   in Loop: Header=BB6_3598 Depth=2
	s_or_b64 exec, exec, s[78:79]
.LBB6_5255:                             ;   in Loop: Header=BB6_3598 Depth=2
	s_or_b64 exec, exec, s[76:77]
.LBB6_5256:                             ;   in Loop: Header=BB6_3598 Depth=2
	s_or_b64 exec, exec, s[18:19]
	v_cmp_lt_u32_e32 vcc, s61, v12
	s_and_saveexec_b64 s[18:19], vcc
	s_cbranch_execz .LBB6_5262
; %bb.5257:                             ;   in Loop: Header=BB6_3598 Depth=2
	v_lshrrev_b32_e32 v2, 24, v12
	v_cmp_ne_u32_e32 vcc, s49, v2
	v_bfrev_b32_e32 v10, 1
	s_and_saveexec_b64 s[76:77], vcc
	s_cbranch_execz .LBB6_5261
; %bb.5258:                             ;   in Loop: Header=BB6_3598 Depth=2
	v_bfe_u32 v14, v12, 24, 7
	v_cmp_ne_u32_e32 vcc, s50, v14
	v_mov_b32_e32 v10, 0x7f800001
	s_and_saveexec_b64 s[78:79], vcc
	s_cbranch_execz .LBB6_5260
; %bb.5259:                             ;   in Loop: Header=BB6_3598 Depth=2
	v_and_b32_e32 v10, 7, v2
	v_lshrrev_b32_e32 v32, 3, v14
	v_cmp_gt_u32_e32 vcc, 8, v14
	v_ffbh_u32_e32 v14, v10
	v_min_u32_e32 v33, 32, v14
	v_subrev_u32_e32 v14, 28, v33
	v_lshlrev_b64 v[14:15], v14, v[2:3]
	v_sub_u32_e32 v15, 29, v33
	v_and_b32_e32 v14, 7, v14
	v_cndmask_b32_e32 v15, v32, v15, vcc
	v_cndmask_b32_e32 v10, v10, v14, vcc
	v_lshlrev_b32_e32 v2, 24, v2
	v_lshlrev_b32_e32 v10, 20, v10
	v_and_b32_e32 v2, 0x80000000, v2
	v_lshl_add_u32 v14, v15, 23, v57
	v_or3_b32 v10, v2, v14, v10
.LBB6_5260:                             ;   in Loop: Header=BB6_3598 Depth=2
	s_or_b64 exec, exec, s[78:79]
.LBB6_5261:                             ;   in Loop: Header=BB6_3598 Depth=2
	s_or_b64 exec, exec, s[76:77]
.LBB6_5262:                             ;   in Loop: Header=BB6_3598 Depth=2
	s_or_b64 exec, exec, s[18:19]
	v_add_f32_e32 v10, v11, v10
	v_and_b32_e32 v2, 0x7f800000, v10
	v_cmp_ne_u64_e32 vcc, s[46:47], v[2:3]
                                        ; implicit-def: $vgpr59
	s_and_saveexec_b64 s[18:19], vcc
	s_xor_b64 s[76:77], exec, s[18:19]
	s_cbranch_execz .LBB6_5276
; %bb.5263:                             ;   in Loop: Header=BB6_3598 Depth=2
	v_and_b32_e32 v2, 0x7fffffff, v10
	v_cmp_gt_u64_e32 vcc, s[56:57], v[2:3]
	v_and_b32_sdwa v48, v10, s49 dst_sel:DWORD dst_unused:UNUSED_PAD src0_sel:BYTE_3 src1_sel:DWORD
                                        ; implicit-def: $vgpr59
	s_and_saveexec_b64 s[18:19], vcc
	s_xor_b64 s[78:79], exec, s[18:19]
	s_cbranch_execz .LBB6_5273
; %bb.5264:                             ;   in Loop: Header=BB6_3598 Depth=2
	v_mov_b32_e32 v59, 0
	v_cmp_ne_u32_e32 vcc, 0, v10
	s_and_saveexec_b64 s[88:89], vcc
	s_cbranch_execz .LBB6_5272
; %bb.5265:                             ;   in Loop: Header=BB6_3598 Depth=2
	v_bfe_u32 v40, v10, 23, 8
	v_and_b32_e32 v2, 0x7fffff, v10
	v_cmp_gt_u32_e64 s[18:19], s51, v40
	v_sub_u32_e32 v10, 0x79, v40
	v_cmp_eq_u32_e32 vcc, 0, v40
	v_cndmask_b32_e64 v10, 0, v10, s[18:19]
	v_mov_b32_e32 v14, 0x78
	v_cndmask_b32_e32 v49, v10, v14, vcc
	v_or_b32_e32 v11, 0x800000, v2
	v_add_u32_e32 v10, 20, v49
	v_cndmask_b32_e32 v2, v11, v2, vcc
	v_lshlrev_b64 v[10:11], v10, -1
	v_add_u32_e32 v14, 19, v49
	v_lshlrev_b64 v[14:15], v14, 1
	v_bfi_b32 v11, v11, 0, 0
	v_bfi_b32 v10, v10, 0, v2
	v_cmp_eq_u64_e64 s[18:19], v[10:11], v[14:15]
	v_lshrrev_b64 v[10:11], v49, v[2:3]
	v_mov_b32_e32 v15, v11
	v_mov_b32_e32 v14, v10
	s_and_saveexec_b64 s[90:91], s[18:19]
; %bb.5266:                             ;   in Loop: Header=BB6_3598 Depth=2
	v_bfe_u32 v2, v10, 20, 1
	v_add_co_u32_e64 v2, s[18:19], v10, v2
	v_add_co_u32_e64 v14, s[18:19], -1, v2
; %bb.5267:                             ;   in Loop: Header=BB6_3598 Depth=2
	s_or_b64 exec, exec, s[90:91]
	v_add_u32_e32 v2, 0xffffff81, v40
	v_mov_b32_e32 v11, 0xffffff82
	v_cndmask_b32_e32 v2, v2, v11, vcc
	v_lshrrev_b32_e32 v11, 23, v10
	v_add3_u32 v49, v49, v2, v11
	v_add_u32_e32 v15, 6, v49
	v_and_b32_e32 v2, 0xfffff, v14
	v_add_u32_e32 v2, v2, v10
	v_cmp_ne_u32_e32 vcc, 0, v15
                                        ; implicit-def: $vgpr10_vgpr11
                                        ; implicit-def: $vgpr14
	s_and_saveexec_b64 s[18:19], vcc
	s_xor_b64 s[18:19], exec, s[18:19]
; %bb.5268:                             ;   in Loop: Header=BB6_3598 Depth=2
	v_cmp_lt_u64_e32 vcc, s[58:59], v[2:3]
	v_add_u32_e32 v10, 7, v49
	v_cndmask_b32_e32 v14, v15, v10, vcc
	v_cndmask_b32_e64 v10, 0, 1, vcc
	v_lshrrev_b64 v[10:11], v10, v[2:3]
; %bb.5269:                             ;   in Loop: Header=BB6_3598 Depth=2
	s_andn2_saveexec_b64 s[18:19], s[18:19]
; %bb.5270:                             ;   in Loop: Header=BB6_3598 Depth=2
	v_mov_b32_e32 v11, v3
	v_bfe_u32 v14, v2, 23, 1
	v_mov_b32_e32 v10, v2
; %bb.5271:                             ;   in Loop: Header=BB6_3598 Depth=2
	s_or_b64 exec, exec, s[18:19]
	v_lshrrev_b64 v[10:11], 20, v[10:11]
	v_cmp_gt_i32_e32 vcc, 16, v14
	v_cndmask_b32_e32 v11, 0, v11, vcc
	v_cndmask_b32_e32 v10, 7, v10, vcc
	v_min_i32_e32 v2, 15, v14
	v_cmp_eq_u64_e64 s[18:19], 0, v[10:11]
	v_lshlrev_b32_e32 v2, 3, v2
	v_cmp_eq_u32_e32 vcc, 0, v14
	v_and_b32_e32 v2, 0xf8, v2
	v_and_or_b32 v2, v10, 7, v2
	s_and_b64 s[18:19], vcc, s[18:19]
	v_cndmask_b32_e64 v2, v2, 0, s[18:19]
	v_or_b32_e32 v59, v2, v48
.LBB6_5272:                             ;   in Loop: Header=BB6_3598 Depth=2
	s_or_b64 exec, exec, s[88:89]
                                        ; implicit-def: $vgpr48
.LBB6_5273:                             ;   in Loop: Header=BB6_3598 Depth=2
	s_andn2_saveexec_b64 s[18:19], s[78:79]
; %bb.5274:                             ;   in Loop: Header=BB6_3598 Depth=2
	v_or_b32_e32 v59, 0x7e, v48
; %bb.5275:                             ;   in Loop: Header=BB6_3598 Depth=2
	s_or_b64 exec, exec, s[18:19]
                                        ; implicit-def: $vgpr10
.LBB6_5276:                             ;   in Loop: Header=BB6_3598 Depth=2
	s_andn2_saveexec_b64 s[18:19], s[76:77]
; %bb.5277:                             ;   in Loop: Header=BB6_3598 Depth=2
	v_or_b32_sdwa v59, v10, s50 dst_sel:DWORD dst_unused:UNUSED_PAD src0_sel:BYTE_3 src1_sel:DWORD
; %bb.5278:                             ;   in Loop: Header=BB6_3598 Depth=2
	s_or_b64 exec, exec, s[18:19]
	v_mov_b32_e32 v2, v17
	v_cmp_ne_u16_sdwa s[76:77], v17, v3 src0_sel:BYTE_0 src1_sel:DWORD
	v_mov_b32_e32 v11, 0
	v_mov_b32_e32 v10, 0
	s_and_saveexec_b64 s[18:19], s[76:77]
	s_cbranch_execz .LBB6_5284
; %bb.5279:                             ;   in Loop: Header=BB6_3598 Depth=2
	v_cmp_ne_u16_sdwa s[78:79], v17, s49 src0_sel:BYTE_0 src1_sel:DWORD
	v_bfrev_b32_e32 v10, 1
	s_and_saveexec_b64 s[76:77], s[78:79]
	s_cbranch_execz .LBB6_5283
; %bb.5280:                             ;   in Loop: Header=BB6_3598 Depth=2
	v_and_b32_e32 v14, 0x7f, v17
	v_cmp_ne_u32_e32 vcc, s50, v14
	v_mov_b32_e32 v10, 0x7f800001
	s_and_saveexec_b64 s[78:79], vcc
	s_cbranch_execz .LBB6_5282
; %bb.5281:                             ;   in Loop: Header=BB6_3598 Depth=2
	v_and_b32_e32 v10, 7, v17
	v_ffbh_u32_e32 v10, v10
	v_min_u32_e32 v10, 32, v10
	v_lshrrev_b32_e32 v15, 3, v14
	v_cmp_gt_u32_e32 vcc, 8, v14
	v_subrev_u32_e32 v14, 28, v10
	v_sub_u32_e32 v10, 29, v10
	v_cndmask_b32_e32 v14, 0, v14, vcc
	v_cndmask_b32_e32 v10, v15, v10, vcc
	v_lshlrev_b64 v[14:15], v14, v[2:3]
	v_lshlrev_b32_e32 v15, 24, v2
	v_lshlrev_b32_e32 v14, 20, v14
	v_and_b32_e32 v14, 0x700000, v14
	v_and_b32_e32 v15, 0x80000000, v15
	v_lshl_add_u32 v10, v10, 23, v57
	v_or3_b32 v10, v15, v10, v14
.LBB6_5282:                             ;   in Loop: Header=BB6_3598 Depth=2
	s_or_b64 exec, exec, s[78:79]
.LBB6_5283:                             ;   in Loop: Header=BB6_3598 Depth=2
	s_or_b64 exec, exec, s[76:77]
.LBB6_5284:                             ;   in Loop: Header=BB6_3598 Depth=2
	s_or_b64 exec, exec, s[18:19]
	v_cmp_ne_u16_sdwa s[76:77], v13, v3 src0_sel:BYTE_0 src1_sel:DWORD
	s_and_saveexec_b64 s[18:19], s[76:77]
	s_cbranch_execz .LBB6_5290
; %bb.5285:                             ;   in Loop: Header=BB6_3598 Depth=2
	v_cmp_ne_u16_sdwa s[78:79], v13, s49 src0_sel:BYTE_0 src1_sel:DWORD
	v_bfrev_b32_e32 v11, 1
	s_and_saveexec_b64 s[76:77], s[78:79]
	s_cbranch_execz .LBB6_5289
; %bb.5286:                             ;   in Loop: Header=BB6_3598 Depth=2
	v_and_b32_e32 v14, 0x7f, v13
	v_cmp_ne_u32_e32 vcc, s50, v14
	v_mov_b32_e32 v11, 0x7f800001
	s_and_saveexec_b64 s[78:79], vcc
	s_cbranch_execz .LBB6_5288
; %bb.5287:                             ;   in Loop: Header=BB6_3598 Depth=2
	v_and_b32_e32 v11, 7, v13
	v_ffbh_u32_e32 v11, v11
	v_min_u32_e32 v11, 32, v11
	v_lshrrev_b32_e32 v15, 3, v14
	v_cmp_gt_u32_e32 vcc, 8, v14
	v_subrev_u32_e32 v14, 28, v11
	v_mov_b32_e32 v48, v13
	v_mov_b32_e32 v49, v3
	v_sub_u32_e32 v11, 29, v11
	v_cndmask_b32_e32 v14, 0, v14, vcc
	v_cndmask_b32_e32 v11, v15, v11, vcc
	v_lshlrev_b64 v[14:15], v14, v[48:49]
	v_lshlrev_b32_e32 v15, 24, v48
	v_lshlrev_b32_e32 v14, 20, v14
	v_and_b32_e32 v14, 0x700000, v14
	v_and_b32_e32 v15, 0x80000000, v15
	v_lshl_add_u32 v11, v11, 23, v57
	v_or3_b32 v11, v15, v11, v14
.LBB6_5288:                             ;   in Loop: Header=BB6_3598 Depth=2
	s_or_b64 exec, exec, s[78:79]
.LBB6_5289:                             ;   in Loop: Header=BB6_3598 Depth=2
	s_or_b64 exec, exec, s[76:77]
.LBB6_5290:                             ;   in Loop: Header=BB6_3598 Depth=2
	s_or_b64 exec, exec, s[18:19]
	v_add_f32_e32 v10, v10, v11
	v_and_b32_e32 v14, 0x7f800000, v10
	v_mov_b32_e32 v15, v3
	v_cmp_ne_u64_e32 vcc, s[46:47], v[14:15]
                                        ; implicit-def: $vgpr48
	s_and_saveexec_b64 s[18:19], vcc
	s_xor_b64 s[76:77], exec, s[18:19]
	s_cbranch_execz .LBB6_5304
; %bb.5291:                             ;   in Loop: Header=BB6_3598 Depth=2
	v_and_b32_e32 v14, 0x7fffffff, v10
	v_mov_b32_e32 v15, v3
	v_cmp_gt_u64_e32 vcc, s[56:57], v[14:15]
	v_and_b32_sdwa v40, v10, s49 dst_sel:DWORD dst_unused:UNUSED_PAD src0_sel:BYTE_3 src1_sel:DWORD
                                        ; implicit-def: $vgpr48
	s_and_saveexec_b64 s[18:19], vcc
	s_xor_b64 s[78:79], exec, s[18:19]
	s_cbranch_execz .LBB6_5301
; %bb.5292:                             ;   in Loop: Header=BB6_3598 Depth=2
	v_mov_b32_e32 v48, 0
	v_cmp_ne_u32_e32 vcc, 0, v10
	s_and_saveexec_b64 s[88:89], vcc
	s_cbranch_execz .LBB6_5300
; %bb.5293:                             ;   in Loop: Header=BB6_3598 Depth=2
	v_bfe_u32 v48, v10, 23, 8
	v_and_b32_e32 v11, 0x7fffff, v10
	v_cmp_gt_u32_e64 s[18:19], s51, v48
	v_sub_u32_e32 v10, 0x79, v48
	v_cmp_eq_u32_e32 vcc, 0, v48
	v_cndmask_b32_e64 v10, 0, v10, s[18:19]
	v_mov_b32_e32 v15, 0x78
	v_or_b32_e32 v14, 0x800000, v11
	v_cndmask_b32_e32 v49, v10, v15, vcc
	v_cndmask_b32_e32 v10, v14, v11, vcc
	v_add_u32_e32 v14, 20, v49
	v_lshlrev_b64 v[14:15], v14, -1
	v_mov_b32_e32 v11, v3
	v_add_u32_e32 v32, 19, v49
	v_bfi_b32 v14, v14, 0, v10
	v_lshlrev_b64 v[32:33], v32, 1
	v_lshrrev_b64 v[10:11], v49, v[10:11]
	v_bfi_b32 v15, v15, 0, 0
	v_cmp_eq_u64_e64 s[18:19], v[14:15], v[32:33]
	v_mov_b32_e32 v15, v11
	v_mov_b32_e32 v14, v10
	s_and_saveexec_b64 s[90:91], s[18:19]
; %bb.5294:                             ;   in Loop: Header=BB6_3598 Depth=2
	v_bfe_u32 v11, v10, 20, 1
	v_add_co_u32_e64 v11, s[18:19], v10, v11
	v_add_co_u32_e64 v14, s[18:19], -1, v11
; %bb.5295:                             ;   in Loop: Header=BB6_3598 Depth=2
	s_or_b64 exec, exec, s[90:91]
	v_add_u32_e32 v11, 0xffffff81, v48
	v_mov_b32_e32 v15, 0xffffff82
	v_cndmask_b32_e32 v11, v11, v15, vcc
	v_lshrrev_b32_e32 v15, 23, v10
	v_add3_u32 v48, v49, v11, v15
	v_add_u32_e32 v15, 6, v48
	v_and_b32_e32 v11, 0xfffff, v14
	v_add_u32_e32 v10, v11, v10
	v_mov_b32_e32 v11, v3
	v_cmp_ne_u32_e32 vcc, 0, v15
                                        ; implicit-def: $vgpr14
	s_and_saveexec_b64 s[18:19], vcc
	s_xor_b64 s[18:19], exec, s[18:19]
; %bb.5296:                             ;   in Loop: Header=BB6_3598 Depth=2
	v_cmp_lt_u64_e32 vcc, s[58:59], v[10:11]
	v_add_u32_e32 v14, 7, v48
	v_cndmask_b32_e32 v14, v15, v14, vcc
	v_cndmask_b32_e64 v15, 0, 1, vcc
	v_lshrrev_b64 v[10:11], v15, v[10:11]
; %bb.5297:                             ;   in Loop: Header=BB6_3598 Depth=2
	s_andn2_saveexec_b64 s[18:19], s[18:19]
; %bb.5298:                             ;   in Loop: Header=BB6_3598 Depth=2
	v_bfe_u32 v14, v10, 23, 1
; %bb.5299:                             ;   in Loop: Header=BB6_3598 Depth=2
	s_or_b64 exec, exec, s[18:19]
	v_lshrrev_b64 v[10:11], 20, v[10:11]
	v_cmp_gt_i32_e32 vcc, 16, v14
	v_cndmask_b32_e32 v11, 0, v11, vcc
	v_cndmask_b32_e32 v10, 7, v10, vcc
	v_cmp_eq_u64_e64 s[18:19], 0, v[10:11]
	v_min_i32_e32 v11, 15, v14
	v_lshlrev_b32_e32 v11, 3, v11
	v_cmp_eq_u32_e32 vcc, 0, v14
	v_and_b32_e32 v11, 0xf8, v11
	v_and_or_b32 v10, v10, 7, v11
	s_and_b64 s[18:19], vcc, s[18:19]
	v_cndmask_b32_e64 v10, v10, 0, s[18:19]
	v_or_b32_e32 v48, v10, v40
.LBB6_5300:                             ;   in Loop: Header=BB6_3598 Depth=2
	s_or_b64 exec, exec, s[88:89]
                                        ; implicit-def: $vgpr40
.LBB6_5301:                             ;   in Loop: Header=BB6_3598 Depth=2
	s_andn2_saveexec_b64 s[18:19], s[78:79]
; %bb.5302:                             ;   in Loop: Header=BB6_3598 Depth=2
	v_or_b32_e32 v48, 0x7e, v40
; %bb.5303:                             ;   in Loop: Header=BB6_3598 Depth=2
	s_or_b64 exec, exec, s[18:19]
                                        ; implicit-def: $vgpr10
.LBB6_5304:                             ;   in Loop: Header=BB6_3598 Depth=2
	s_andn2_saveexec_b64 s[18:19], s[76:77]
; %bb.5305:                             ;   in Loop: Header=BB6_3598 Depth=2
	v_or_b32_sdwa v48, v10, s50 dst_sel:DWORD dst_unused:UNUSED_PAD src0_sel:BYTE_3 src1_sel:DWORD
; %bb.5306:                             ;   in Loop: Header=BB6_3598 Depth=2
	s_or_b64 exec, exec, s[18:19]
	v_lshrrev_b16_e32 v10, 8, v2
	v_cmp_ne_u16_e32 vcc, 0, v10
	v_mov_b32_e32 v11, 0
	v_mov_b32_e32 v14, 0
	s_and_saveexec_b64 s[18:19], vcc
	s_cbranch_execz .LBB6_5312
; %bb.5307:                             ;   in Loop: Header=BB6_3598 Depth=2
	v_cmp_ne_u16_e32 vcc, s49, v10
	v_bfrev_b32_e32 v14, 1
	s_and_saveexec_b64 s[76:77], vcc
	s_cbranch_execz .LBB6_5311
; %bb.5308:                             ;   in Loop: Header=BB6_3598 Depth=2
	v_and_b32_e32 v15, 0x7f, v10
	v_cmp_ne_u32_e32 vcc, s50, v15
	v_mov_b32_e32 v14, 0x7f800001
	s_and_saveexec_b64 s[78:79], vcc
	s_cbranch_execz .LBB6_5310
; %bb.5309:                             ;   in Loop: Header=BB6_3598 Depth=2
	v_and_b32_e32 v32, 7, v10
	v_ffbh_u32_e32 v14, v32
	v_min_u32_e32 v49, 32, v14
	v_subrev_u32_e32 v14, 28, v49
	v_lshrrev_b32_e32 v33, 3, v15
	v_cmp_gt_u32_e32 vcc, 8, v15
	v_lshlrev_b64 v[14:15], v14, v[10:11]
	v_sub_u32_e32 v10, 29, v49
	v_and_b32_e32 v14, 7, v14
	v_cndmask_b32_e32 v10, v33, v10, vcc
	v_cndmask_b32_e32 v14, v32, v14, vcc
	v_lshlrev_b32_e32 v2, 16, v2
	v_lshlrev_b32_e32 v14, 20, v14
	v_and_b32_e32 v2, 0x80000000, v2
	v_lshl_add_u32 v10, v10, 23, v57
	v_or3_b32 v14, v2, v10, v14
.LBB6_5310:                             ;   in Loop: Header=BB6_3598 Depth=2
	s_or_b64 exec, exec, s[78:79]
.LBB6_5311:                             ;   in Loop: Header=BB6_3598 Depth=2
	s_or_b64 exec, exec, s[76:77]
.LBB6_5312:                             ;   in Loop: Header=BB6_3598 Depth=2
	s_or_b64 exec, exec, s[18:19]
	v_lshrrev_b16_e32 v2, 8, v13
	v_cmp_ne_u16_e32 vcc, 0, v2
	s_and_saveexec_b64 s[18:19], vcc
	s_cbranch_execz .LBB6_5318
; %bb.5313:                             ;   in Loop: Header=BB6_3598 Depth=2
	v_cmp_ne_u16_e32 vcc, s49, v2
	v_bfrev_b32_e32 v11, 1
	s_and_saveexec_b64 s[76:77], vcc
	s_cbranch_execz .LBB6_5317
; %bb.5314:                             ;   in Loop: Header=BB6_3598 Depth=2
	v_and_b32_e32 v10, 0x7f, v2
	v_cmp_ne_u32_e32 vcc, s50, v10
	v_mov_b32_e32 v11, 0x7f800001
	s_and_saveexec_b64 s[78:79], vcc
	s_cbranch_execz .LBB6_5316
; %bb.5315:                             ;   in Loop: Header=BB6_3598 Depth=2
	v_and_b32_e32 v15, 7, v2
	v_lshrrev_b32_e32 v32, 3, v10
	v_cmp_gt_u32_e32 vcc, 8, v10
	v_ffbh_u32_e32 v10, v15
	v_min_u32_e32 v33, 32, v10
	v_subrev_u32_e32 v10, 28, v33
	v_lshlrev_b64 v[10:11], v10, v[2:3]
	v_sub_u32_e32 v2, 29, v33
	v_and_b32_e32 v10, 7, v10
	v_cndmask_b32_e32 v2, v32, v2, vcc
	v_cndmask_b32_e32 v10, v15, v10, vcc
	v_lshlrev_b32_e32 v11, 16, v13
	v_lshlrev_b32_e32 v10, 20, v10
	v_and_b32_e32 v11, 0x80000000, v11
	v_lshl_add_u32 v2, v2, 23, v57
	v_or3_b32 v11, v11, v2, v10
.LBB6_5316:                             ;   in Loop: Header=BB6_3598 Depth=2
	s_or_b64 exec, exec, s[78:79]
.LBB6_5317:                             ;   in Loop: Header=BB6_3598 Depth=2
	s_or_b64 exec, exec, s[76:77]
.LBB6_5318:                             ;   in Loop: Header=BB6_3598 Depth=2
	s_or_b64 exec, exec, s[18:19]
	v_add_f32_e32 v10, v14, v11
	v_and_b32_e32 v2, 0x7f800000, v10
	v_cmp_ne_u64_e32 vcc, s[46:47], v[2:3]
                                        ; implicit-def: $vgpr40
	s_and_saveexec_b64 s[18:19], vcc
	s_xor_b64 s[76:77], exec, s[18:19]
	s_cbranch_execz .LBB6_5332
; %bb.5319:                             ;   in Loop: Header=BB6_3598 Depth=2
	v_and_b32_e32 v2, 0x7fffffff, v10
	v_cmp_gt_u64_e32 vcc, s[56:57], v[2:3]
	v_and_b32_sdwa v41, v10, s49 dst_sel:DWORD dst_unused:UNUSED_PAD src0_sel:BYTE_3 src1_sel:DWORD
                                        ; implicit-def: $vgpr40
	s_and_saveexec_b64 s[18:19], vcc
	s_xor_b64 s[78:79], exec, s[18:19]
	s_cbranch_execz .LBB6_5329
; %bb.5320:                             ;   in Loop: Header=BB6_3598 Depth=2
	v_mov_b32_e32 v40, 0
	v_cmp_ne_u32_e32 vcc, 0, v10
	s_and_saveexec_b64 s[88:89], vcc
	s_cbranch_execz .LBB6_5328
; %bb.5321:                             ;   in Loop: Header=BB6_3598 Depth=2
	v_bfe_u32 v40, v10, 23, 8
	v_and_b32_e32 v2, 0x7fffff, v10
	v_cmp_gt_u32_e64 s[18:19], s51, v40
	v_sub_u32_e32 v10, 0x79, v40
	v_cmp_eq_u32_e32 vcc, 0, v40
	v_cndmask_b32_e64 v10, 0, v10, s[18:19]
	v_mov_b32_e32 v14, 0x78
	v_cndmask_b32_e32 v49, v10, v14, vcc
	v_or_b32_e32 v11, 0x800000, v2
	v_add_u32_e32 v10, 20, v49
	v_cndmask_b32_e32 v2, v11, v2, vcc
	v_lshlrev_b64 v[10:11], v10, -1
	v_add_u32_e32 v14, 19, v49
	v_lshlrev_b64 v[14:15], v14, 1
	v_bfi_b32 v11, v11, 0, 0
	v_bfi_b32 v10, v10, 0, v2
	v_cmp_eq_u64_e64 s[18:19], v[10:11], v[14:15]
	v_lshrrev_b64 v[10:11], v49, v[2:3]
	v_mov_b32_e32 v15, v11
	v_mov_b32_e32 v14, v10
	s_and_saveexec_b64 s[90:91], s[18:19]
; %bb.5322:                             ;   in Loop: Header=BB6_3598 Depth=2
	v_bfe_u32 v2, v10, 20, 1
	v_add_co_u32_e64 v2, s[18:19], v10, v2
	v_add_co_u32_e64 v14, s[18:19], -1, v2
; %bb.5323:                             ;   in Loop: Header=BB6_3598 Depth=2
	s_or_b64 exec, exec, s[90:91]
	v_add_u32_e32 v2, 0xffffff81, v40
	v_mov_b32_e32 v11, 0xffffff82
	v_cndmask_b32_e32 v2, v2, v11, vcc
	v_lshrrev_b32_e32 v11, 23, v10
	v_add3_u32 v49, v49, v2, v11
	v_add_u32_e32 v15, 6, v49
	v_and_b32_e32 v2, 0xfffff, v14
	v_add_u32_e32 v2, v2, v10
	v_cmp_ne_u32_e32 vcc, 0, v15
                                        ; implicit-def: $vgpr10_vgpr11
                                        ; implicit-def: $vgpr14
	s_and_saveexec_b64 s[18:19], vcc
	s_xor_b64 s[18:19], exec, s[18:19]
; %bb.5324:                             ;   in Loop: Header=BB6_3598 Depth=2
	v_cmp_lt_u64_e32 vcc, s[58:59], v[2:3]
	v_add_u32_e32 v10, 7, v49
	v_cndmask_b32_e32 v14, v15, v10, vcc
	v_cndmask_b32_e64 v10, 0, 1, vcc
	v_lshrrev_b64 v[10:11], v10, v[2:3]
; %bb.5325:                             ;   in Loop: Header=BB6_3598 Depth=2
	s_andn2_saveexec_b64 s[18:19], s[18:19]
; %bb.5326:                             ;   in Loop: Header=BB6_3598 Depth=2
	v_mov_b32_e32 v11, v3
	v_bfe_u32 v14, v2, 23, 1
	v_mov_b32_e32 v10, v2
; %bb.5327:                             ;   in Loop: Header=BB6_3598 Depth=2
	s_or_b64 exec, exec, s[18:19]
	v_lshrrev_b64 v[10:11], 20, v[10:11]
	v_cmp_gt_i32_e32 vcc, 16, v14
	v_cndmask_b32_e32 v11, 0, v11, vcc
	v_cndmask_b32_e32 v10, 7, v10, vcc
	v_min_i32_e32 v2, 15, v14
	v_cmp_eq_u64_e64 s[18:19], 0, v[10:11]
	v_lshlrev_b32_e32 v2, 3, v2
	v_cmp_eq_u32_e32 vcc, 0, v14
	v_and_b32_e32 v2, 0xf8, v2
	v_and_or_b32 v2, v10, 7, v2
	s_and_b64 s[18:19], vcc, s[18:19]
	v_cndmask_b32_e64 v2, v2, 0, s[18:19]
	v_or_b32_e32 v40, v2, v41
.LBB6_5328:                             ;   in Loop: Header=BB6_3598 Depth=2
	s_or_b64 exec, exec, s[88:89]
                                        ; implicit-def: $vgpr41
.LBB6_5329:                             ;   in Loop: Header=BB6_3598 Depth=2
	s_andn2_saveexec_b64 s[18:19], s[78:79]
; %bb.5330:                             ;   in Loop: Header=BB6_3598 Depth=2
	v_or_b32_e32 v40, 0x7e, v41
; %bb.5331:                             ;   in Loop: Header=BB6_3598 Depth=2
	s_or_b64 exec, exec, s[18:19]
                                        ; implicit-def: $vgpr10
.LBB6_5332:                             ;   in Loop: Header=BB6_3598 Depth=2
	s_andn2_saveexec_b64 s[18:19], s[76:77]
; %bb.5333:                             ;   in Loop: Header=BB6_3598 Depth=2
	v_or_b32_sdwa v40, v10, s50 dst_sel:DWORD dst_unused:UNUSED_PAD src0_sel:BYTE_3 src1_sel:DWORD
; %bb.5334:                             ;   in Loop: Header=BB6_3598 Depth=2
	s_or_b64 exec, exec, s[18:19]
	v_lshrrev_b32_e32 v2, 16, v17
	v_cmp_ne_u16_sdwa s[76:77], v2, v3 src0_sel:BYTE_0 src1_sel:DWORD
	v_mov_b32_e32 v10, 0
	v_mov_b32_e32 v11, 0
	s_and_saveexec_b64 s[18:19], s[76:77]
	s_cbranch_execz .LBB6_5340
; %bb.5335:                             ;   in Loop: Header=BB6_3598 Depth=2
	v_cmp_ne_u16_sdwa s[78:79], v2, s49 src0_sel:BYTE_0 src1_sel:DWORD
	v_bfrev_b32_e32 v11, 1
	s_and_saveexec_b64 s[76:77], s[78:79]
	s_cbranch_execz .LBB6_5339
; %bb.5336:                             ;   in Loop: Header=BB6_3598 Depth=2
	v_bfe_u32 v14, v17, 16, 7
	v_cmp_ne_u32_e32 vcc, s50, v14
	v_mov_b32_e32 v11, 0x7f800001
	s_and_saveexec_b64 s[78:79], vcc
	s_cbranch_execz .LBB6_5338
; %bb.5337:                             ;   in Loop: Header=BB6_3598 Depth=2
	v_and_b32_e32 v11, 7, v2
	v_lshrrev_b32_e32 v32, 3, v14
	v_cmp_gt_u32_e32 vcc, 8, v14
	v_ffbh_u32_e32 v14, v11
	v_min_u32_e32 v33, 32, v14
	v_subrev_u32_e32 v14, 28, v33
	v_lshlrev_b64 v[14:15], v14, v[2:3]
	v_sub_u32_e32 v15, 29, v33
	v_and_b32_e32 v14, 7, v14
	v_cndmask_b32_e32 v15, v32, v15, vcc
	v_cndmask_b32_e32 v11, v11, v14, vcc
	v_lshlrev_b32_e32 v2, 24, v2
	v_lshlrev_b32_e32 v11, 20, v11
	v_and_b32_e32 v2, 0x80000000, v2
	v_lshl_add_u32 v14, v15, 23, v57
	v_or3_b32 v11, v2, v14, v11
.LBB6_5338:                             ;   in Loop: Header=BB6_3598 Depth=2
	s_or_b64 exec, exec, s[78:79]
.LBB6_5339:                             ;   in Loop: Header=BB6_3598 Depth=2
	s_or_b64 exec, exec, s[76:77]
.LBB6_5340:                             ;   in Loop: Header=BB6_3598 Depth=2
	s_or_b64 exec, exec, s[18:19]
	v_lshrrev_b32_e32 v2, 16, v13
	v_cmp_ne_u16_sdwa s[76:77], v2, v3 src0_sel:BYTE_0 src1_sel:DWORD
	s_and_saveexec_b64 s[18:19], s[76:77]
	s_cbranch_execz .LBB6_5346
; %bb.5341:                             ;   in Loop: Header=BB6_3598 Depth=2
	v_cmp_ne_u16_sdwa s[78:79], v2, s49 src0_sel:BYTE_0 src1_sel:DWORD
	v_bfrev_b32_e32 v10, 1
	s_and_saveexec_b64 s[76:77], s[78:79]
	s_cbranch_execz .LBB6_5345
; %bb.5342:                             ;   in Loop: Header=BB6_3598 Depth=2
	v_bfe_u32 v14, v13, 16, 7
	v_cmp_ne_u32_e32 vcc, s50, v14
	v_mov_b32_e32 v10, 0x7f800001
	s_and_saveexec_b64 s[78:79], vcc
	s_cbranch_execz .LBB6_5344
; %bb.5343:                             ;   in Loop: Header=BB6_3598 Depth=2
	v_and_b32_e32 v10, 7, v2
	v_lshrrev_b32_e32 v32, 3, v14
	v_cmp_gt_u32_e32 vcc, 8, v14
	v_ffbh_u32_e32 v14, v10
	v_min_u32_e32 v33, 32, v14
	v_subrev_u32_e32 v14, 28, v33
	v_lshlrev_b64 v[14:15], v14, v[2:3]
	v_sub_u32_e32 v2, 29, v33
	v_and_b32_e32 v14, 7, v14
	v_cndmask_b32_e32 v2, v32, v2, vcc
	v_cndmask_b32_e32 v10, v10, v14, vcc
	v_lshlrev_b32_e32 v14, 8, v13
	v_lshlrev_b32_e32 v10, 20, v10
	v_and_b32_e32 v14, 0x80000000, v14
	v_lshl_add_u32 v2, v2, 23, v57
	v_or3_b32 v10, v14, v2, v10
.LBB6_5344:                             ;   in Loop: Header=BB6_3598 Depth=2
	s_or_b64 exec, exec, s[78:79]
.LBB6_5345:                             ;   in Loop: Header=BB6_3598 Depth=2
	s_or_b64 exec, exec, s[76:77]
.LBB6_5346:                             ;   in Loop: Header=BB6_3598 Depth=2
	s_or_b64 exec, exec, s[18:19]
	v_add_f32_e32 v10, v11, v10
	v_and_b32_e32 v2, 0x7f800000, v10
	v_cmp_ne_u64_e32 vcc, s[46:47], v[2:3]
                                        ; implicit-def: $vgpr14
	s_and_saveexec_b64 s[18:19], vcc
	s_xor_b64 s[76:77], exec, s[18:19]
	s_cbranch_execz .LBB6_5360
; %bb.5347:                             ;   in Loop: Header=BB6_3598 Depth=2
	v_and_b32_e32 v2, 0x7fffffff, v10
	v_cmp_gt_u64_e32 vcc, s[56:57], v[2:3]
	v_and_b32_sdwa v41, v10, s49 dst_sel:DWORD dst_unused:UNUSED_PAD src0_sel:BYTE_3 src1_sel:DWORD
                                        ; implicit-def: $vgpr14
	s_and_saveexec_b64 s[18:19], vcc
	s_xor_b64 s[78:79], exec, s[18:19]
	s_cbranch_execz .LBB6_5357
; %bb.5348:                             ;   in Loop: Header=BB6_3598 Depth=2
	v_mov_b32_e32 v14, 0
	v_cmp_ne_u32_e32 vcc, 0, v10
	s_and_saveexec_b64 s[88:89], vcc
	s_cbranch_execz .LBB6_5356
; %bb.5349:                             ;   in Loop: Header=BB6_3598 Depth=2
	v_bfe_u32 v49, v10, 23, 8
	v_and_b32_e32 v2, 0x7fffff, v10
	v_cmp_gt_u32_e64 s[18:19], s51, v49
	v_sub_u32_e32 v10, 0x79, v49
	v_cmp_eq_u32_e32 vcc, 0, v49
	v_cndmask_b32_e64 v10, 0, v10, s[18:19]
	v_mov_b32_e32 v14, 0x78
	v_cndmask_b32_e32 v43, v10, v14, vcc
	v_or_b32_e32 v11, 0x800000, v2
	v_add_u32_e32 v10, 20, v43
	v_cndmask_b32_e32 v2, v11, v2, vcc
	v_lshlrev_b64 v[10:11], v10, -1
	v_add_u32_e32 v14, 19, v43
	v_lshlrev_b64 v[14:15], v14, 1
	v_bfi_b32 v11, v11, 0, 0
	v_bfi_b32 v10, v10, 0, v2
	v_cmp_eq_u64_e64 s[18:19], v[10:11], v[14:15]
	v_lshrrev_b64 v[10:11], v43, v[2:3]
	v_mov_b32_e32 v15, v11
	v_mov_b32_e32 v14, v10
	s_and_saveexec_b64 s[90:91], s[18:19]
; %bb.5350:                             ;   in Loop: Header=BB6_3598 Depth=2
	v_bfe_u32 v2, v10, 20, 1
	v_add_co_u32_e64 v2, s[18:19], v10, v2
	v_add_co_u32_e64 v14, s[18:19], -1, v2
; %bb.5351:                             ;   in Loop: Header=BB6_3598 Depth=2
	s_or_b64 exec, exec, s[90:91]
	v_add_u32_e32 v2, 0xffffff81, v49
	v_mov_b32_e32 v11, 0xffffff82
	v_cndmask_b32_e32 v2, v2, v11, vcc
	v_lshrrev_b32_e32 v11, 23, v10
	v_add3_u32 v49, v43, v2, v11
	v_add_u32_e32 v15, 6, v49
	v_and_b32_e32 v2, 0xfffff, v14
	v_add_u32_e32 v2, v2, v10
	v_cmp_ne_u32_e32 vcc, 0, v15
                                        ; implicit-def: $vgpr10_vgpr11
                                        ; implicit-def: $vgpr14
	s_and_saveexec_b64 s[18:19], vcc
	s_xor_b64 s[18:19], exec, s[18:19]
; %bb.5352:                             ;   in Loop: Header=BB6_3598 Depth=2
	v_cmp_lt_u64_e32 vcc, s[58:59], v[2:3]
	v_add_u32_e32 v10, 7, v49
	v_cndmask_b32_e32 v14, v15, v10, vcc
	v_cndmask_b32_e64 v10, 0, 1, vcc
	v_lshrrev_b64 v[10:11], v10, v[2:3]
; %bb.5353:                             ;   in Loop: Header=BB6_3598 Depth=2
	s_andn2_saveexec_b64 s[18:19], s[18:19]
; %bb.5354:                             ;   in Loop: Header=BB6_3598 Depth=2
	v_mov_b32_e32 v11, v3
	v_bfe_u32 v14, v2, 23, 1
	v_mov_b32_e32 v10, v2
; %bb.5355:                             ;   in Loop: Header=BB6_3598 Depth=2
	s_or_b64 exec, exec, s[18:19]
	v_lshrrev_b64 v[10:11], 20, v[10:11]
	v_cmp_gt_i32_e32 vcc, 16, v14
	v_cndmask_b32_e32 v11, 0, v11, vcc
	v_cndmask_b32_e32 v10, 7, v10, vcc
	v_min_i32_e32 v2, 15, v14
	v_cmp_eq_u64_e64 s[18:19], 0, v[10:11]
	v_lshlrev_b32_e32 v2, 3, v2
	v_cmp_eq_u32_e32 vcc, 0, v14
	v_and_b32_e32 v2, 0xf8, v2
	v_and_or_b32 v2, v10, 7, v2
	s_and_b64 s[18:19], vcc, s[18:19]
	v_cndmask_b32_e64 v2, v2, 0, s[18:19]
	v_or_b32_e32 v14, v2, v41
.LBB6_5356:                             ;   in Loop: Header=BB6_3598 Depth=2
	s_or_b64 exec, exec, s[88:89]
                                        ; implicit-def: $vgpr41
.LBB6_5357:                             ;   in Loop: Header=BB6_3598 Depth=2
	s_andn2_saveexec_b64 s[18:19], s[78:79]
; %bb.5358:                             ;   in Loop: Header=BB6_3598 Depth=2
	v_or_b32_e32 v14, 0x7e, v41
; %bb.5359:                             ;   in Loop: Header=BB6_3598 Depth=2
	s_or_b64 exec, exec, s[18:19]
                                        ; implicit-def: $vgpr10
.LBB6_5360:                             ;   in Loop: Header=BB6_3598 Depth=2
	s_andn2_saveexec_b64 s[18:19], s[76:77]
; %bb.5361:                             ;   in Loop: Header=BB6_3598 Depth=2
	v_or_b32_sdwa v14, v10, s50 dst_sel:DWORD dst_unused:UNUSED_PAD src0_sel:BYTE_3 src1_sel:DWORD
; %bb.5362:                             ;   in Loop: Header=BB6_3598 Depth=2
	s_or_b64 exec, exec, s[18:19]
	v_cmp_lt_u64_e32 vcc, s[60:61], v[16:17]
	v_mov_b32_e32 v10, 0
	v_mov_b32_e32 v11, 0
	s_and_saveexec_b64 s[18:19], vcc
	s_cbranch_execz .LBB6_5368
; %bb.5363:                             ;   in Loop: Header=BB6_3598 Depth=2
	v_lshrrev_b32_e32 v2, 24, v17
	v_cmp_ne_u32_e32 vcc, s49, v2
	v_bfrev_b32_e32 v11, 1
	s_and_saveexec_b64 s[76:77], vcc
	s_cbranch_execz .LBB6_5367
; %bb.5364:                             ;   in Loop: Header=BB6_3598 Depth=2
	v_bfe_u32 v15, v17, 24, 7
	v_cmp_ne_u32_e32 vcc, s50, v15
	v_mov_b32_e32 v11, 0x7f800001
	s_and_saveexec_b64 s[78:79], vcc
	s_cbranch_execz .LBB6_5366
; %bb.5365:                             ;   in Loop: Header=BB6_3598 Depth=2
	v_and_b32_e32 v11, 7, v2
	v_lshrrev_b32_e32 v17, 3, v15
	v_cmp_gt_u32_e32 vcc, 8, v15
	v_ffbh_u32_e32 v15, v11
	v_min_u32_e32 v32, 32, v15
	v_subrev_u32_e32 v15, 28, v32
	v_lshlrev_b64 v[15:16], v15, v[2:3]
	v_sub_u32_e32 v16, 29, v32
	v_and_b32_e32 v15, 7, v15
	v_cndmask_b32_e32 v16, v17, v16, vcc
	v_cndmask_b32_e32 v11, v11, v15, vcc
	v_lshlrev_b32_e32 v2, 24, v2
	v_lshlrev_b32_e32 v11, 20, v11
	v_and_b32_e32 v2, 0x80000000, v2
	v_lshl_add_u32 v15, v16, 23, v57
	v_or3_b32 v11, v2, v15, v11
.LBB6_5366:                             ;   in Loop: Header=BB6_3598 Depth=2
	s_or_b64 exec, exec, s[78:79]
.LBB6_5367:                             ;   in Loop: Header=BB6_3598 Depth=2
	s_or_b64 exec, exec, s[76:77]
.LBB6_5368:                             ;   in Loop: Header=BB6_3598 Depth=2
	s_or_b64 exec, exec, s[18:19]
	v_cmp_lt_u64_e32 vcc, s[60:61], v[12:13]
	s_and_saveexec_b64 s[18:19], vcc
	s_cbranch_execz .LBB6_5374
; %bb.5369:                             ;   in Loop: Header=BB6_3598 Depth=2
	v_lshrrev_b32_e32 v2, 24, v13
	v_cmp_ne_u32_e32 vcc, s49, v2
	v_bfrev_b32_e32 v10, 1
	s_and_saveexec_b64 s[76:77], vcc
	s_cbranch_execz .LBB6_5373
; %bb.5370:                             ;   in Loop: Header=BB6_3598 Depth=2
	v_bfe_u32 v12, v13, 24, 7
	v_cmp_ne_u32_e32 vcc, s50, v12
	v_mov_b32_e32 v10, 0x7f800001
	s_and_saveexec_b64 s[78:79], vcc
	s_cbranch_execz .LBB6_5372
; %bb.5371:                             ;   in Loop: Header=BB6_3598 Depth=2
	v_and_b32_e32 v10, 7, v2
	v_lshrrev_b32_e32 v15, 3, v12
	v_cmp_gt_u32_e32 vcc, 8, v12
	v_ffbh_u32_e32 v12, v10
	v_min_u32_e32 v16, 32, v12
	v_subrev_u32_e32 v12, 28, v16
	v_lshlrev_b64 v[12:13], v12, v[2:3]
	v_sub_u32_e32 v13, 29, v16
	v_and_b32_e32 v12, 7, v12
	v_cndmask_b32_e32 v13, v15, v13, vcc
	v_cndmask_b32_e32 v10, v10, v12, vcc
	v_lshlrev_b32_e32 v2, 24, v2
	v_lshlrev_b32_e32 v10, 20, v10
	v_and_b32_e32 v2, 0x80000000, v2
	v_lshl_add_u32 v12, v13, 23, v57
	v_or3_b32 v10, v2, v12, v10
.LBB6_5372:                             ;   in Loop: Header=BB6_3598 Depth=2
	s_or_b64 exec, exec, s[78:79]
.LBB6_5373:                             ;   in Loop: Header=BB6_3598 Depth=2
	s_or_b64 exec, exec, s[76:77]
.LBB6_5374:                             ;   in Loop: Header=BB6_3598 Depth=2
	s_or_b64 exec, exec, s[18:19]
	v_add_f32_e32 v10, v11, v10
	v_and_b32_e32 v2, 0x7f800000, v10
	v_cmp_ne_u64_e32 vcc, s[46:47], v[2:3]
                                        ; implicit-def: $vgpr2
	s_and_saveexec_b64 s[18:19], vcc
	s_xor_b64 s[76:77], exec, s[18:19]
	s_cbranch_execz .LBB6_5388
; %bb.5375:                             ;   in Loop: Header=BB6_3598 Depth=2
	v_and_b32_e32 v2, 0x7fffffff, v10
	v_cmp_gt_u64_e32 vcc, s[56:57], v[2:3]
	v_and_b32_sdwa v13, v10, s49 dst_sel:DWORD dst_unused:UNUSED_PAD src0_sel:BYTE_3 src1_sel:DWORD
                                        ; implicit-def: $vgpr2
	s_and_saveexec_b64 s[18:19], vcc
	s_xor_b64 s[78:79], exec, s[18:19]
	s_cbranch_execz .LBB6_5385
; %bb.5376:                             ;   in Loop: Header=BB6_3598 Depth=2
	v_mov_b32_e32 v2, 0
	v_cmp_ne_u32_e32 vcc, 0, v10
	s_and_saveexec_b64 s[88:89], vcc
	s_cbranch_execz .LBB6_5384
; %bb.5377:                             ;   in Loop: Header=BB6_3598 Depth=2
	v_bfe_u32 v15, v10, 23, 8
	v_and_b32_e32 v2, 0x7fffff, v10
	v_cmp_gt_u32_e64 s[18:19], s51, v15
	v_sub_u32_e32 v10, 0x79, v15
	v_cmp_eq_u32_e32 vcc, 0, v15
	v_cndmask_b32_e64 v10, 0, v10, s[18:19]
	v_mov_b32_e32 v12, 0x78
	v_cndmask_b32_e32 v16, v10, v12, vcc
	v_or_b32_e32 v11, 0x800000, v2
	v_add_u32_e32 v10, 20, v16
	v_cndmask_b32_e32 v2, v11, v2, vcc
	v_lshlrev_b64 v[10:11], v10, -1
	v_add_u32_e32 v12, 19, v16
	v_lshlrev_b64 v[32:33], v12, 1
	v_bfi_b32 v11, v11, 0, 0
	v_bfi_b32 v10, v10, 0, v2
	v_cmp_eq_u64_e64 s[18:19], v[10:11], v[32:33]
	v_lshrrev_b64 v[10:11], v16, v[2:3]
	v_mov_b32_e32 v12, v11
	v_mov_b32_e32 v11, v10
	s_and_saveexec_b64 s[90:91], s[18:19]
; %bb.5378:                             ;   in Loop: Header=BB6_3598 Depth=2
	v_bfe_u32 v2, v10, 20, 1
	v_add_co_u32_e64 v2, s[18:19], v10, v2
	v_add_co_u32_e64 v11, s[18:19], -1, v2
; %bb.5379:                             ;   in Loop: Header=BB6_3598 Depth=2
	s_or_b64 exec, exec, s[90:91]
	v_add_u32_e32 v2, 0xffffff81, v15
	v_mov_b32_e32 v12, 0xffffff82
	v_cndmask_b32_e32 v2, v2, v12, vcc
	v_lshrrev_b32_e32 v12, 23, v10
	v_add3_u32 v16, v16, v2, v12
	v_add_u32_e32 v15, 6, v16
	v_and_b32_e32 v2, 0xfffff, v11
	v_add_u32_e32 v2, v2, v10
	v_cmp_ne_u32_e32 vcc, 0, v15
                                        ; implicit-def: $vgpr10_vgpr11
                                        ; implicit-def: $vgpr12
	s_and_saveexec_b64 s[18:19], vcc
	s_xor_b64 s[18:19], exec, s[18:19]
; %bb.5380:                             ;   in Loop: Header=BB6_3598 Depth=2
	v_cmp_lt_u64_e32 vcc, s[58:59], v[2:3]
	v_add_u32_e32 v10, 7, v16
	v_cndmask_b32_e32 v12, v15, v10, vcc
	v_cndmask_b32_e64 v10, 0, 1, vcc
	v_lshrrev_b64 v[10:11], v10, v[2:3]
; %bb.5381:                             ;   in Loop: Header=BB6_3598 Depth=2
	s_andn2_saveexec_b64 s[18:19], s[18:19]
; %bb.5382:                             ;   in Loop: Header=BB6_3598 Depth=2
	v_mov_b32_e32 v11, v3
	v_bfe_u32 v12, v2, 23, 1
	v_mov_b32_e32 v10, v2
; %bb.5383:                             ;   in Loop: Header=BB6_3598 Depth=2
	s_or_b64 exec, exec, s[18:19]
	v_lshrrev_b64 v[10:11], 20, v[10:11]
	v_cmp_gt_i32_e32 vcc, 16, v12
	v_cndmask_b32_e32 v11, 0, v11, vcc
	v_cndmask_b32_e32 v10, 7, v10, vcc
	v_min_i32_e32 v2, 15, v12
	v_cmp_eq_u64_e64 s[18:19], 0, v[10:11]
	v_lshlrev_b32_e32 v2, 3, v2
	v_cmp_eq_u32_e32 vcc, 0, v12
	v_and_b32_e32 v2, 0xf8, v2
	v_and_or_b32 v2, v10, 7, v2
	s_and_b64 s[18:19], vcc, s[18:19]
	v_cndmask_b32_e64 v2, v2, 0, s[18:19]
	v_or_b32_e32 v2, v2, v13
.LBB6_5384:                             ;   in Loop: Header=BB6_3598 Depth=2
	s_or_b64 exec, exec, s[88:89]
                                        ; implicit-def: $vgpr13
.LBB6_5385:                             ;   in Loop: Header=BB6_3598 Depth=2
	s_andn2_saveexec_b64 s[18:19], s[78:79]
; %bb.5386:                             ;   in Loop: Header=BB6_3598 Depth=2
	v_or_b32_e32 v2, 0x7e, v13
; %bb.5387:                             ;   in Loop: Header=BB6_3598 Depth=2
	s_or_b64 exec, exec, s[18:19]
                                        ; implicit-def: $vgpr10
.LBB6_5388:                             ;   in Loop: Header=BB6_3598 Depth=2
	s_andn2_saveexec_b64 s[18:19], s[76:77]
	s_cbranch_execz .LBB6_3597
; %bb.5389:                             ;   in Loop: Header=BB6_3598 Depth=2
	v_or_b32_sdwa v2, v10, s50 dst_sel:DWORD dst_unused:UNUSED_PAD src0_sel:BYTE_3 src1_sel:DWORD
	s_branch .LBB6_3597
.LBB6_5390:                             ;   in Loop: Header=BB6_3523 Depth=1
	s_or_b64 exec, exec, s[74:75]
	buffer_load_dword v45, off, s[0:3], s33 offset:276 ; 4-byte Folded Reload
	buffer_load_dword v38, off, s[0:3], s33 offset:280 ; 4-byte Folded Reload
	;; [unrolled: 1-line block ×19, first 2 shown]
	v_mov_b32_e32 v40, 0x7f800001
	v_bfrev_b32_e32 v41, 1
.LBB6_5391:                             ;   in Loop: Header=BB6_3523 Depth=1
	s_or_b64 exec, exec, s[20:21]
	s_waitcnt vmcnt(0)
	v_and_b32_e32 v1, 0x3ffff000, v44
	v_cmp_ne_u32_e32 vcc, v44, v1
	s_mov_b64 s[18:19], 0
	v_mov_b32_e32 v9, 0
                                        ; implicit-def: $vgpr6
                                        ; implicit-def: $vgpr2
                                        ; implicit-def: $vgpr0
	s_and_saveexec_b64 s[74:75], vcc
	s_cbranch_execz .LBB6_5847
; %bb.5392:                             ;   in Loop: Header=BB6_3523 Depth=1
	buffer_load_dword v4, off, s[0:3], s33 offset:348 ; 4-byte Folded Reload
	v_lshlrev_b32_e32 v0, 6, v60
	v_and_b32_e32 v2, 0xfff, v44
	v_and_b32_e32 v6, 0x3ff, v44
	v_cmp_lt_u32_e32 vcc, 15, v6
	s_waitcnt vmcnt(0)
	v_sub_u32_e32 v0, v4, v0
	v_ashrrev_i32_e32 v4, 31, v0
	v_lshrrev_b32_e32 v4, 26, v4
	v_add_u32_e32 v4, v0, v4
	v_ashrrev_i32_e32 v5, 6, v4
	v_and_b32_e32 v4, 0xffffffc0, v4
	v_sub_u32_e32 v4, v0, v4
	v_lshlrev_b32_e32 v0, 4, v4
	v_lshl_add_u32 v0, v5, 10, v0
	v_sub_u32_e32 v7, v2, v0
	v_bfe_u32 v2, v44, 10, 2
	v_addc_co_u32_e64 v2, s[18:19], 0, v2, vcc
	v_sub_u32_e32 v5, v2, v5
	v_cmp_lt_i32_e64 s[18:19], 15, v7
	s_and_saveexec_b64 s[76:77], s[18:19]
	s_cbranch_execz .LBB6_5844
; %bb.5393:                             ;   in Loop: Header=BB6_3523 Depth=1
	s_trap 2
	ds_read_b64 v[8:9], v0
	v_add_u32_e32 v2, v0, v1
	v_ashrrev_i32_e32 v10, 31, v2
	v_add_co_u32_e64 v0, s[18:19], v2, v61
	v_addc_co_u32_e64 v1, s[18:19], v10, v62, s[18:19]
	s_waitcnt lgkmcnt(0)
	v_add_co_u32_e64 v18, s[18:19], v8, v2
	v_addc_co_u32_e64 v19, s[18:19], v9, v10, s[18:19]
	v_add_co_u32_e64 v20, s[18:19], v2, v58
	v_addc_co_u32_e64 v21, s[18:19], v10, v59, s[18:19]
	s_mov_b64 s[78:79], 0
	s_branch .LBB6_5395
.LBB6_5394:                             ;   in Loop: Header=BB6_5395 Depth=2
	s_or_b64 exec, exec, s[18:19]
	v_lshl_or_b32 v10, v28, 8, v25
	v_lshlrev_b32_e32 v11, 16, v24
	v_lshlrev_b32_e32 v12, 24, v29
	v_or3_b32 v10, v10, v11, v12
	v_lshl_or_b32 v8, v9, 8, v8
	v_lshlrev_b32_e32 v9, 16, v26
	v_lshlrev_b32_e32 v11, 24, v27
	v_or3_b32 v9, v8, v9, v11
	;; [unrolled: 4-line block ×3, first 2 shown]
	v_lshlrev_b32_e32 v2, 24, v2
	v_lshlrev_b32_e32 v8, 16, v14
	v_lshl_or_b32 v12, v23, 8, v22
	v_or3_b32 v12, v12, v8, v2
	buffer_load_dword v2, off, s[0:3], s33 offset:84 ; 4-byte Folded Reload
	v_add_co_u32_e64 v0, s[18:19], v0, v52
	v_addc_co_u32_e64 v1, s[18:19], 0, v1, s[18:19]
	v_add_co_u32_e64 v18, s[18:19], v18, v52
	v_addc_co_u32_e64 v19, s[18:19], 0, v19, s[18:19]
	global_store_dwordx4 v[20:21], v[9:12], off glc slc
	v_add_co_u32_e64 v20, s[18:19], v20, v52
	v_addc_co_u32_e64 v21, s[18:19], 0, v21, s[18:19]
	v_sub_u32_e32 v7, v7, v52
	v_cmp_gt_i32_e64 s[18:19], 16, v7
	s_or_b64 s[78:79], s[18:19], s[78:79]
	s_waitcnt vmcnt(1)
	v_sub_u32_e32 v5, v5, v2
	s_andn2_b64 exec, exec, s[78:79]
	s_cbranch_execz .LBB6_5843
.LBB6_5395:                             ;   Parent Loop BB6_3523 Depth=1
                                        ; =>  This Inner Loop Header: Depth=2
	global_load_dwordx4 v[14:17], v[0:1], off glc slc
	global_load_dwordx4 v[10:13], v[18:19], off glc slc
	v_mov_b32_e32 v2, 0
	s_waitcnt vmcnt(1)
	v_cmp_ne_u16_sdwa s[18:19], v14, v3 src0_sel:BYTE_0 src1_sel:DWORD
	s_and_saveexec_b64 s[20:21], s[18:19]
	s_cbranch_execz .LBB6_5401
; %bb.5396:                             ;   in Loop: Header=BB6_5395 Depth=2
	v_cmp_ne_u16_sdwa s[18:19], v14, s49 src0_sel:BYTE_0 src1_sel:DWORD
	v_bfrev_b32_e32 v2, 1
	s_and_saveexec_b64 s[88:89], s[18:19]
	s_cbranch_execz .LBB6_5400
; %bb.5397:                             ;   in Loop: Header=BB6_5395 Depth=2
	v_and_b32_e32 v8, 0x7f, v14
	v_cmp_ne_u32_e64 s[18:19], s50, v8
	v_mov_b32_e32 v2, 0x7f800001
	s_and_saveexec_b64 s[90:91], s[18:19]
	s_cbranch_execz .LBB6_5399
; %bb.5398:                             ;   in Loop: Header=BB6_5395 Depth=2
	v_and_b32_e32 v2, 7, v14
	v_ffbh_u32_e32 v2, v2
	v_min_u32_e32 v2, 32, v2
	v_lshrrev_b32_e32 v9, 3, v8
	v_cmp_gt_u32_e64 s[18:19], 8, v8
	v_subrev_u32_e32 v8, 28, v2
	v_sub_u32_e32 v2, 29, v2
	v_cndmask_b32_e64 v8, 0, v8, s[18:19]
	v_cndmask_b32_e64 v2, v9, v2, s[18:19]
	v_lshlrev_b64 v[8:9], v8, v[14:15]
	v_lshlrev_b32_e32 v9, 24, v14
	v_lshlrev_b32_e32 v8, 20, v8
	v_and_b32_e32 v8, 0x700000, v8
	v_and_b32_e32 v9, 0x80000000, v9
	v_lshl_add_u32 v2, v2, 23, v57
	v_or3_b32 v2, v9, v2, v8
.LBB6_5399:                             ;   in Loop: Header=BB6_5395 Depth=2
	s_or_b64 exec, exec, s[90:91]
.LBB6_5400:                             ;   in Loop: Header=BB6_5395 Depth=2
	s_or_b64 exec, exec, s[88:89]
.LBB6_5401:                             ;   in Loop: Header=BB6_5395 Depth=2
	s_or_b64 exec, exec, s[20:21]
	s_waitcnt vmcnt(0)
	v_cmp_gt_i16_sdwa s[20:21], v10, s50 src0_sel:BYTE_0 src1_sel:DWORD
	s_mov_b64 s[18:19], 0
	s_and_saveexec_b64 s[88:89], s[20:21]
	s_xor_b64 s[20:21], exec, s[88:89]
	s_cbranch_execz .LBB6_5823
; %bb.5402:                             ;   in Loop: Header=BB6_5395 Depth=2
	v_cmp_eq_u16_sdwa s[90:91], v10, s49 src0_sel:BYTE_0 src1_sel:DWORD
	s_mov_b64 s[18:19], -1
	s_and_saveexec_b64 s[88:89], s[90:91]
; %bb.5403:                             ;   in Loop: Header=BB6_5395 Depth=2
	s_xor_b64 s[18:19], exec, -1
; %bb.5404:                             ;   in Loop: Header=BB6_5395 Depth=2
	s_or_b64 exec, exec, s[88:89]
	s_and_b64 s[18:19], s[18:19], exec
	s_or_saveexec_b64 s[20:21], s[20:21]
	v_bfrev_b32_e32 v8, 1
	s_xor_b64 exec, exec, s[20:21]
	s_cbranch_execnz .LBB6_5824
.LBB6_5405:                             ;   in Loop: Header=BB6_5395 Depth=2
	s_or_b64 exec, exec, s[20:21]
	s_and_saveexec_b64 s[20:21], s[18:19]
	s_cbranch_execz .LBB6_5407
.LBB6_5406:                             ;   in Loop: Header=BB6_5395 Depth=2
	v_and_b32_e32 v8, 7, v10
	v_ffbh_u32_e32 v8, v8
	v_and_b32_e32 v22, 0x7f, v10
	v_min_u32_e32 v8, 32, v8
	v_bfe_u32 v9, v10, 3, 4
	v_subrev_u32_e32 v23, 28, v8
	v_sub_u32_e32 v8, 29, v8
	v_cmp_gt_u32_e64 s[18:19], 8, v22
	v_cndmask_b32_e64 v24, v9, v8, s[18:19]
	v_cndmask_b32_e64 v8, 0, v23, s[18:19]
	v_lshlrev_b64 v[8:9], v8, v[10:11]
	v_lshlrev_b32_e32 v9, 24, v10
	v_lshlrev_b32_e32 v8, 20, v8
	v_and_b32_e32 v8, 0x700000, v8
	v_and_b32_e32 v9, 0x80000000, v9
	v_lshl_add_u32 v23, v24, 23, v57
	v_or3_b32 v8, v9, v23, v8
	v_cmp_ne_u32_e64 s[18:19], s50, v22
	v_cndmask_b32_e64 v8, v40, v8, s[18:19]
.LBB6_5407:                             ;   in Loop: Header=BB6_5395 Depth=2
	s_or_b64 exec, exec, s[20:21]
	v_add_f32_e32 v22, v2, v8
	v_and_b32_e32 v2, 0x7f800000, v22
	v_cmp_ne_u64_e64 s[18:19], s[46:47], v[2:3]
                                        ; implicit-def: $vgpr8
	s_and_saveexec_b64 s[20:21], s[18:19]
	s_xor_b64 s[88:89], exec, s[20:21]
	s_cbranch_execz .LBB6_5421
; %bb.5408:                             ;   in Loop: Header=BB6_5395 Depth=2
	v_and_b32_e32 v2, 0x7fffffff, v22
	v_cmp_gt_u64_e64 s[18:19], s[56:57], v[2:3]
	v_and_b32_sdwa v9, v22, s49 dst_sel:DWORD dst_unused:UNUSED_PAD src0_sel:BYTE_3 src1_sel:DWORD
                                        ; implicit-def: $vgpr8
	s_and_saveexec_b64 s[20:21], s[18:19]
	s_xor_b64 s[90:91], exec, s[20:21]
	s_cbranch_execz .LBB6_5418
; %bb.5409:                             ;   in Loop: Header=BB6_5395 Depth=2
	v_mov_b32_e32 v8, 0
	v_cmp_ne_u32_e64 s[18:19], 0, v22
	s_and_saveexec_b64 s[92:93], s[18:19]
	s_cbranch_execz .LBB6_5417
; %bb.5410:                             ;   in Loop: Header=BB6_5395 Depth=2
	v_bfe_u32 v8, v22, 23, 8
	v_and_b32_e32 v2, 0x7fffff, v22
	v_cmp_gt_u32_e64 s[20:21], s51, v8
	v_sub_u32_e32 v22, 0x79, v8
	v_cmp_eq_u32_e64 s[18:19], 0, v8
	v_cndmask_b32_e64 v22, 0, v22, s[20:21]
	v_mov_b32_e32 v24, 0x78
	v_cndmask_b32_e64 v25, v22, v24, s[18:19]
	v_or_b32_e32 v23, 0x800000, v2
	v_add_u32_e32 v22, 20, v25
	v_cndmask_b32_e64 v2, v23, v2, s[18:19]
	v_lshlrev_b64 v[22:23], v22, -1
	v_add_u32_e32 v24, 19, v25
	v_lshlrev_b64 v[26:27], v24, 1
	v_bfi_b32 v23, v23, 0, 0
	v_bfi_b32 v22, v22, 0, v2
	v_cmp_eq_u64_e64 s[20:21], v[22:23], v[26:27]
	v_lshrrev_b64 v[22:23], v25, v[2:3]
	v_mov_b32_e32 v24, v23
	v_mov_b32_e32 v23, v22
	s_and_saveexec_b64 s[94:95], s[20:21]
; %bb.5411:                             ;   in Loop: Header=BB6_5395 Depth=2
	v_bfe_u32 v2, v22, 20, 1
	v_add_co_u32_e64 v2, s[20:21], v22, v2
	v_add_co_u32_e64 v23, s[20:21], -1, v2
; %bb.5412:                             ;   in Loop: Header=BB6_5395 Depth=2
	s_or_b64 exec, exec, s[94:95]
	v_add_u32_e32 v2, 0xffffff81, v8
	v_mov_b32_e32 v8, 0xffffff82
	v_cndmask_b32_e64 v2, v2, v8, s[18:19]
	v_lshrrev_b32_e32 v8, 23, v22
	v_add3_u32 v25, v25, v2, v8
	v_add_u32_e32 v24, 6, v25
	v_and_b32_e32 v2, 0xfffff, v23
	v_add_u32_e32 v2, v2, v22
	v_cmp_ne_u32_e64 s[18:19], 0, v24
                                        ; implicit-def: $vgpr22_vgpr23
                                        ; implicit-def: $vgpr8
	s_and_saveexec_b64 s[20:21], s[18:19]
	s_xor_b64 s[20:21], exec, s[20:21]
; %bb.5413:                             ;   in Loop: Header=BB6_5395 Depth=2
	v_cmp_lt_u64_e64 s[18:19], s[58:59], v[2:3]
	v_add_u32_e32 v8, 7, v25
	v_cndmask_b32_e64 v22, 0, 1, s[18:19]
	v_cndmask_b32_e64 v8, v24, v8, s[18:19]
	v_lshrrev_b64 v[22:23], v22, v[2:3]
; %bb.5414:                             ;   in Loop: Header=BB6_5395 Depth=2
	s_andn2_saveexec_b64 s[18:19], s[20:21]
; %bb.5415:                             ;   in Loop: Header=BB6_5395 Depth=2
	v_mov_b32_e32 v23, v3
	v_bfe_u32 v8, v2, 23, 1
	v_mov_b32_e32 v22, v2
; %bb.5416:                             ;   in Loop: Header=BB6_5395 Depth=2
	s_or_b64 exec, exec, s[18:19]
	v_lshrrev_b64 v[22:23], 20, v[22:23]
	v_cmp_gt_i32_e64 s[18:19], 16, v8
	v_cndmask_b32_e64 v23, 0, v23, s[18:19]
	v_cndmask_b32_e64 v22, 7, v22, s[18:19]
	v_min_i32_e32 v2, 15, v8
	v_cmp_eq_u64_e64 s[20:21], 0, v[22:23]
	v_lshlrev_b32_e32 v2, 3, v2
	v_cmp_eq_u32_e64 s[18:19], 0, v8
	v_and_b32_e32 v2, 0xf8, v2
	v_and_or_b32 v2, v22, 7, v2
	s_and_b64 s[18:19], s[18:19], s[20:21]
	v_cndmask_b32_e64 v2, v2, 0, s[18:19]
	v_or_b32_e32 v8, v2, v9
.LBB6_5417:                             ;   in Loop: Header=BB6_5395 Depth=2
	s_or_b64 exec, exec, s[92:93]
                                        ; implicit-def: $vgpr9
.LBB6_5418:                             ;   in Loop: Header=BB6_5395 Depth=2
	s_andn2_saveexec_b64 s[18:19], s[90:91]
; %bb.5419:                             ;   in Loop: Header=BB6_5395 Depth=2
	v_or_b32_e32 v8, 0x7e, v9
; %bb.5420:                             ;   in Loop: Header=BB6_5395 Depth=2
	s_or_b64 exec, exec, s[18:19]
                                        ; implicit-def: $vgpr22
.LBB6_5421:                             ;   in Loop: Header=BB6_5395 Depth=2
	s_andn2_saveexec_b64 s[18:19], s[88:89]
; %bb.5422:                             ;   in Loop: Header=BB6_5395 Depth=2
	v_or_b32_sdwa v8, v22, s50 dst_sel:DWORD dst_unused:UNUSED_PAD src0_sel:BYTE_3 src1_sel:DWORD
; %bb.5423:                             ;   in Loop: Header=BB6_5395 Depth=2
	s_or_b64 exec, exec, s[18:19]
	v_lshrrev_b16_e32 v2, 8, v14
	v_cmp_ne_u16_e64 s[18:19], 0, v2
	v_mov_b32_e32 v9, 0
	s_and_saveexec_b64 s[20:21], s[18:19]
	s_cbranch_execz .LBB6_5429
; %bb.5424:                             ;   in Loop: Header=BB6_5395 Depth=2
	v_cmp_ne_u16_e64 s[18:19], s49, v2
	v_bfrev_b32_e32 v9, 1
	s_and_saveexec_b64 s[88:89], s[18:19]
	s_cbranch_execz .LBB6_5428
; %bb.5425:                             ;   in Loop: Header=BB6_5395 Depth=2
	v_and_b32_e32 v22, 0x7f, v2
	v_cmp_ne_u32_e64 s[18:19], s50, v22
	v_mov_b32_e32 v9, 0x7f800001
	s_and_saveexec_b64 s[90:91], s[18:19]
	s_cbranch_execz .LBB6_5427
; %bb.5426:                             ;   in Loop: Header=BB6_5395 Depth=2
	v_and_b32_e32 v9, 7, v2
	v_lshrrev_b32_e32 v24, 3, v22
	v_cmp_gt_u32_e64 s[18:19], 8, v22
	v_ffbh_u32_e32 v22, v9
	v_min_u32_e32 v25, 32, v22
	v_subrev_u32_e32 v22, 28, v25
	v_lshlrev_b64 v[22:23], v22, v[2:3]
	v_sub_u32_e32 v2, 29, v25
	v_and_b32_e32 v22, 7, v22
	v_cndmask_b32_e64 v2, v24, v2, s[18:19]
	v_cndmask_b32_e64 v9, v9, v22, s[18:19]
	v_lshlrev_b32_e32 v22, 16, v14
	v_lshlrev_b32_e32 v9, 20, v9
	v_and_b32_e32 v22, 0x80000000, v22
	v_lshl_add_u32 v2, v2, 23, v57
	v_or3_b32 v9, v22, v2, v9
.LBB6_5427:                             ;   in Loop: Header=BB6_5395 Depth=2
	s_or_b64 exec, exec, s[90:91]
.LBB6_5428:                             ;   in Loop: Header=BB6_5395 Depth=2
	s_or_b64 exec, exec, s[88:89]
.LBB6_5429:                             ;   in Loop: Header=BB6_5395 Depth=2
	s_or_b64 exec, exec, s[20:21]
	v_lshrrev_b16_e32 v2, 8, v10
	v_cmp_lt_i16_e64 s[18:19], s50, v2
	s_mov_b64 s[20:21], 0
	s_and_saveexec_b64 s[88:89], s[18:19]
	s_xor_b64 s[88:89], exec, s[88:89]
	s_cbranch_execz .LBB6_5825
; %bb.5430:                             ;   in Loop: Header=BB6_5395 Depth=2
	v_cmp_eq_u16_e64 s[18:19], s49, v2
	s_mov_b64 s[20:21], -1
	s_and_saveexec_b64 s[90:91], s[18:19]
; %bb.5431:                             ;   in Loop: Header=BB6_5395 Depth=2
	s_xor_b64 s[20:21], exec, -1
; %bb.5432:                             ;   in Loop: Header=BB6_5395 Depth=2
	s_or_b64 exec, exec, s[90:91]
	s_and_b64 s[20:21], s[20:21], exec
	s_or_saveexec_b64 s[88:89], s[88:89]
	v_bfrev_b32_e32 v22, 1
	s_xor_b64 exec, exec, s[88:89]
	s_cbranch_execnz .LBB6_5826
.LBB6_5433:                             ;   in Loop: Header=BB6_5395 Depth=2
	s_or_b64 exec, exec, s[88:89]
	s_and_saveexec_b64 s[88:89], s[20:21]
	s_cbranch_execz .LBB6_5435
.LBB6_5434:                             ;   in Loop: Header=BB6_5395 Depth=2
	v_and_b32_e32 v24, 7, v2
	v_ffbh_u32_e32 v22, v24
	v_min_u32_e32 v27, 32, v22
	v_subrev_u32_e32 v22, 28, v27
	v_lshlrev_b64 v[22:23], v22, v[2:3]
	v_and_b32_e32 v25, 0x7f, v2
	v_bfe_u32 v26, v2, 3, 4
	v_sub_u32_e32 v23, 29, v27
	v_and_b32_e32 v22, 7, v22
	v_cmp_gt_u32_e64 s[18:19], 8, v25
	v_cndmask_b32_e64 v23, v26, v23, s[18:19]
	v_cndmask_b32_e64 v22, v24, v22, s[18:19]
	v_lshlrev_b32_e32 v2, 24, v2
	v_lshlrev_b32_e32 v22, 20, v22
	v_and_b32_e32 v2, 0x80000000, v2
	v_lshl_add_u32 v23, v23, 23, v57
	v_or3_b32 v2, v2, v23, v22
	v_cmp_ne_u32_e64 s[18:19], s50, v25
	v_cndmask_b32_e64 v22, v40, v2, s[18:19]
.LBB6_5435:                             ;   in Loop: Header=BB6_5395 Depth=2
	s_or_b64 exec, exec, s[88:89]
	v_add_f32_e32 v22, v9, v22
	v_and_b32_e32 v2, 0x7f800000, v22
	v_cmp_ne_u64_e64 s[18:19], s[46:47], v[2:3]
                                        ; implicit-def: $vgpr9
	s_and_saveexec_b64 s[20:21], s[18:19]
	s_xor_b64 s[88:89], exec, s[20:21]
	s_cbranch_execz .LBB6_5449
; %bb.5436:                             ;   in Loop: Header=BB6_5395 Depth=2
	v_and_b32_e32 v2, 0x7fffffff, v22
	v_cmp_gt_u64_e64 s[18:19], s[56:57], v[2:3]
	v_and_b32_sdwa v25, v22, s49 dst_sel:DWORD dst_unused:UNUSED_PAD src0_sel:BYTE_3 src1_sel:DWORD
                                        ; implicit-def: $vgpr9
	s_and_saveexec_b64 s[20:21], s[18:19]
	s_xor_b64 s[90:91], exec, s[20:21]
	s_cbranch_execz .LBB6_5446
; %bb.5437:                             ;   in Loop: Header=BB6_5395 Depth=2
	v_mov_b32_e32 v9, 0
	v_cmp_ne_u32_e64 s[18:19], 0, v22
	s_and_saveexec_b64 s[92:93], s[18:19]
	s_cbranch_execz .LBB6_5445
; %bb.5438:                             ;   in Loop: Header=BB6_5395 Depth=2
	v_bfe_u32 v9, v22, 23, 8
	v_and_b32_e32 v2, 0x7fffff, v22
	v_cmp_gt_u32_e64 s[20:21], s51, v9
	v_sub_u32_e32 v22, 0x79, v9
	v_cmp_eq_u32_e64 s[18:19], 0, v9
	v_cndmask_b32_e64 v22, 0, v22, s[20:21]
	v_mov_b32_e32 v24, 0x78
	v_cndmask_b32_e64 v26, v22, v24, s[18:19]
	v_or_b32_e32 v23, 0x800000, v2
	v_add_u32_e32 v22, 20, v26
	v_cndmask_b32_e64 v2, v23, v2, s[18:19]
	v_lshlrev_b64 v[22:23], v22, -1
	v_add_u32_e32 v24, 19, v26
	v_lshlrev_b64 v[27:28], v24, 1
	v_bfi_b32 v23, v23, 0, 0
	v_bfi_b32 v22, v22, 0, v2
	v_cmp_eq_u64_e64 s[20:21], v[22:23], v[27:28]
	v_lshrrev_b64 v[22:23], v26, v[2:3]
	v_mov_b32_e32 v24, v23
	v_mov_b32_e32 v23, v22
	s_and_saveexec_b64 s[94:95], s[20:21]
; %bb.5439:                             ;   in Loop: Header=BB6_5395 Depth=2
	v_bfe_u32 v2, v22, 20, 1
	v_add_co_u32_e64 v2, s[20:21], v22, v2
	v_add_co_u32_e64 v23, s[20:21], -1, v2
; %bb.5440:                             ;   in Loop: Header=BB6_5395 Depth=2
	s_or_b64 exec, exec, s[94:95]
	v_add_u32_e32 v2, 0xffffff81, v9
	v_mov_b32_e32 v9, 0xffffff82
	v_cndmask_b32_e64 v2, v2, v9, s[18:19]
	v_lshrrev_b32_e32 v9, 23, v22
	v_add3_u32 v26, v26, v2, v9
	v_add_u32_e32 v24, 6, v26
	v_and_b32_e32 v2, 0xfffff, v23
	v_add_u32_e32 v2, v2, v22
	v_cmp_ne_u32_e64 s[18:19], 0, v24
                                        ; implicit-def: $vgpr22_vgpr23
                                        ; implicit-def: $vgpr9
	s_and_saveexec_b64 s[20:21], s[18:19]
	s_xor_b64 s[20:21], exec, s[20:21]
; %bb.5441:                             ;   in Loop: Header=BB6_5395 Depth=2
	v_cmp_lt_u64_e64 s[18:19], s[58:59], v[2:3]
	v_add_u32_e32 v9, 7, v26
	v_cndmask_b32_e64 v22, 0, 1, s[18:19]
	v_cndmask_b32_e64 v9, v24, v9, s[18:19]
	v_lshrrev_b64 v[22:23], v22, v[2:3]
; %bb.5442:                             ;   in Loop: Header=BB6_5395 Depth=2
	s_andn2_saveexec_b64 s[18:19], s[20:21]
; %bb.5443:                             ;   in Loop: Header=BB6_5395 Depth=2
	v_mov_b32_e32 v23, v3
	v_bfe_u32 v9, v2, 23, 1
	v_mov_b32_e32 v22, v2
; %bb.5444:                             ;   in Loop: Header=BB6_5395 Depth=2
	s_or_b64 exec, exec, s[18:19]
	v_lshrrev_b64 v[22:23], 20, v[22:23]
	v_cmp_gt_i32_e64 s[18:19], 16, v9
	v_cndmask_b32_e64 v23, 0, v23, s[18:19]
	v_cndmask_b32_e64 v22, 7, v22, s[18:19]
	v_min_i32_e32 v2, 15, v9
	v_cmp_eq_u64_e64 s[20:21], 0, v[22:23]
	v_lshlrev_b32_e32 v2, 3, v2
	v_cmp_eq_u32_e64 s[18:19], 0, v9
	v_and_b32_e32 v2, 0xf8, v2
	v_and_or_b32 v2, v22, 7, v2
	s_and_b64 s[18:19], s[18:19], s[20:21]
	v_cndmask_b32_e64 v2, v2, 0, s[18:19]
	v_or_b32_e32 v9, v2, v25
.LBB6_5445:                             ;   in Loop: Header=BB6_5395 Depth=2
	s_or_b64 exec, exec, s[92:93]
                                        ; implicit-def: $vgpr25
.LBB6_5446:                             ;   in Loop: Header=BB6_5395 Depth=2
	s_andn2_saveexec_b64 s[18:19], s[90:91]
; %bb.5447:                             ;   in Loop: Header=BB6_5395 Depth=2
	v_or_b32_e32 v9, 0x7e, v25
; %bb.5448:                             ;   in Loop: Header=BB6_5395 Depth=2
	s_or_b64 exec, exec, s[18:19]
                                        ; implicit-def: $vgpr22
.LBB6_5449:                             ;   in Loop: Header=BB6_5395 Depth=2
	s_andn2_saveexec_b64 s[18:19], s[88:89]
; %bb.5450:                             ;   in Loop: Header=BB6_5395 Depth=2
	v_or_b32_sdwa v9, v22, s50 dst_sel:DWORD dst_unused:UNUSED_PAD src0_sel:BYTE_3 src1_sel:DWORD
; %bb.5451:                             ;   in Loop: Header=BB6_5395 Depth=2
	s_or_b64 exec, exec, s[18:19]
	v_lshrrev_b32_e32 v2, 16, v14
	v_cmp_ne_u16_sdwa s[18:19], v2, v3 src0_sel:BYTE_0 src1_sel:DWORD
	v_mov_b32_e32 v22, 0
	s_and_saveexec_b64 s[20:21], s[18:19]
	s_cbranch_execz .LBB6_5457
; %bb.5452:                             ;   in Loop: Header=BB6_5395 Depth=2
	v_cmp_ne_u16_sdwa s[18:19], v2, s49 src0_sel:BYTE_0 src1_sel:DWORD
	v_bfrev_b32_e32 v22, 1
	s_and_saveexec_b64 s[88:89], s[18:19]
	s_cbranch_execz .LBB6_5456
; %bb.5453:                             ;   in Loop: Header=BB6_5395 Depth=2
	v_bfe_u32 v23, v14, 16, 7
	v_cmp_ne_u32_e64 s[18:19], s50, v23
	v_mov_b32_e32 v22, 0x7f800001
	s_and_saveexec_b64 s[90:91], s[18:19]
	s_cbranch_execz .LBB6_5455
; %bb.5454:                             ;   in Loop: Header=BB6_5395 Depth=2
	v_and_b32_e32 v24, 7, v2
	v_ffbh_u32_e32 v22, v24
	v_min_u32_e32 v26, 32, v22
	v_subrev_u32_e32 v22, 28, v26
	v_lshrrev_b32_e32 v25, 3, v23
	v_cmp_gt_u32_e64 s[18:19], 8, v23
	v_lshlrev_b64 v[22:23], v22, v[2:3]
	v_sub_u32_e32 v23, 29, v26
	v_and_b32_e32 v22, 7, v22
	v_cndmask_b32_e64 v23, v25, v23, s[18:19]
	v_cndmask_b32_e64 v22, v24, v22, s[18:19]
	v_lshlrev_b32_e32 v2, 24, v2
	v_lshlrev_b32_e32 v22, 20, v22
	v_and_b32_e32 v2, 0x80000000, v2
	v_lshl_add_u32 v23, v23, 23, v57
	v_or3_b32 v22, v2, v23, v22
.LBB6_5455:                             ;   in Loop: Header=BB6_5395 Depth=2
	s_or_b64 exec, exec, s[90:91]
.LBB6_5456:                             ;   in Loop: Header=BB6_5395 Depth=2
	s_or_b64 exec, exec, s[88:89]
.LBB6_5457:                             ;   in Loop: Header=BB6_5395 Depth=2
	s_or_b64 exec, exec, s[20:21]
	v_lshrrev_b32_e32 v2, 16, v10
	v_cmp_gt_i16_sdwa s[20:21], v2, s50 src0_sel:BYTE_0 src1_sel:DWORD
	s_mov_b64 s[18:19], 0
	s_and_saveexec_b64 s[88:89], s[20:21]
	s_xor_b64 s[20:21], exec, s[88:89]
	s_cbranch_execz .LBB6_5827
; %bb.5458:                             ;   in Loop: Header=BB6_5395 Depth=2
	v_cmp_eq_u16_sdwa s[90:91], v2, s49 src0_sel:BYTE_0 src1_sel:DWORD
	s_mov_b64 s[18:19], -1
	s_and_saveexec_b64 s[88:89], s[90:91]
; %bb.5459:                             ;   in Loop: Header=BB6_5395 Depth=2
	s_xor_b64 s[18:19], exec, -1
; %bb.5460:                             ;   in Loop: Header=BB6_5395 Depth=2
	s_or_b64 exec, exec, s[88:89]
	s_and_b64 s[18:19], s[18:19], exec
	s_or_saveexec_b64 s[20:21], s[20:21]
	v_bfrev_b32_e32 v23, 1
	s_xor_b64 exec, exec, s[20:21]
	s_cbranch_execnz .LBB6_5828
.LBB6_5461:                             ;   in Loop: Header=BB6_5395 Depth=2
	s_or_b64 exec, exec, s[20:21]
	s_and_saveexec_b64 s[20:21], s[18:19]
	s_cbranch_execz .LBB6_5463
.LBB6_5462:                             ;   in Loop: Header=BB6_5395 Depth=2
	v_and_b32_e32 v25, 7, v2
	v_ffbh_u32_e32 v23, v25
	v_min_u32_e32 v28, 32, v23
	v_subrev_u32_e32 v23, 28, v28
	v_lshlrev_b64 v[23:24], v23, v[2:3]
	v_and_b32_e32 v26, 0x7f, v2
	v_bfe_u32 v27, v2, 3, 4
	v_sub_u32_e32 v24, 29, v28
	v_and_b32_e32 v23, 7, v23
	v_cmp_gt_u32_e64 s[18:19], 8, v26
	v_cndmask_b32_e64 v24, v27, v24, s[18:19]
	v_cndmask_b32_e64 v23, v25, v23, s[18:19]
	v_lshlrev_b32_e32 v2, 24, v2
	v_lshlrev_b32_e32 v23, 20, v23
	v_and_b32_e32 v2, 0x80000000, v2
	v_lshl_add_u32 v24, v24, 23, v57
	v_or3_b32 v2, v2, v24, v23
	v_cmp_ne_u32_e64 s[18:19], s50, v26
	v_cndmask_b32_e64 v23, v40, v2, s[18:19]
.LBB6_5463:                             ;   in Loop: Header=BB6_5395 Depth=2
	s_or_b64 exec, exec, s[20:21]
	v_add_f32_e32 v22, v22, v23
	v_and_b32_e32 v2, 0x7f800000, v22
	v_cmp_ne_u64_e64 s[18:19], s[46:47], v[2:3]
                                        ; implicit-def: $vgpr26
	s_and_saveexec_b64 s[20:21], s[18:19]
	s_xor_b64 s[88:89], exec, s[20:21]
	s_cbranch_execz .LBB6_5477
; %bb.5464:                             ;   in Loop: Header=BB6_5395 Depth=2
	v_and_b32_e32 v2, 0x7fffffff, v22
	v_cmp_gt_u64_e64 s[18:19], s[56:57], v[2:3]
	v_and_b32_sdwa v25, v22, s49 dst_sel:DWORD dst_unused:UNUSED_PAD src0_sel:BYTE_3 src1_sel:DWORD
                                        ; implicit-def: $vgpr26
	s_and_saveexec_b64 s[20:21], s[18:19]
	s_xor_b64 s[90:91], exec, s[20:21]
	s_cbranch_execz .LBB6_5474
; %bb.5465:                             ;   in Loop: Header=BB6_5395 Depth=2
	v_mov_b32_e32 v26, 0
	v_cmp_ne_u32_e64 s[18:19], 0, v22
	s_and_saveexec_b64 s[92:93], s[18:19]
	s_cbranch_execz .LBB6_5473
; %bb.5466:                             ;   in Loop: Header=BB6_5395 Depth=2
	v_bfe_u32 v26, v22, 23, 8
	v_and_b32_e32 v2, 0x7fffff, v22
	v_cmp_gt_u32_e64 s[20:21], s51, v26
	v_sub_u32_e32 v22, 0x79, v26
	v_cmp_eq_u32_e64 s[18:19], 0, v26
	v_cndmask_b32_e64 v22, 0, v22, s[20:21]
	v_mov_b32_e32 v24, 0x78
	v_cndmask_b32_e64 v27, v22, v24, s[18:19]
	v_or_b32_e32 v23, 0x800000, v2
	v_add_u32_e32 v22, 20, v27
	v_cndmask_b32_e64 v2, v23, v2, s[18:19]
	v_lshlrev_b64 v[22:23], v22, -1
	v_add_u32_e32 v24, 19, v27
	v_lshlrev_b64 v[28:29], v24, 1
	v_bfi_b32 v23, v23, 0, 0
	v_bfi_b32 v22, v22, 0, v2
	v_cmp_eq_u64_e64 s[20:21], v[22:23], v[28:29]
	v_lshrrev_b64 v[22:23], v27, v[2:3]
	v_mov_b32_e32 v24, v23
	v_mov_b32_e32 v23, v22
	s_and_saveexec_b64 s[94:95], s[20:21]
; %bb.5467:                             ;   in Loop: Header=BB6_5395 Depth=2
	v_bfe_u32 v2, v22, 20, 1
	v_add_co_u32_e64 v2, s[20:21], v22, v2
	v_add_co_u32_e64 v23, s[20:21], -1, v2
; %bb.5468:                             ;   in Loop: Header=BB6_5395 Depth=2
	s_or_b64 exec, exec, s[94:95]
	v_add_u32_e32 v2, 0xffffff81, v26
	v_mov_b32_e32 v24, 0xffffff82
	v_cndmask_b32_e64 v2, v2, v24, s[18:19]
	v_lshrrev_b32_e32 v24, 23, v22
	v_add3_u32 v27, v27, v2, v24
	v_add_u32_e32 v26, 6, v27
	v_and_b32_e32 v2, 0xfffff, v23
	v_add_u32_e32 v2, v2, v22
	v_cmp_ne_u32_e64 s[18:19], 0, v26
                                        ; implicit-def: $vgpr22_vgpr23
                                        ; implicit-def: $vgpr24
	s_and_saveexec_b64 s[20:21], s[18:19]
	s_xor_b64 s[20:21], exec, s[20:21]
; %bb.5469:                             ;   in Loop: Header=BB6_5395 Depth=2
	v_cmp_lt_u64_e64 s[18:19], s[58:59], v[2:3]
	v_add_u32_e32 v22, 7, v27
	v_cndmask_b32_e64 v24, v26, v22, s[18:19]
	v_cndmask_b32_e64 v22, 0, 1, s[18:19]
	v_lshrrev_b64 v[22:23], v22, v[2:3]
; %bb.5470:                             ;   in Loop: Header=BB6_5395 Depth=2
	s_andn2_saveexec_b64 s[18:19], s[20:21]
; %bb.5471:                             ;   in Loop: Header=BB6_5395 Depth=2
	v_mov_b32_e32 v23, v3
	v_bfe_u32 v24, v2, 23, 1
	v_mov_b32_e32 v22, v2
; %bb.5472:                             ;   in Loop: Header=BB6_5395 Depth=2
	s_or_b64 exec, exec, s[18:19]
	v_lshrrev_b64 v[22:23], 20, v[22:23]
	v_cmp_gt_i32_e64 s[18:19], 16, v24
	v_cndmask_b32_e64 v23, 0, v23, s[18:19]
	v_cndmask_b32_e64 v22, 7, v22, s[18:19]
	v_min_i32_e32 v2, 15, v24
	v_cmp_eq_u64_e64 s[20:21], 0, v[22:23]
	v_lshlrev_b32_e32 v2, 3, v2
	v_cmp_eq_u32_e64 s[18:19], 0, v24
	v_and_b32_e32 v2, 0xf8, v2
	v_and_or_b32 v2, v22, 7, v2
	s_and_b64 s[18:19], s[18:19], s[20:21]
	v_cndmask_b32_e64 v2, v2, 0, s[18:19]
	v_or_b32_e32 v26, v2, v25
.LBB6_5473:                             ;   in Loop: Header=BB6_5395 Depth=2
	s_or_b64 exec, exec, s[92:93]
                                        ; implicit-def: $vgpr25
.LBB6_5474:                             ;   in Loop: Header=BB6_5395 Depth=2
	s_andn2_saveexec_b64 s[18:19], s[90:91]
; %bb.5475:                             ;   in Loop: Header=BB6_5395 Depth=2
	v_or_b32_e32 v26, 0x7e, v25
; %bb.5476:                             ;   in Loop: Header=BB6_5395 Depth=2
	s_or_b64 exec, exec, s[18:19]
                                        ; implicit-def: $vgpr22
.LBB6_5477:                             ;   in Loop: Header=BB6_5395 Depth=2
	s_andn2_saveexec_b64 s[18:19], s[88:89]
; %bb.5478:                             ;   in Loop: Header=BB6_5395 Depth=2
	v_or_b32_sdwa v26, v22, s50 dst_sel:DWORD dst_unused:UNUSED_PAD src0_sel:BYTE_3 src1_sel:DWORD
; %bb.5479:                             ;   in Loop: Header=BB6_5395 Depth=2
	s_or_b64 exec, exec, s[18:19]
	v_cmp_lt_u32_e64 s[18:19], s61, v14
	v_mov_b32_e32 v22, 0
	s_and_saveexec_b64 s[20:21], s[18:19]
	s_cbranch_execz .LBB6_5485
; %bb.5480:                             ;   in Loop: Header=BB6_5395 Depth=2
	v_lshrrev_b32_e32 v2, 24, v14
	v_cmp_ne_u32_e64 s[18:19], s49, v2
	v_bfrev_b32_e32 v22, 1
	s_and_saveexec_b64 s[88:89], s[18:19]
	s_cbranch_execz .LBB6_5484
; %bb.5481:                             ;   in Loop: Header=BB6_5395 Depth=2
	v_bfe_u32 v23, v14, 24, 7
	v_cmp_ne_u32_e64 s[18:19], s50, v23
	v_mov_b32_e32 v22, 0x7f800001
	s_and_saveexec_b64 s[90:91], s[18:19]
	s_cbranch_execz .LBB6_5483
; %bb.5482:                             ;   in Loop: Header=BB6_5395 Depth=2
	v_and_b32_e32 v24, 7, v2
	v_ffbh_u32_e32 v22, v24
	v_min_u32_e32 v27, 32, v22
	v_subrev_u32_e32 v22, 28, v27
	v_lshrrev_b32_e32 v25, 3, v23
	v_cmp_gt_u32_e64 s[18:19], 8, v23
	v_lshlrev_b64 v[22:23], v22, v[2:3]
	v_sub_u32_e32 v23, 29, v27
	v_and_b32_e32 v22, 7, v22
	v_cndmask_b32_e64 v23, v25, v23, s[18:19]
	v_cndmask_b32_e64 v22, v24, v22, s[18:19]
	v_lshlrev_b32_e32 v2, 24, v2
	v_lshlrev_b32_e32 v22, 20, v22
	v_and_b32_e32 v2, 0x80000000, v2
	v_lshl_add_u32 v23, v23, 23, v57
	v_or3_b32 v22, v2, v23, v22
.LBB6_5483:                             ;   in Loop: Header=BB6_5395 Depth=2
	s_or_b64 exec, exec, s[90:91]
.LBB6_5484:                             ;   in Loop: Header=BB6_5395 Depth=2
	s_or_b64 exec, exec, s[88:89]
.LBB6_5485:                             ;   in Loop: Header=BB6_5395 Depth=2
	s_or_b64 exec, exec, s[20:21]
	v_bfe_u32 v25, v10, 24, 3
	v_ffbh_u32_e32 v23, v25
	v_min_u32_e32 v29, 32, v23
	v_lshrrev_b32_e32 v2, 24, v10
	v_subrev_u32_e32 v23, 28, v29
	v_lshlrev_b64 v[23:24], v23, v[2:3]
	v_bfe_u32 v27, v10, 24, 7
	v_bfe_u32 v28, v2, 3, 4
	v_sub_u32_e32 v24, 29, v29
	v_and_b32_e32 v23, 7, v23
	v_cmp_gt_u32_e64 s[18:19], 8, v27
	v_cndmask_b32_e64 v24, v28, v24, s[18:19]
	v_cndmask_b32_e64 v23, v25, v23, s[18:19]
	v_lshlrev_b32_e32 v23, 20, v23
	v_and_b32_e32 v25, 0x80000000, v10
	v_lshl_add_u32 v24, v24, 23, v57
	v_or3_b32 v23, v25, v24, v23
	v_cmp_ne_u32_e64 s[18:19], s50, v27
	v_cndmask_b32_e64 v23, v40, v23, s[18:19]
	v_cmp_ne_u32_e64 s[18:19], s49, v2
	v_cndmask_b32_e64 v2, v41, v23, s[18:19]
	v_cmp_lt_u32_e64 s[18:19], s61, v10
	v_cndmask_b32_e64 v2, 0, v2, s[18:19]
	v_add_f32_e32 v22, v2, v22
	v_and_b32_e32 v2, 0x7f800000, v22
	v_cmp_ne_u64_e64 s[18:19], s[46:47], v[2:3]
                                        ; implicit-def: $vgpr27
	s_and_saveexec_b64 s[20:21], s[18:19]
	s_xor_b64 s[88:89], exec, s[20:21]
	s_cbranch_execz .LBB6_5499
; %bb.5486:                             ;   in Loop: Header=BB6_5395 Depth=2
	v_and_b32_e32 v2, 0x7fffffff, v22
	v_cmp_gt_u64_e64 s[18:19], s[56:57], v[2:3]
	v_and_b32_sdwa v25, v22, s49 dst_sel:DWORD dst_unused:UNUSED_PAD src0_sel:BYTE_3 src1_sel:DWORD
                                        ; implicit-def: $vgpr27
	s_and_saveexec_b64 s[20:21], s[18:19]
	s_xor_b64 s[90:91], exec, s[20:21]
	s_cbranch_execz .LBB6_5496
; %bb.5487:                             ;   in Loop: Header=BB6_5395 Depth=2
	v_mov_b32_e32 v27, 0
	v_cmp_ne_u32_e64 s[18:19], 0, v22
	s_and_saveexec_b64 s[92:93], s[18:19]
	s_cbranch_execz .LBB6_5495
; %bb.5488:                             ;   in Loop: Header=BB6_5395 Depth=2
	v_bfe_u32 v27, v22, 23, 8
	v_and_b32_e32 v2, 0x7fffff, v22
	v_cmp_gt_u32_e64 s[20:21], s51, v27
	v_sub_u32_e32 v22, 0x79, v27
	v_cmp_eq_u32_e64 s[18:19], 0, v27
	v_cndmask_b32_e64 v22, 0, v22, s[20:21]
	v_mov_b32_e32 v24, 0x78
	v_cndmask_b32_e64 v28, v22, v24, s[18:19]
	v_or_b32_e32 v23, 0x800000, v2
	v_add_u32_e32 v22, 20, v28
	v_cndmask_b32_e64 v2, v23, v2, s[18:19]
	v_lshlrev_b64 v[22:23], v22, -1
	v_add_u32_e32 v24, 19, v28
	v_lshlrev_b64 v[29:30], v24, 1
	v_bfi_b32 v23, v23, 0, 0
	v_bfi_b32 v22, v22, 0, v2
	v_cmp_eq_u64_e64 s[20:21], v[22:23], v[29:30]
	v_lshrrev_b64 v[22:23], v28, v[2:3]
	v_mov_b32_e32 v24, v23
	v_mov_b32_e32 v23, v22
	s_and_saveexec_b64 s[94:95], s[20:21]
; %bb.5489:                             ;   in Loop: Header=BB6_5395 Depth=2
	v_bfe_u32 v2, v22, 20, 1
	v_add_co_u32_e64 v2, s[20:21], v22, v2
	v_add_co_u32_e64 v23, s[20:21], -1, v2
; %bb.5490:                             ;   in Loop: Header=BB6_5395 Depth=2
	s_or_b64 exec, exec, s[94:95]
	v_add_u32_e32 v2, 0xffffff81, v27
	v_mov_b32_e32 v24, 0xffffff82
	v_cndmask_b32_e64 v2, v2, v24, s[18:19]
	v_lshrrev_b32_e32 v24, 23, v22
	v_add3_u32 v28, v28, v2, v24
	v_add_u32_e32 v27, 6, v28
	v_and_b32_e32 v2, 0xfffff, v23
	v_add_u32_e32 v2, v2, v22
	v_cmp_ne_u32_e64 s[18:19], 0, v27
                                        ; implicit-def: $vgpr22_vgpr23
                                        ; implicit-def: $vgpr24
	s_and_saveexec_b64 s[20:21], s[18:19]
	s_xor_b64 s[20:21], exec, s[20:21]
; %bb.5491:                             ;   in Loop: Header=BB6_5395 Depth=2
	v_cmp_lt_u64_e64 s[18:19], s[58:59], v[2:3]
	v_add_u32_e32 v22, 7, v28
	v_cndmask_b32_e64 v24, v27, v22, s[18:19]
	v_cndmask_b32_e64 v22, 0, 1, s[18:19]
	v_lshrrev_b64 v[22:23], v22, v[2:3]
; %bb.5492:                             ;   in Loop: Header=BB6_5395 Depth=2
	s_andn2_saveexec_b64 s[18:19], s[20:21]
; %bb.5493:                             ;   in Loop: Header=BB6_5395 Depth=2
	v_mov_b32_e32 v23, v3
	v_bfe_u32 v24, v2, 23, 1
	v_mov_b32_e32 v22, v2
; %bb.5494:                             ;   in Loop: Header=BB6_5395 Depth=2
	s_or_b64 exec, exec, s[18:19]
	v_lshrrev_b64 v[22:23], 20, v[22:23]
	v_cmp_gt_i32_e64 s[18:19], 16, v24
	v_cndmask_b32_e64 v23, 0, v23, s[18:19]
	v_cndmask_b32_e64 v22, 7, v22, s[18:19]
	v_min_i32_e32 v2, 15, v24
	v_cmp_eq_u64_e64 s[20:21], 0, v[22:23]
	v_lshlrev_b32_e32 v2, 3, v2
	v_cmp_eq_u32_e64 s[18:19], 0, v24
	v_and_b32_e32 v2, 0xf8, v2
	v_and_or_b32 v2, v22, 7, v2
	s_and_b64 s[18:19], s[18:19], s[20:21]
	v_cndmask_b32_e64 v2, v2, 0, s[18:19]
	v_or_b32_e32 v27, v2, v25
.LBB6_5495:                             ;   in Loop: Header=BB6_5395 Depth=2
	s_or_b64 exec, exec, s[92:93]
                                        ; implicit-def: $vgpr25
.LBB6_5496:                             ;   in Loop: Header=BB6_5395 Depth=2
	s_andn2_saveexec_b64 s[18:19], s[90:91]
; %bb.5497:                             ;   in Loop: Header=BB6_5395 Depth=2
	v_or_b32_e32 v27, 0x7e, v25
; %bb.5498:                             ;   in Loop: Header=BB6_5395 Depth=2
	s_or_b64 exec, exec, s[18:19]
                                        ; implicit-def: $vgpr22
.LBB6_5499:                             ;   in Loop: Header=BB6_5395 Depth=2
	s_andn2_saveexec_b64 s[18:19], s[88:89]
; %bb.5500:                             ;   in Loop: Header=BB6_5395 Depth=2
	v_or_b32_sdwa v27, v22, s50 dst_sel:DWORD dst_unused:UNUSED_PAD src0_sel:BYTE_3 src1_sel:DWORD
; %bb.5501:                             ;   in Loop: Header=BB6_5395 Depth=2
	s_or_b64 exec, exec, s[18:19]
	v_mov_b32_e32 v2, v15
	v_cmp_ne_u16_sdwa s[18:19], v15, v3 src0_sel:BYTE_0 src1_sel:DWORD
	v_mov_b32_e32 v24, 0
	s_and_saveexec_b64 s[20:21], s[18:19]
	s_cbranch_execz .LBB6_5507
; %bb.5502:                             ;   in Loop: Header=BB6_5395 Depth=2
	v_cmp_ne_u16_sdwa s[18:19], v15, s49 src0_sel:BYTE_0 src1_sel:DWORD
	v_bfrev_b32_e32 v24, 1
	s_and_saveexec_b64 s[88:89], s[18:19]
	s_cbranch_execz .LBB6_5506
; %bb.5503:                             ;   in Loop: Header=BB6_5395 Depth=2
	v_and_b32_e32 v22, 0x7f, v15
	v_cmp_ne_u32_e64 s[18:19], s50, v22
	v_mov_b32_e32 v24, 0x7f800001
	s_and_saveexec_b64 s[90:91], s[18:19]
	s_cbranch_execz .LBB6_5505
; %bb.5504:                             ;   in Loop: Header=BB6_5395 Depth=2
	v_and_b32_e32 v23, 7, v15
	v_lshrrev_b32_e32 v24, 3, v22
	v_cmp_gt_u32_e64 s[18:19], 8, v22
	v_ffbh_u32_e32 v22, v23
	v_min_u32_e32 v22, 32, v22
	v_subrev_u32_e32 v23, 28, v22
	v_sub_u32_e32 v22, 29, v22
	v_cndmask_b32_e64 v24, v24, v22, s[18:19]
	v_cndmask_b32_e64 v22, 0, v23, s[18:19]
	v_lshlrev_b64 v[22:23], v22, v[2:3]
	v_lshlrev_b32_e32 v23, 24, v2
	v_lshlrev_b32_e32 v22, 20, v22
	v_and_b32_e32 v22, 0x700000, v22
	v_and_b32_e32 v23, 0x80000000, v23
	v_lshl_add_u32 v24, v24, 23, v57
	v_or3_b32 v24, v23, v24, v22
.LBB6_5505:                             ;   in Loop: Header=BB6_5395 Depth=2
	s_or_b64 exec, exec, s[90:91]
.LBB6_5506:                             ;   in Loop: Header=BB6_5395 Depth=2
	s_or_b64 exec, exec, s[88:89]
.LBB6_5507:                             ;   in Loop: Header=BB6_5395 Depth=2
	s_or_b64 exec, exec, s[20:21]
	v_cmp_gt_i16_sdwa s[20:21], v11, s50 src0_sel:BYTE_0 src1_sel:DWORD
	s_mov_b64 s[18:19], 0
	s_and_saveexec_b64 s[88:89], s[20:21]
	s_xor_b64 s[20:21], exec, s[88:89]
	s_cbranch_execz .LBB6_5511
; %bb.5508:                             ;   in Loop: Header=BB6_5395 Depth=2
	v_cmp_eq_u16_sdwa s[90:91], v11, s49 src0_sel:BYTE_0 src1_sel:DWORD
	s_mov_b64 s[18:19], -1
	s_and_saveexec_b64 s[88:89], s[90:91]
; %bb.5509:                             ;   in Loop: Header=BB6_5395 Depth=2
	s_xor_b64 s[18:19], exec, -1
; %bb.5510:                             ;   in Loop: Header=BB6_5395 Depth=2
	s_or_b64 exec, exec, s[88:89]
	s_and_b64 s[18:19], s[18:19], exec
.LBB6_5511:                             ;   in Loop: Header=BB6_5395 Depth=2
	s_or_saveexec_b64 s[20:21], s[20:21]
	v_bfrev_b32_e32 v25, 1
	s_xor_b64 exec, exec, s[20:21]
; %bb.5512:                             ;   in Loop: Header=BB6_5395 Depth=2
	v_cmp_ne_u16_sdwa s[88:89], v11, v3 src0_sel:BYTE_0 src1_sel:DWORD
	s_andn2_b64 s[18:19], s[18:19], exec
	s_and_b64 s[88:89], s[88:89], exec
	v_mov_b32_e32 v25, 0
	s_or_b64 s[18:19], s[18:19], s[88:89]
; %bb.5513:                             ;   in Loop: Header=BB6_5395 Depth=2
	s_or_b64 exec, exec, s[20:21]
	v_mov_b32_e32 v22, v11
	v_mov_b32_e32 v23, v3
	s_and_saveexec_b64 s[20:21], s[18:19]
	s_cbranch_execz .LBB6_5515
; %bb.5514:                             ;   in Loop: Header=BB6_5395 Depth=2
	v_and_b32_e32 v25, 7, v11
	v_ffbh_u32_e32 v25, v25
	v_and_b32_e32 v30, 0x7f, v11
	v_min_u32_e32 v25, 32, v25
	v_bfe_u32 v28, v11, 3, 4
	v_subrev_u32_e32 v29, 28, v25
	v_sub_u32_e32 v25, 29, v25
	v_cmp_gt_u32_e64 s[18:19], 8, v30
	v_cndmask_b32_e64 v25, v28, v25, s[18:19]
	v_cndmask_b32_e64 v28, 0, v29, s[18:19]
	v_lshlrev_b64 v[28:29], v28, v[22:23]
	v_lshl_add_u32 v25, v25, 23, v57
	v_lshlrev_b32_e32 v23, 20, v28
	v_lshlrev_b32_e32 v28, 24, v22
	v_and_b32_e32 v23, 0x700000, v23
	v_and_b32_e32 v28, 0x80000000, v28
	v_or3_b32 v23, v28, v25, v23
	v_cmp_ne_u32_e64 s[18:19], s50, v30
	v_cndmask_b32_e64 v25, v40, v23, s[18:19]
.LBB6_5515:                             ;   in Loop: Header=BB6_5395 Depth=2
	s_or_b64 exec, exec, s[20:21]
	v_add_f32_e32 v23, v24, v25
	v_and_b32_e32 v24, 0x7f800000, v23
	v_mov_b32_e32 v25, v3
	v_cmp_ne_u64_e64 s[18:19], s[46:47], v[24:25]
                                        ; implicit-def: $vgpr25
	s_and_saveexec_b64 s[20:21], s[18:19]
	s_xor_b64 s[88:89], exec, s[20:21]
	s_cbranch_execz .LBB6_5529
; %bb.5516:                             ;   in Loop: Header=BB6_5395 Depth=2
	v_and_b32_e32 v24, 0x7fffffff, v23
	v_mov_b32_e32 v25, v3
	v_cmp_gt_u64_e64 s[18:19], s[56:57], v[24:25]
	v_and_b32_sdwa v28, v23, s49 dst_sel:DWORD dst_unused:UNUSED_PAD src0_sel:BYTE_3 src1_sel:DWORD
                                        ; implicit-def: $vgpr25
	s_and_saveexec_b64 s[20:21], s[18:19]
	s_xor_b64 s[90:91], exec, s[20:21]
	s_cbranch_execz .LBB6_5526
; %bb.5517:                             ;   in Loop: Header=BB6_5395 Depth=2
	v_mov_b32_e32 v25, 0
	v_cmp_ne_u32_e64 s[18:19], 0, v23
	s_and_saveexec_b64 s[92:93], s[18:19]
	s_cbranch_execz .LBB6_5525
; %bb.5518:                             ;   in Loop: Header=BB6_5395 Depth=2
	v_bfe_u32 v29, v23, 23, 8
	v_and_b32_e32 v24, 0x7fffff, v23
	v_cmp_gt_u32_e64 s[20:21], s51, v29
	v_sub_u32_e32 v23, 0x79, v29
	v_cmp_eq_u32_e64 s[18:19], 0, v29
	v_cndmask_b32_e64 v23, 0, v23, s[20:21]
	v_mov_b32_e32 v30, 0x78
	v_or_b32_e32 v25, 0x800000, v24
	v_cndmask_b32_e64 v30, v23, v30, s[18:19]
	v_cndmask_b32_e64 v23, v25, v24, s[18:19]
	v_add_u32_e32 v25, 20, v30
	v_lshlrev_b64 v[31:32], v25, -1
	v_mov_b32_e32 v24, v3
	v_add_u32_e32 v25, 19, v30
	v_bfi_b32 v31, v31, 0, v23
	v_lshlrev_b64 v[33:34], v25, 1
	v_lshrrev_b64 v[23:24], v30, v[23:24]
	v_bfi_b32 v32, v32, 0, 0
	v_cmp_eq_u64_e64 s[20:21], v[31:32], v[33:34]
	v_mov_b32_e32 v25, v24
	v_mov_b32_e32 v24, v23
	s_and_saveexec_b64 s[94:95], s[20:21]
; %bb.5519:                             ;   in Loop: Header=BB6_5395 Depth=2
	v_bfe_u32 v24, v23, 20, 1
	v_add_co_u32_e64 v24, s[20:21], v23, v24
	v_add_co_u32_e64 v24, s[20:21], -1, v24
; %bb.5520:                             ;   in Loop: Header=BB6_5395 Depth=2
	s_or_b64 exec, exec, s[94:95]
	v_add_u32_e32 v25, 0xffffff81, v29
	v_mov_b32_e32 v29, 0xffffff82
	v_cndmask_b32_e64 v25, v25, v29, s[18:19]
	v_lshrrev_b32_e32 v29, 23, v23
	v_add3_u32 v30, v30, v25, v29
	v_add_u32_e32 v29, 6, v30
	v_and_b32_e32 v24, 0xfffff, v24
	v_add_u32_e32 v23, v24, v23
	v_mov_b32_e32 v24, v3
	v_cmp_ne_u32_e64 s[18:19], 0, v29
                                        ; implicit-def: $vgpr25
	s_and_saveexec_b64 s[20:21], s[18:19]
	s_xor_b64 s[20:21], exec, s[20:21]
; %bb.5521:                             ;   in Loop: Header=BB6_5395 Depth=2
	v_cmp_lt_u64_e64 s[18:19], s[58:59], v[23:24]
	v_add_u32_e32 v25, 7, v30
	v_cndmask_b32_e64 v25, v29, v25, s[18:19]
	v_cndmask_b32_e64 v29, 0, 1, s[18:19]
	v_lshrrev_b64 v[23:24], v29, v[23:24]
; %bb.5522:                             ;   in Loop: Header=BB6_5395 Depth=2
	s_andn2_saveexec_b64 s[18:19], s[20:21]
; %bb.5523:                             ;   in Loop: Header=BB6_5395 Depth=2
	v_bfe_u32 v25, v23, 23, 1
; %bb.5524:                             ;   in Loop: Header=BB6_5395 Depth=2
	s_or_b64 exec, exec, s[18:19]
	v_lshrrev_b64 v[23:24], 20, v[23:24]
	v_cmp_gt_i32_e64 s[18:19], 16, v25
	v_cndmask_b32_e64 v24, 0, v24, s[18:19]
	v_cndmask_b32_e64 v23, 7, v23, s[18:19]
	v_cmp_eq_u64_e64 s[20:21], 0, v[23:24]
	v_min_i32_e32 v24, 15, v25
	v_lshlrev_b32_e32 v24, 3, v24
	v_cmp_eq_u32_e64 s[18:19], 0, v25
	v_and_b32_e32 v24, 0xf8, v24
	v_and_or_b32 v23, v23, 7, v24
	s_and_b64 s[18:19], s[18:19], s[20:21]
	v_cndmask_b32_e64 v23, v23, 0, s[18:19]
	v_or_b32_e32 v25, v23, v28
.LBB6_5525:                             ;   in Loop: Header=BB6_5395 Depth=2
	s_or_b64 exec, exec, s[92:93]
                                        ; implicit-def: $vgpr28
.LBB6_5526:                             ;   in Loop: Header=BB6_5395 Depth=2
	s_andn2_saveexec_b64 s[18:19], s[90:91]
; %bb.5527:                             ;   in Loop: Header=BB6_5395 Depth=2
	v_or_b32_e32 v25, 0x7e, v28
; %bb.5528:                             ;   in Loop: Header=BB6_5395 Depth=2
	s_or_b64 exec, exec, s[18:19]
                                        ; implicit-def: $vgpr23
.LBB6_5529:                             ;   in Loop: Header=BB6_5395 Depth=2
	s_andn2_saveexec_b64 s[18:19], s[88:89]
; %bb.5530:                             ;   in Loop: Header=BB6_5395 Depth=2
	v_or_b32_sdwa v25, v23, s50 dst_sel:DWORD dst_unused:UNUSED_PAD src0_sel:BYTE_3 src1_sel:DWORD
; %bb.5531:                             ;   in Loop: Header=BB6_5395 Depth=2
	s_or_b64 exec, exec, s[18:19]
	v_lshrrev_b16_e32 v23, 8, v2
	v_cmp_ne_u16_e64 s[18:19], 0, v23
	v_mov_b32_e32 v24, 0
	s_and_saveexec_b64 s[20:21], s[18:19]
	s_cbranch_execz .LBB6_5537
; %bb.5532:                             ;   in Loop: Header=BB6_5395 Depth=2
	v_cmp_ne_u16_e64 s[18:19], s49, v23
	v_bfrev_b32_e32 v24, 1
	s_and_saveexec_b64 s[88:89], s[18:19]
	s_cbranch_execz .LBB6_5536
; %bb.5533:                             ;   in Loop: Header=BB6_5395 Depth=2
	v_and_b32_e32 v28, 0x7f, v23
	v_cmp_ne_u32_e64 s[18:19], s50, v28
	v_mov_b32_e32 v24, 0x7f800001
	s_and_saveexec_b64 s[90:91], s[18:19]
	s_cbranch_execz .LBB6_5535
; %bb.5534:                             ;   in Loop: Header=BB6_5395 Depth=2
	v_and_b32_e32 v29, 7, v23
	v_ffbh_u32_e32 v24, v29
	v_lshrrev_b32_e32 v30, 3, v28
	v_cmp_gt_u32_e64 s[18:19], 8, v28
	v_min_u32_e32 v28, 32, v24
	v_subrev_u32_e32 v24, 28, v28
	v_lshlrev_b64 v[23:24], v24, v[23:24]
	v_sub_u32_e32 v24, 29, v28
	v_and_b32_e32 v23, 7, v23
	v_cndmask_b32_e64 v24, v30, v24, s[18:19]
	v_cndmask_b32_e64 v23, v29, v23, s[18:19]
	v_lshlrev_b32_e32 v2, 16, v2
	v_lshlrev_b32_e32 v23, 20, v23
	v_and_b32_e32 v2, 0x80000000, v2
	v_lshl_add_u32 v24, v24, 23, v57
	v_or3_b32 v24, v2, v24, v23
.LBB6_5535:                             ;   in Loop: Header=BB6_5395 Depth=2
	s_or_b64 exec, exec, s[90:91]
.LBB6_5536:                             ;   in Loop: Header=BB6_5395 Depth=2
	s_or_b64 exec, exec, s[88:89]
.LBB6_5537:                             ;   in Loop: Header=BB6_5395 Depth=2
	s_or_b64 exec, exec, s[20:21]
	v_lshrrev_b16_e32 v2, 8, v22
	v_cmp_lt_i16_e64 s[18:19], s50, v2
	s_mov_b64 s[20:21], 0
	s_and_saveexec_b64 s[88:89], s[18:19]
	s_xor_b64 s[88:89], exec, s[88:89]
	s_cbranch_execz .LBB6_5829
; %bb.5538:                             ;   in Loop: Header=BB6_5395 Depth=2
	v_cmp_eq_u16_e64 s[18:19], s49, v2
	s_mov_b64 s[20:21], -1
	s_and_saveexec_b64 s[90:91], s[18:19]
; %bb.5539:                             ;   in Loop: Header=BB6_5395 Depth=2
	s_xor_b64 s[20:21], exec, -1
; %bb.5540:                             ;   in Loop: Header=BB6_5395 Depth=2
	s_or_b64 exec, exec, s[90:91]
	s_and_b64 s[20:21], s[20:21], exec
	s_or_saveexec_b64 s[88:89], s[88:89]
	v_bfrev_b32_e32 v22, 1
	s_xor_b64 exec, exec, s[88:89]
	s_cbranch_execnz .LBB6_5830
.LBB6_5541:                             ;   in Loop: Header=BB6_5395 Depth=2
	s_or_b64 exec, exec, s[88:89]
	s_and_saveexec_b64 s[88:89], s[20:21]
	s_cbranch_execz .LBB6_5543
.LBB6_5542:                             ;   in Loop: Header=BB6_5395 Depth=2
	v_and_b32_e32 v28, 7, v2
	v_ffbh_u32_e32 v22, v28
	v_min_u32_e32 v31, 32, v22
	v_subrev_u32_e32 v22, 28, v31
	v_lshlrev_b64 v[22:23], v22, v[2:3]
	v_and_b32_e32 v29, 0x7f, v2
	v_bfe_u32 v30, v2, 3, 4
	v_sub_u32_e32 v23, 29, v31
	v_and_b32_e32 v22, 7, v22
	v_cmp_gt_u32_e64 s[18:19], 8, v29
	v_cndmask_b32_e64 v23, v30, v23, s[18:19]
	v_cndmask_b32_e64 v22, v28, v22, s[18:19]
	v_lshlrev_b32_e32 v2, 24, v2
	v_lshlrev_b32_e32 v22, 20, v22
	v_and_b32_e32 v2, 0x80000000, v2
	v_lshl_add_u32 v23, v23, 23, v57
	v_or3_b32 v2, v2, v23, v22
	v_cmp_ne_u32_e64 s[18:19], s50, v29
	v_cndmask_b32_e64 v22, v40, v2, s[18:19]
.LBB6_5543:                             ;   in Loop: Header=BB6_5395 Depth=2
	s_or_b64 exec, exec, s[88:89]
	v_add_f32_e32 v22, v24, v22
	v_and_b32_e32 v2, 0x7f800000, v22
	v_cmp_ne_u64_e64 s[18:19], s[46:47], v[2:3]
                                        ; implicit-def: $vgpr28
	s_and_saveexec_b64 s[20:21], s[18:19]
	s_xor_b64 s[88:89], exec, s[20:21]
	s_cbranch_execz .LBB6_5557
; %bb.5544:                             ;   in Loop: Header=BB6_5395 Depth=2
	v_and_b32_e32 v2, 0x7fffffff, v22
	v_cmp_gt_u64_e64 s[18:19], s[56:57], v[2:3]
	v_and_b32_sdwa v29, v22, s49 dst_sel:DWORD dst_unused:UNUSED_PAD src0_sel:BYTE_3 src1_sel:DWORD
                                        ; implicit-def: $vgpr28
	s_and_saveexec_b64 s[20:21], s[18:19]
	s_xor_b64 s[90:91], exec, s[20:21]
	s_cbranch_execz .LBB6_5554
; %bb.5545:                             ;   in Loop: Header=BB6_5395 Depth=2
	v_mov_b32_e32 v28, 0
	v_cmp_ne_u32_e64 s[18:19], 0, v22
	s_and_saveexec_b64 s[92:93], s[18:19]
	s_cbranch_execz .LBB6_5553
; %bb.5546:                             ;   in Loop: Header=BB6_5395 Depth=2
	v_bfe_u32 v28, v22, 23, 8
	v_and_b32_e32 v2, 0x7fffff, v22
	v_cmp_gt_u32_e64 s[20:21], s51, v28
	v_sub_u32_e32 v22, 0x79, v28
	v_cmp_eq_u32_e64 s[18:19], 0, v28
	v_cndmask_b32_e64 v22, 0, v22, s[20:21]
	v_mov_b32_e32 v24, 0x78
	v_cndmask_b32_e64 v30, v22, v24, s[18:19]
	v_or_b32_e32 v23, 0x800000, v2
	v_add_u32_e32 v22, 20, v30
	v_cndmask_b32_e64 v2, v23, v2, s[18:19]
	v_lshlrev_b64 v[22:23], v22, -1
	v_add_u32_e32 v24, 19, v30
	v_lshlrev_b64 v[31:32], v24, 1
	v_bfi_b32 v23, v23, 0, 0
	v_bfi_b32 v22, v22, 0, v2
	v_cmp_eq_u64_e64 s[20:21], v[22:23], v[31:32]
	v_lshrrev_b64 v[22:23], v30, v[2:3]
	v_mov_b32_e32 v24, v23
	v_mov_b32_e32 v23, v22
	s_and_saveexec_b64 s[94:95], s[20:21]
; %bb.5547:                             ;   in Loop: Header=BB6_5395 Depth=2
	v_bfe_u32 v2, v22, 20, 1
	v_add_co_u32_e64 v2, s[20:21], v22, v2
	v_add_co_u32_e64 v23, s[20:21], -1, v2
; %bb.5548:                             ;   in Loop: Header=BB6_5395 Depth=2
	s_or_b64 exec, exec, s[94:95]
	v_add_u32_e32 v2, 0xffffff81, v28
	v_mov_b32_e32 v24, 0xffffff82
	v_cndmask_b32_e64 v2, v2, v24, s[18:19]
	v_lshrrev_b32_e32 v24, 23, v22
	v_add3_u32 v30, v30, v2, v24
	v_add_u32_e32 v28, 6, v30
	v_and_b32_e32 v2, 0xfffff, v23
	v_add_u32_e32 v2, v2, v22
	v_cmp_ne_u32_e64 s[18:19], 0, v28
                                        ; implicit-def: $vgpr22_vgpr23
                                        ; implicit-def: $vgpr24
	s_and_saveexec_b64 s[20:21], s[18:19]
	s_xor_b64 s[20:21], exec, s[20:21]
; %bb.5549:                             ;   in Loop: Header=BB6_5395 Depth=2
	v_cmp_lt_u64_e64 s[18:19], s[58:59], v[2:3]
	v_add_u32_e32 v22, 7, v30
	v_cndmask_b32_e64 v24, v28, v22, s[18:19]
	v_cndmask_b32_e64 v22, 0, 1, s[18:19]
	v_lshrrev_b64 v[22:23], v22, v[2:3]
; %bb.5550:                             ;   in Loop: Header=BB6_5395 Depth=2
	s_andn2_saveexec_b64 s[18:19], s[20:21]
; %bb.5551:                             ;   in Loop: Header=BB6_5395 Depth=2
	v_mov_b32_e32 v23, v3
	v_bfe_u32 v24, v2, 23, 1
	v_mov_b32_e32 v22, v2
; %bb.5552:                             ;   in Loop: Header=BB6_5395 Depth=2
	s_or_b64 exec, exec, s[18:19]
	v_lshrrev_b64 v[22:23], 20, v[22:23]
	v_cmp_gt_i32_e64 s[18:19], 16, v24
	v_cndmask_b32_e64 v23, 0, v23, s[18:19]
	v_cndmask_b32_e64 v22, 7, v22, s[18:19]
	v_min_i32_e32 v2, 15, v24
	v_cmp_eq_u64_e64 s[20:21], 0, v[22:23]
	v_lshlrev_b32_e32 v2, 3, v2
	v_cmp_eq_u32_e64 s[18:19], 0, v24
	v_and_b32_e32 v2, 0xf8, v2
	v_and_or_b32 v2, v22, 7, v2
	s_and_b64 s[18:19], s[18:19], s[20:21]
	v_cndmask_b32_e64 v2, v2, 0, s[18:19]
	v_or_b32_e32 v28, v2, v29
.LBB6_5553:                             ;   in Loop: Header=BB6_5395 Depth=2
	s_or_b64 exec, exec, s[92:93]
                                        ; implicit-def: $vgpr29
.LBB6_5554:                             ;   in Loop: Header=BB6_5395 Depth=2
	s_andn2_saveexec_b64 s[18:19], s[90:91]
; %bb.5555:                             ;   in Loop: Header=BB6_5395 Depth=2
	v_or_b32_e32 v28, 0x7e, v29
; %bb.5556:                             ;   in Loop: Header=BB6_5395 Depth=2
	s_or_b64 exec, exec, s[18:19]
                                        ; implicit-def: $vgpr22
.LBB6_5557:                             ;   in Loop: Header=BB6_5395 Depth=2
	s_andn2_saveexec_b64 s[18:19], s[88:89]
; %bb.5558:                             ;   in Loop: Header=BB6_5395 Depth=2
	v_or_b32_sdwa v28, v22, s50 dst_sel:DWORD dst_unused:UNUSED_PAD src0_sel:BYTE_3 src1_sel:DWORD
; %bb.5559:                             ;   in Loop: Header=BB6_5395 Depth=2
	s_or_b64 exec, exec, s[18:19]
	v_lshrrev_b32_e32 v2, 16, v15
	v_cmp_ne_u16_sdwa s[18:19], v2, v3 src0_sel:BYTE_0 src1_sel:DWORD
	v_mov_b32_e32 v22, 0
	s_and_saveexec_b64 s[20:21], s[18:19]
	s_cbranch_execz .LBB6_5565
; %bb.5560:                             ;   in Loop: Header=BB6_5395 Depth=2
	v_cmp_ne_u16_sdwa s[18:19], v2, s49 src0_sel:BYTE_0 src1_sel:DWORD
	v_bfrev_b32_e32 v22, 1
	s_and_saveexec_b64 s[88:89], s[18:19]
	s_cbranch_execz .LBB6_5564
; %bb.5561:                             ;   in Loop: Header=BB6_5395 Depth=2
	v_bfe_u32 v23, v15, 16, 7
	v_cmp_ne_u32_e64 s[18:19], s50, v23
	v_mov_b32_e32 v22, 0x7f800001
	s_and_saveexec_b64 s[90:91], s[18:19]
	s_cbranch_execz .LBB6_5563
; %bb.5562:                             ;   in Loop: Header=BB6_5395 Depth=2
	v_and_b32_e32 v24, 7, v2
	v_ffbh_u32_e32 v22, v24
	v_min_u32_e32 v30, 32, v22
	v_subrev_u32_e32 v22, 28, v30
	v_lshrrev_b32_e32 v29, 3, v23
	v_cmp_gt_u32_e64 s[18:19], 8, v23
	v_lshlrev_b64 v[22:23], v22, v[2:3]
	v_sub_u32_e32 v23, 29, v30
	v_and_b32_e32 v22, 7, v22
	v_cndmask_b32_e64 v23, v29, v23, s[18:19]
	v_cndmask_b32_e64 v22, v24, v22, s[18:19]
	v_lshlrev_b32_e32 v2, 24, v2
	v_lshlrev_b32_e32 v22, 20, v22
	v_and_b32_e32 v2, 0x80000000, v2
	v_lshl_add_u32 v23, v23, 23, v57
	v_or3_b32 v22, v2, v23, v22
.LBB6_5563:                             ;   in Loop: Header=BB6_5395 Depth=2
	s_or_b64 exec, exec, s[90:91]
.LBB6_5564:                             ;   in Loop: Header=BB6_5395 Depth=2
	s_or_b64 exec, exec, s[88:89]
.LBB6_5565:                             ;   in Loop: Header=BB6_5395 Depth=2
	s_or_b64 exec, exec, s[20:21]
	v_lshrrev_b32_e32 v2, 16, v11
	v_cmp_gt_i16_sdwa s[20:21], v2, s50 src0_sel:BYTE_0 src1_sel:DWORD
	s_mov_b64 s[18:19], 0
	s_and_saveexec_b64 s[88:89], s[20:21]
	s_xor_b64 s[20:21], exec, s[88:89]
	s_cbranch_execz .LBB6_5831
; %bb.5566:                             ;   in Loop: Header=BB6_5395 Depth=2
	v_cmp_eq_u16_sdwa s[90:91], v2, s49 src0_sel:BYTE_0 src1_sel:DWORD
	s_mov_b64 s[18:19], -1
	s_and_saveexec_b64 s[88:89], s[90:91]
; %bb.5567:                             ;   in Loop: Header=BB6_5395 Depth=2
	s_xor_b64 s[18:19], exec, -1
; %bb.5568:                             ;   in Loop: Header=BB6_5395 Depth=2
	s_or_b64 exec, exec, s[88:89]
	s_and_b64 s[18:19], s[18:19], exec
	s_or_saveexec_b64 s[20:21], s[20:21]
	v_bfrev_b32_e32 v23, 1
	s_xor_b64 exec, exec, s[20:21]
	s_cbranch_execnz .LBB6_5832
.LBB6_5569:                             ;   in Loop: Header=BB6_5395 Depth=2
	s_or_b64 exec, exec, s[20:21]
	s_and_saveexec_b64 s[20:21], s[18:19]
	s_cbranch_execz .LBB6_5571
.LBB6_5570:                             ;   in Loop: Header=BB6_5395 Depth=2
	v_and_b32_e32 v29, 7, v2
	v_ffbh_u32_e32 v23, v29
	v_min_u32_e32 v32, 32, v23
	v_subrev_u32_e32 v23, 28, v32
	v_lshlrev_b64 v[23:24], v23, v[2:3]
	v_and_b32_e32 v30, 0x7f, v2
	v_bfe_u32 v31, v2, 3, 4
	v_sub_u32_e32 v24, 29, v32
	v_and_b32_e32 v23, 7, v23
	v_cmp_gt_u32_e64 s[18:19], 8, v30
	v_cndmask_b32_e64 v24, v31, v24, s[18:19]
	v_cndmask_b32_e64 v23, v29, v23, s[18:19]
	v_lshlrev_b32_e32 v2, 24, v2
	v_lshlrev_b32_e32 v23, 20, v23
	v_and_b32_e32 v2, 0x80000000, v2
	v_lshl_add_u32 v24, v24, 23, v57
	v_or3_b32 v2, v2, v24, v23
	v_cmp_ne_u32_e64 s[18:19], s50, v30
	v_cndmask_b32_e64 v23, v40, v2, s[18:19]
.LBB6_5571:                             ;   in Loop: Header=BB6_5395 Depth=2
	s_or_b64 exec, exec, s[20:21]
	v_add_f32_e32 v22, v22, v23
	v_and_b32_e32 v2, 0x7f800000, v22
	v_cmp_ne_u64_e64 s[18:19], s[46:47], v[2:3]
                                        ; implicit-def: $vgpr24
	s_and_saveexec_b64 s[20:21], s[18:19]
	s_xor_b64 s[88:89], exec, s[20:21]
	s_cbranch_execz .LBB6_5585
; %bb.5572:                             ;   in Loop: Header=BB6_5395 Depth=2
	v_and_b32_e32 v2, 0x7fffffff, v22
	v_cmp_gt_u64_e64 s[18:19], s[56:57], v[2:3]
	v_and_b32_sdwa v29, v22, s49 dst_sel:DWORD dst_unused:UNUSED_PAD src0_sel:BYTE_3 src1_sel:DWORD
                                        ; implicit-def: $vgpr24
	s_and_saveexec_b64 s[20:21], s[18:19]
	s_xor_b64 s[90:91], exec, s[20:21]
	s_cbranch_execz .LBB6_5582
; %bb.5573:                             ;   in Loop: Header=BB6_5395 Depth=2
	v_mov_b32_e32 v24, 0
	v_cmp_ne_u32_e64 s[18:19], 0, v22
	s_and_saveexec_b64 s[92:93], s[18:19]
	s_cbranch_execz .LBB6_5581
; %bb.5574:                             ;   in Loop: Header=BB6_5395 Depth=2
	v_bfe_u32 v30, v22, 23, 8
	v_and_b32_e32 v2, 0x7fffff, v22
	v_cmp_gt_u32_e64 s[20:21], s51, v30
	v_sub_u32_e32 v22, 0x79, v30
	v_cmp_eq_u32_e64 s[18:19], 0, v30
	v_cndmask_b32_e64 v22, 0, v22, s[20:21]
	v_mov_b32_e32 v24, 0x78
	v_cndmask_b32_e64 v31, v22, v24, s[18:19]
	v_or_b32_e32 v23, 0x800000, v2
	v_add_u32_e32 v22, 20, v31
	v_cndmask_b32_e64 v2, v23, v2, s[18:19]
	v_lshlrev_b64 v[22:23], v22, -1
	v_add_u32_e32 v24, 19, v31
	v_lshlrev_b64 v[32:33], v24, 1
	v_bfi_b32 v23, v23, 0, 0
	v_bfi_b32 v22, v22, 0, v2
	v_cmp_eq_u64_e64 s[20:21], v[22:23], v[32:33]
	v_lshrrev_b64 v[22:23], v31, v[2:3]
	v_mov_b32_e32 v24, v23
	v_mov_b32_e32 v23, v22
	s_and_saveexec_b64 s[94:95], s[20:21]
; %bb.5575:                             ;   in Loop: Header=BB6_5395 Depth=2
	v_bfe_u32 v2, v22, 20, 1
	v_add_co_u32_e64 v2, s[20:21], v22, v2
	v_add_co_u32_e64 v23, s[20:21], -1, v2
; %bb.5576:                             ;   in Loop: Header=BB6_5395 Depth=2
	s_or_b64 exec, exec, s[94:95]
	v_add_u32_e32 v2, 0xffffff81, v30
	v_mov_b32_e32 v24, 0xffffff82
	v_cndmask_b32_e64 v2, v2, v24, s[18:19]
	v_lshrrev_b32_e32 v24, 23, v22
	v_add3_u32 v31, v31, v2, v24
	v_add_u32_e32 v30, 6, v31
	v_and_b32_e32 v2, 0xfffff, v23
	v_add_u32_e32 v2, v2, v22
	v_cmp_ne_u32_e64 s[18:19], 0, v30
                                        ; implicit-def: $vgpr22_vgpr23
                                        ; implicit-def: $vgpr24
	s_and_saveexec_b64 s[20:21], s[18:19]
	s_xor_b64 s[20:21], exec, s[20:21]
; %bb.5577:                             ;   in Loop: Header=BB6_5395 Depth=2
	v_cmp_lt_u64_e64 s[18:19], s[58:59], v[2:3]
	v_add_u32_e32 v22, 7, v31
	v_cndmask_b32_e64 v24, v30, v22, s[18:19]
	v_cndmask_b32_e64 v22, 0, 1, s[18:19]
	v_lshrrev_b64 v[22:23], v22, v[2:3]
; %bb.5578:                             ;   in Loop: Header=BB6_5395 Depth=2
	s_andn2_saveexec_b64 s[18:19], s[20:21]
; %bb.5579:                             ;   in Loop: Header=BB6_5395 Depth=2
	v_mov_b32_e32 v23, v3
	v_bfe_u32 v24, v2, 23, 1
	v_mov_b32_e32 v22, v2
; %bb.5580:                             ;   in Loop: Header=BB6_5395 Depth=2
	s_or_b64 exec, exec, s[18:19]
	v_lshrrev_b64 v[22:23], 20, v[22:23]
	v_cmp_gt_i32_e64 s[18:19], 16, v24
	v_cndmask_b32_e64 v23, 0, v23, s[18:19]
	v_cndmask_b32_e64 v22, 7, v22, s[18:19]
	v_min_i32_e32 v2, 15, v24
	v_cmp_eq_u64_e64 s[20:21], 0, v[22:23]
	v_lshlrev_b32_e32 v2, 3, v2
	v_cmp_eq_u32_e64 s[18:19], 0, v24
	v_and_b32_e32 v2, 0xf8, v2
	v_and_or_b32 v2, v22, 7, v2
	s_and_b64 s[18:19], s[18:19], s[20:21]
	v_cndmask_b32_e64 v2, v2, 0, s[18:19]
	v_or_b32_e32 v24, v2, v29
.LBB6_5581:                             ;   in Loop: Header=BB6_5395 Depth=2
	s_or_b64 exec, exec, s[92:93]
                                        ; implicit-def: $vgpr29
.LBB6_5582:                             ;   in Loop: Header=BB6_5395 Depth=2
	s_andn2_saveexec_b64 s[18:19], s[90:91]
; %bb.5583:                             ;   in Loop: Header=BB6_5395 Depth=2
	v_or_b32_e32 v24, 0x7e, v29
; %bb.5584:                             ;   in Loop: Header=BB6_5395 Depth=2
	s_or_b64 exec, exec, s[18:19]
                                        ; implicit-def: $vgpr22
.LBB6_5585:                             ;   in Loop: Header=BB6_5395 Depth=2
	s_andn2_saveexec_b64 s[18:19], s[88:89]
; %bb.5586:                             ;   in Loop: Header=BB6_5395 Depth=2
	v_or_b32_sdwa v24, v22, s50 dst_sel:DWORD dst_unused:UNUSED_PAD src0_sel:BYTE_3 src1_sel:DWORD
; %bb.5587:                             ;   in Loop: Header=BB6_5395 Depth=2
	s_or_b64 exec, exec, s[18:19]
	v_cmp_lt_u64_e64 s[18:19], s[60:61], v[14:15]
	v_mov_b32_e32 v14, 0
	s_and_saveexec_b64 s[20:21], s[18:19]
	s_cbranch_execz .LBB6_5593
; %bb.5588:                             ;   in Loop: Header=BB6_5395 Depth=2
	v_lshrrev_b32_e32 v2, 24, v15
	v_cmp_ne_u32_e64 s[18:19], s49, v2
	v_bfrev_b32_e32 v14, 1
	s_and_saveexec_b64 s[88:89], s[18:19]
	s_cbranch_execz .LBB6_5592
; %bb.5589:                             ;   in Loop: Header=BB6_5395 Depth=2
	v_bfe_u32 v15, v15, 24, 7
	v_cmp_ne_u32_e64 s[18:19], s50, v15
	v_mov_b32_e32 v14, 0x7f800001
	s_and_saveexec_b64 s[90:91], s[18:19]
	s_cbranch_execz .LBB6_5591
; %bb.5590:                             ;   in Loop: Header=BB6_5395 Depth=2
	v_and_b32_e32 v22, 7, v2
	v_ffbh_u32_e32 v14, v22
	v_min_u32_e32 v29, 32, v14
	v_subrev_u32_e32 v14, 28, v29
	v_lshrrev_b32_e32 v23, 3, v15
	v_cmp_gt_u32_e64 s[18:19], 8, v15
	v_lshlrev_b64 v[14:15], v14, v[2:3]
	v_sub_u32_e32 v15, 29, v29
	v_and_b32_e32 v14, 7, v14
	v_cndmask_b32_e64 v15, v23, v15, s[18:19]
	v_cndmask_b32_e64 v14, v22, v14, s[18:19]
	v_lshlrev_b32_e32 v2, 24, v2
	v_lshlrev_b32_e32 v14, 20, v14
	v_and_b32_e32 v2, 0x80000000, v2
	v_lshl_add_u32 v15, v15, 23, v57
	v_or3_b32 v14, v2, v15, v14
.LBB6_5591:                             ;   in Loop: Header=BB6_5395 Depth=2
	s_or_b64 exec, exec, s[90:91]
.LBB6_5592:                             ;   in Loop: Header=BB6_5395 Depth=2
	s_or_b64 exec, exec, s[88:89]
.LBB6_5593:                             ;   in Loop: Header=BB6_5395 Depth=2
	s_or_b64 exec, exec, s[20:21]
	v_bfe_u32 v15, v11, 24, 3
	v_ffbh_u32_e32 v22, v15
	v_min_u32_e32 v31, 32, v22
	v_lshrrev_b32_e32 v2, 24, v11
	v_subrev_u32_e32 v22, 28, v31
	v_lshlrev_b64 v[22:23], v22, v[2:3]
	v_bfe_u32 v29, v11, 24, 7
	v_bfe_u32 v30, v2, 3, 4
	v_sub_u32_e32 v23, 29, v31
	v_and_b32_e32 v22, 7, v22
	v_cmp_gt_u32_e64 s[18:19], 8, v29
	v_cndmask_b32_e64 v23, v30, v23, s[18:19]
	v_cndmask_b32_e64 v15, v15, v22, s[18:19]
	v_lshlrev_b32_e32 v15, 20, v15
	v_and_b32_e32 v22, 0x80000000, v11
	v_lshl_add_u32 v23, v23, 23, v57
	v_or3_b32 v15, v22, v23, v15
	v_cmp_ne_u32_e64 s[18:19], s50, v29
	v_cndmask_b32_e64 v15, v40, v15, s[18:19]
	v_cmp_ne_u32_e64 s[18:19], s49, v2
	v_cndmask_b32_e64 v2, v41, v15, s[18:19]
	v_cmp_lt_u64_e64 s[18:19], s[60:61], v[10:11]
                                        ; implicit-def: $vgpr29
	v_cndmask_b32_e64 v2, 0, v2, s[18:19]
	v_add_f32_e32 v10, v2, v14
	v_and_b32_e32 v2, 0x7f800000, v10
	v_cmp_ne_u64_e64 s[18:19], s[46:47], v[2:3]
	s_and_saveexec_b64 s[20:21], s[18:19]
	s_xor_b64 s[88:89], exec, s[20:21]
	s_cbranch_execz .LBB6_5607
; %bb.5594:                             ;   in Loop: Header=BB6_5395 Depth=2
	v_and_b32_e32 v2, 0x7fffffff, v10
	v_cmp_gt_u64_e64 s[18:19], s[56:57], v[2:3]
	v_and_b32_sdwa v22, v10, s49 dst_sel:DWORD dst_unused:UNUSED_PAD src0_sel:BYTE_3 src1_sel:DWORD
                                        ; implicit-def: $vgpr29
	s_and_saveexec_b64 s[20:21], s[18:19]
	s_xor_b64 s[90:91], exec, s[20:21]
	s_cbranch_execz .LBB6_5604
; %bb.5595:                             ;   in Loop: Header=BB6_5395 Depth=2
	v_mov_b32_e32 v29, 0
	v_cmp_ne_u32_e64 s[18:19], 0, v10
	s_and_saveexec_b64 s[92:93], s[18:19]
	s_cbranch_execz .LBB6_5603
; %bb.5596:                             ;   in Loop: Header=BB6_5395 Depth=2
	v_bfe_u32 v23, v10, 23, 8
	v_and_b32_e32 v2, 0x7fffff, v10
	v_cmp_gt_u32_e64 s[20:21], s51, v23
	v_sub_u32_e32 v10, 0x79, v23
	v_cmp_eq_u32_e64 s[18:19], 0, v23
	v_cndmask_b32_e64 v10, 0, v10, s[20:21]
	v_mov_b32_e32 v14, 0x78
	v_cndmask_b32_e64 v29, v10, v14, s[18:19]
	v_or_b32_e32 v11, 0x800000, v2
	v_add_u32_e32 v10, 20, v29
	v_cndmask_b32_e64 v2, v11, v2, s[18:19]
	v_lshlrev_b64 v[10:11], v10, -1
	v_add_u32_e32 v14, 19, v29
	v_lshlrev_b64 v[14:15], v14, 1
	v_bfi_b32 v11, v11, 0, 0
	v_bfi_b32 v10, v10, 0, v2
	v_cmp_eq_u64_e64 s[20:21], v[10:11], v[14:15]
	v_lshrrev_b64 v[10:11], v29, v[2:3]
	v_mov_b32_e32 v15, v11
	v_mov_b32_e32 v14, v10
	s_and_saveexec_b64 s[94:95], s[20:21]
; %bb.5597:                             ;   in Loop: Header=BB6_5395 Depth=2
	v_bfe_u32 v2, v10, 20, 1
	v_add_co_u32_e64 v2, s[20:21], v10, v2
	v_add_co_u32_e64 v14, s[20:21], -1, v2
; %bb.5598:                             ;   in Loop: Header=BB6_5395 Depth=2
	s_or_b64 exec, exec, s[94:95]
	v_add_u32_e32 v2, 0xffffff81, v23
	v_mov_b32_e32 v11, 0xffffff82
	v_cndmask_b32_e64 v2, v2, v11, s[18:19]
	v_lshrrev_b32_e32 v11, 23, v10
	v_add3_u32 v23, v29, v2, v11
	v_add_u32_e32 v15, 6, v23
	v_and_b32_e32 v2, 0xfffff, v14
	v_add_u32_e32 v2, v2, v10
	v_cmp_ne_u32_e64 s[18:19], 0, v15
                                        ; implicit-def: $vgpr10_vgpr11
                                        ; implicit-def: $vgpr14
	s_and_saveexec_b64 s[20:21], s[18:19]
	s_xor_b64 s[20:21], exec, s[20:21]
; %bb.5599:                             ;   in Loop: Header=BB6_5395 Depth=2
	v_cmp_lt_u64_e64 s[18:19], s[58:59], v[2:3]
	v_add_u32_e32 v10, 7, v23
	v_cndmask_b32_e64 v14, v15, v10, s[18:19]
	v_cndmask_b32_e64 v10, 0, 1, s[18:19]
	v_lshrrev_b64 v[10:11], v10, v[2:3]
; %bb.5600:                             ;   in Loop: Header=BB6_5395 Depth=2
	s_andn2_saveexec_b64 s[18:19], s[20:21]
; %bb.5601:                             ;   in Loop: Header=BB6_5395 Depth=2
	v_mov_b32_e32 v11, v3
	v_bfe_u32 v14, v2, 23, 1
	v_mov_b32_e32 v10, v2
; %bb.5602:                             ;   in Loop: Header=BB6_5395 Depth=2
	s_or_b64 exec, exec, s[18:19]
	v_lshrrev_b64 v[10:11], 20, v[10:11]
	v_cmp_gt_i32_e64 s[18:19], 16, v14
	v_cndmask_b32_e64 v11, 0, v11, s[18:19]
	v_cndmask_b32_e64 v10, 7, v10, s[18:19]
	v_min_i32_e32 v2, 15, v14
	v_cmp_eq_u64_e64 s[20:21], 0, v[10:11]
	v_lshlrev_b32_e32 v2, 3, v2
	v_cmp_eq_u32_e64 s[18:19], 0, v14
	v_and_b32_e32 v2, 0xf8, v2
	v_and_or_b32 v2, v10, 7, v2
	s_and_b64 s[18:19], s[18:19], s[20:21]
	v_cndmask_b32_e64 v2, v2, 0, s[18:19]
	v_or_b32_e32 v29, v2, v22
.LBB6_5603:                             ;   in Loop: Header=BB6_5395 Depth=2
	s_or_b64 exec, exec, s[92:93]
                                        ; implicit-def: $vgpr22
.LBB6_5604:                             ;   in Loop: Header=BB6_5395 Depth=2
	s_andn2_saveexec_b64 s[18:19], s[90:91]
; %bb.5605:                             ;   in Loop: Header=BB6_5395 Depth=2
	v_or_b32_e32 v29, 0x7e, v22
; %bb.5606:                             ;   in Loop: Header=BB6_5395 Depth=2
	s_or_b64 exec, exec, s[18:19]
                                        ; implicit-def: $vgpr10
.LBB6_5607:                             ;   in Loop: Header=BB6_5395 Depth=2
	s_andn2_saveexec_b64 s[18:19], s[88:89]
; %bb.5608:                             ;   in Loop: Header=BB6_5395 Depth=2
	v_or_b32_sdwa v29, v10, s50 dst_sel:DWORD dst_unused:UNUSED_PAD src0_sel:BYTE_3 src1_sel:DWORD
; %bb.5609:                             ;   in Loop: Header=BB6_5395 Depth=2
	s_or_b64 exec, exec, s[18:19]
	v_cmp_ne_u16_sdwa s[18:19], v16, v3 src0_sel:BYTE_0 src1_sel:DWORD
	v_mov_b32_e32 v2, 0
	s_and_saveexec_b64 s[20:21], s[18:19]
	s_cbranch_execz .LBB6_5615
; %bb.5610:                             ;   in Loop: Header=BB6_5395 Depth=2
	v_cmp_ne_u16_sdwa s[18:19], v16, s49 src0_sel:BYTE_0 src1_sel:DWORD
	v_bfrev_b32_e32 v2, 1
	s_and_saveexec_b64 s[88:89], s[18:19]
	s_cbranch_execz .LBB6_5614
; %bb.5611:                             ;   in Loop: Header=BB6_5395 Depth=2
	v_and_b32_e32 v10, 0x7f, v16
	v_cmp_ne_u32_e64 s[18:19], s50, v10
	v_mov_b32_e32 v2, 0x7f800001
	s_and_saveexec_b64 s[90:91], s[18:19]
	s_cbranch_execz .LBB6_5613
; %bb.5612:                             ;   in Loop: Header=BB6_5395 Depth=2
	v_and_b32_e32 v2, 7, v16
	v_ffbh_u32_e32 v2, v2
	v_min_u32_e32 v2, 32, v2
	v_lshrrev_b32_e32 v11, 3, v10
	v_cmp_gt_u32_e64 s[18:19], 8, v10
	v_subrev_u32_e32 v10, 28, v2
	v_sub_u32_e32 v2, 29, v2
	v_cndmask_b32_e64 v10, 0, v10, s[18:19]
	v_cndmask_b32_e64 v2, v11, v2, s[18:19]
	v_lshlrev_b64 v[10:11], v10, v[16:17]
	v_lshlrev_b32_e32 v11, 24, v16
	v_lshlrev_b32_e32 v10, 20, v10
	v_and_b32_e32 v10, 0x700000, v10
	v_and_b32_e32 v11, 0x80000000, v11
	v_lshl_add_u32 v2, v2, 23, v57
	v_or3_b32 v2, v11, v2, v10
.LBB6_5613:                             ;   in Loop: Header=BB6_5395 Depth=2
	s_or_b64 exec, exec, s[90:91]
.LBB6_5614:                             ;   in Loop: Header=BB6_5395 Depth=2
	s_or_b64 exec, exec, s[88:89]
.LBB6_5615:                             ;   in Loop: Header=BB6_5395 Depth=2
	s_or_b64 exec, exec, s[20:21]
	v_cmp_gt_i16_sdwa s[20:21], v12, s50 src0_sel:BYTE_0 src1_sel:DWORD
	s_mov_b64 s[18:19], 0
	s_and_saveexec_b64 s[88:89], s[20:21]
	s_xor_b64 s[20:21], exec, s[88:89]
	s_cbranch_execz .LBB6_5833
; %bb.5616:                             ;   in Loop: Header=BB6_5395 Depth=2
	v_cmp_eq_u16_sdwa s[90:91], v12, s49 src0_sel:BYTE_0 src1_sel:DWORD
	s_mov_b64 s[18:19], -1
	s_and_saveexec_b64 s[88:89], s[90:91]
; %bb.5617:                             ;   in Loop: Header=BB6_5395 Depth=2
	s_xor_b64 s[18:19], exec, -1
; %bb.5618:                             ;   in Loop: Header=BB6_5395 Depth=2
	s_or_b64 exec, exec, s[88:89]
	s_and_b64 s[18:19], s[18:19], exec
	s_or_saveexec_b64 s[20:21], s[20:21]
	v_bfrev_b32_e32 v10, 1
	s_xor_b64 exec, exec, s[20:21]
	s_cbranch_execnz .LBB6_5834
.LBB6_5619:                             ;   in Loop: Header=BB6_5395 Depth=2
	s_or_b64 exec, exec, s[20:21]
	s_and_saveexec_b64 s[20:21], s[18:19]
	s_cbranch_execz .LBB6_5621
.LBB6_5620:                             ;   in Loop: Header=BB6_5395 Depth=2
	v_and_b32_e32 v10, 7, v12
	v_ffbh_u32_e32 v10, v10
	v_and_b32_e32 v14, 0x7f, v12
	v_min_u32_e32 v10, 32, v10
	v_bfe_u32 v11, v12, 3, 4
	v_subrev_u32_e32 v15, 28, v10
	v_sub_u32_e32 v10, 29, v10
	v_cmp_gt_u32_e64 s[18:19], 8, v14
	v_cndmask_b32_e64 v22, v11, v10, s[18:19]
	v_cndmask_b32_e64 v10, 0, v15, s[18:19]
	v_lshlrev_b64 v[10:11], v10, v[12:13]
	v_lshlrev_b32_e32 v11, 24, v12
	v_lshlrev_b32_e32 v10, 20, v10
	v_and_b32_e32 v10, 0x700000, v10
	v_and_b32_e32 v11, 0x80000000, v11
	v_lshl_add_u32 v15, v22, 23, v57
	v_or3_b32 v10, v11, v15, v10
	v_cmp_ne_u32_e64 s[18:19], s50, v14
	v_cndmask_b32_e64 v10, v40, v10, s[18:19]
.LBB6_5621:                             ;   in Loop: Header=BB6_5395 Depth=2
	s_or_b64 exec, exec, s[20:21]
	v_add_f32_e32 v10, v2, v10
	v_and_b32_e32 v2, 0x7f800000, v10
	v_cmp_ne_u64_e64 s[18:19], s[46:47], v[2:3]
                                        ; implicit-def: $vgpr30
	s_and_saveexec_b64 s[20:21], s[18:19]
	s_xor_b64 s[88:89], exec, s[20:21]
	s_cbranch_execz .LBB6_5635
; %bb.5622:                             ;   in Loop: Header=BB6_5395 Depth=2
	v_and_b32_e32 v2, 0x7fffffff, v10
	v_cmp_gt_u64_e64 s[18:19], s[56:57], v[2:3]
	v_and_b32_sdwa v22, v10, s49 dst_sel:DWORD dst_unused:UNUSED_PAD src0_sel:BYTE_3 src1_sel:DWORD
                                        ; implicit-def: $vgpr30
	s_and_saveexec_b64 s[20:21], s[18:19]
	s_xor_b64 s[90:91], exec, s[20:21]
	s_cbranch_execz .LBB6_5632
; %bb.5623:                             ;   in Loop: Header=BB6_5395 Depth=2
	v_mov_b32_e32 v30, 0
	v_cmp_ne_u32_e64 s[18:19], 0, v10
	s_and_saveexec_b64 s[92:93], s[18:19]
	s_cbranch_execz .LBB6_5631
; %bb.5624:                             ;   in Loop: Header=BB6_5395 Depth=2
	v_bfe_u32 v23, v10, 23, 8
	v_and_b32_e32 v2, 0x7fffff, v10
	v_cmp_gt_u32_e64 s[20:21], s51, v23
	v_sub_u32_e32 v10, 0x79, v23
	v_cmp_eq_u32_e64 s[18:19], 0, v23
	v_cndmask_b32_e64 v10, 0, v10, s[20:21]
	v_mov_b32_e32 v14, 0x78
	v_cndmask_b32_e64 v30, v10, v14, s[18:19]
	v_or_b32_e32 v11, 0x800000, v2
	v_add_u32_e32 v10, 20, v30
	v_cndmask_b32_e64 v2, v11, v2, s[18:19]
	v_lshlrev_b64 v[10:11], v10, -1
	v_add_u32_e32 v14, 19, v30
	v_lshlrev_b64 v[14:15], v14, 1
	v_bfi_b32 v11, v11, 0, 0
	v_bfi_b32 v10, v10, 0, v2
	v_cmp_eq_u64_e64 s[20:21], v[10:11], v[14:15]
	v_lshrrev_b64 v[10:11], v30, v[2:3]
	v_mov_b32_e32 v15, v11
	v_mov_b32_e32 v14, v10
	s_and_saveexec_b64 s[94:95], s[20:21]
; %bb.5625:                             ;   in Loop: Header=BB6_5395 Depth=2
	v_bfe_u32 v2, v10, 20, 1
	v_add_co_u32_e64 v2, s[20:21], v10, v2
	v_add_co_u32_e64 v14, s[20:21], -1, v2
; %bb.5626:                             ;   in Loop: Header=BB6_5395 Depth=2
	s_or_b64 exec, exec, s[94:95]
	v_add_u32_e32 v2, 0xffffff81, v23
	v_mov_b32_e32 v11, 0xffffff82
	v_cndmask_b32_e64 v2, v2, v11, s[18:19]
	v_lshrrev_b32_e32 v11, 23, v10
	v_add3_u32 v23, v30, v2, v11
	v_add_u32_e32 v15, 6, v23
	v_and_b32_e32 v2, 0xfffff, v14
	v_add_u32_e32 v2, v2, v10
	v_cmp_ne_u32_e64 s[18:19], 0, v15
                                        ; implicit-def: $vgpr10_vgpr11
                                        ; implicit-def: $vgpr14
	s_and_saveexec_b64 s[20:21], s[18:19]
	s_xor_b64 s[20:21], exec, s[20:21]
; %bb.5627:                             ;   in Loop: Header=BB6_5395 Depth=2
	v_cmp_lt_u64_e64 s[18:19], s[58:59], v[2:3]
	v_add_u32_e32 v10, 7, v23
	v_cndmask_b32_e64 v14, v15, v10, s[18:19]
	v_cndmask_b32_e64 v10, 0, 1, s[18:19]
	v_lshrrev_b64 v[10:11], v10, v[2:3]
; %bb.5628:                             ;   in Loop: Header=BB6_5395 Depth=2
	s_andn2_saveexec_b64 s[18:19], s[20:21]
; %bb.5629:                             ;   in Loop: Header=BB6_5395 Depth=2
	v_mov_b32_e32 v11, v3
	v_bfe_u32 v14, v2, 23, 1
	v_mov_b32_e32 v10, v2
; %bb.5630:                             ;   in Loop: Header=BB6_5395 Depth=2
	s_or_b64 exec, exec, s[18:19]
	v_lshrrev_b64 v[10:11], 20, v[10:11]
	v_cmp_gt_i32_e64 s[18:19], 16, v14
	v_cndmask_b32_e64 v11, 0, v11, s[18:19]
	v_cndmask_b32_e64 v10, 7, v10, s[18:19]
	v_min_i32_e32 v2, 15, v14
	v_cmp_eq_u64_e64 s[20:21], 0, v[10:11]
	v_lshlrev_b32_e32 v2, 3, v2
	v_cmp_eq_u32_e64 s[18:19], 0, v14
	v_and_b32_e32 v2, 0xf8, v2
	v_and_or_b32 v2, v10, 7, v2
	s_and_b64 s[18:19], s[18:19], s[20:21]
	v_cndmask_b32_e64 v2, v2, 0, s[18:19]
	v_or_b32_e32 v30, v2, v22
.LBB6_5631:                             ;   in Loop: Header=BB6_5395 Depth=2
	s_or_b64 exec, exec, s[92:93]
                                        ; implicit-def: $vgpr22
.LBB6_5632:                             ;   in Loop: Header=BB6_5395 Depth=2
	s_andn2_saveexec_b64 s[18:19], s[90:91]
; %bb.5633:                             ;   in Loop: Header=BB6_5395 Depth=2
	v_or_b32_e32 v30, 0x7e, v22
; %bb.5634:                             ;   in Loop: Header=BB6_5395 Depth=2
	s_or_b64 exec, exec, s[18:19]
                                        ; implicit-def: $vgpr10
.LBB6_5635:                             ;   in Loop: Header=BB6_5395 Depth=2
	s_andn2_saveexec_b64 s[18:19], s[88:89]
; %bb.5636:                             ;   in Loop: Header=BB6_5395 Depth=2
	v_or_b32_sdwa v30, v10, s50 dst_sel:DWORD dst_unused:UNUSED_PAD src0_sel:BYTE_3 src1_sel:DWORD
; %bb.5637:                             ;   in Loop: Header=BB6_5395 Depth=2
	s_or_b64 exec, exec, s[18:19]
	v_lshrrev_b16_e32 v2, 8, v16
	v_cmp_ne_u16_e64 s[18:19], 0, v2
	v_mov_b32_e32 v10, 0
	s_and_saveexec_b64 s[20:21], s[18:19]
	s_cbranch_execz .LBB6_5643
; %bb.5638:                             ;   in Loop: Header=BB6_5395 Depth=2
	v_cmp_ne_u16_e64 s[18:19], s49, v2
	v_bfrev_b32_e32 v10, 1
	s_and_saveexec_b64 s[88:89], s[18:19]
	s_cbranch_execz .LBB6_5642
; %bb.5639:                             ;   in Loop: Header=BB6_5395 Depth=2
	v_and_b32_e32 v11, 0x7f, v2
	v_cmp_ne_u32_e64 s[18:19], s50, v11
	v_mov_b32_e32 v10, 0x7f800001
	s_and_saveexec_b64 s[90:91], s[18:19]
	s_cbranch_execz .LBB6_5641
; %bb.5640:                             ;   in Loop: Header=BB6_5395 Depth=2
	v_and_b32_e32 v14, 7, v2
	v_ffbh_u32_e32 v10, v14
	v_min_u32_e32 v22, 32, v10
	v_subrev_u32_e32 v10, 28, v22
	v_lshrrev_b32_e32 v15, 3, v11
	v_cmp_gt_u32_e64 s[18:19], 8, v11
	v_lshlrev_b64 v[10:11], v10, v[2:3]
	v_sub_u32_e32 v2, 29, v22
	v_and_b32_e32 v10, 7, v10
	v_cndmask_b32_e64 v2, v15, v2, s[18:19]
	v_cndmask_b32_e64 v10, v14, v10, s[18:19]
	v_lshlrev_b32_e32 v11, 16, v16
	v_lshlrev_b32_e32 v10, 20, v10
	v_and_b32_e32 v11, 0x80000000, v11
	v_lshl_add_u32 v2, v2, 23, v57
	v_or3_b32 v10, v11, v2, v10
.LBB6_5641:                             ;   in Loop: Header=BB6_5395 Depth=2
	s_or_b64 exec, exec, s[90:91]
.LBB6_5642:                             ;   in Loop: Header=BB6_5395 Depth=2
	s_or_b64 exec, exec, s[88:89]
.LBB6_5643:                             ;   in Loop: Header=BB6_5395 Depth=2
	s_or_b64 exec, exec, s[20:21]
	v_lshrrev_b16_e32 v2, 8, v12
	v_cmp_lt_i16_e64 s[18:19], s50, v2
	s_mov_b64 s[20:21], 0
	s_and_saveexec_b64 s[88:89], s[18:19]
	s_xor_b64 s[88:89], exec, s[88:89]
	s_cbranch_execz .LBB6_5835
; %bb.5644:                             ;   in Loop: Header=BB6_5395 Depth=2
	v_cmp_eq_u16_e64 s[18:19], s49, v2
	s_mov_b64 s[20:21], -1
	s_and_saveexec_b64 s[90:91], s[18:19]
; %bb.5645:                             ;   in Loop: Header=BB6_5395 Depth=2
	s_xor_b64 s[20:21], exec, -1
; %bb.5646:                             ;   in Loop: Header=BB6_5395 Depth=2
	s_or_b64 exec, exec, s[90:91]
	s_and_b64 s[20:21], s[20:21], exec
	s_or_saveexec_b64 s[88:89], s[88:89]
	v_bfrev_b32_e32 v11, 1
	s_xor_b64 exec, exec, s[88:89]
	s_cbranch_execnz .LBB6_5836
.LBB6_5647:                             ;   in Loop: Header=BB6_5395 Depth=2
	s_or_b64 exec, exec, s[88:89]
	s_and_saveexec_b64 s[88:89], s[20:21]
	s_cbranch_execz .LBB6_5649
.LBB6_5648:                             ;   in Loop: Header=BB6_5395 Depth=2
	v_and_b32_e32 v11, 7, v2
	v_ffbh_u32_e32 v14, v11
	v_min_u32_e32 v31, 32, v14
	v_subrev_u32_e32 v14, 28, v31
	v_lshlrev_b64 v[14:15], v14, v[2:3]
	v_and_b32_e32 v22, 0x7f, v2
	v_bfe_u32 v23, v2, 3, 4
	v_sub_u32_e32 v15, 29, v31
	v_and_b32_e32 v14, 7, v14
	v_cmp_gt_u32_e64 s[18:19], 8, v22
	v_cndmask_b32_e64 v15, v23, v15, s[18:19]
	v_cndmask_b32_e64 v11, v11, v14, s[18:19]
	v_lshlrev_b32_e32 v2, 24, v2
	v_lshlrev_b32_e32 v11, 20, v11
	v_and_b32_e32 v2, 0x80000000, v2
	v_lshl_add_u32 v14, v15, 23, v57
	v_or3_b32 v2, v2, v14, v11
	v_cmp_ne_u32_e64 s[18:19], s50, v22
	v_cndmask_b32_e64 v11, v40, v2, s[18:19]
.LBB6_5649:                             ;   in Loop: Header=BB6_5395 Depth=2
	s_or_b64 exec, exec, s[88:89]
	v_add_f32_e32 v10, v10, v11
	v_and_b32_e32 v2, 0x7f800000, v10
	v_cmp_ne_u64_e64 s[18:19], s[46:47], v[2:3]
                                        ; implicit-def: $vgpr31
	s_and_saveexec_b64 s[20:21], s[18:19]
	s_xor_b64 s[88:89], exec, s[20:21]
	s_cbranch_execz .LBB6_5663
; %bb.5650:                             ;   in Loop: Header=BB6_5395 Depth=2
	v_and_b32_e32 v2, 0x7fffffff, v10
	v_cmp_gt_u64_e64 s[18:19], s[56:57], v[2:3]
	v_and_b32_sdwa v22, v10, s49 dst_sel:DWORD dst_unused:UNUSED_PAD src0_sel:BYTE_3 src1_sel:DWORD
                                        ; implicit-def: $vgpr31
	s_and_saveexec_b64 s[20:21], s[18:19]
	s_xor_b64 s[90:91], exec, s[20:21]
	s_cbranch_execz .LBB6_5660
; %bb.5651:                             ;   in Loop: Header=BB6_5395 Depth=2
	v_mov_b32_e32 v31, 0
	v_cmp_ne_u32_e64 s[18:19], 0, v10
	s_and_saveexec_b64 s[92:93], s[18:19]
	s_cbranch_execz .LBB6_5659
; %bb.5652:                             ;   in Loop: Header=BB6_5395 Depth=2
	v_bfe_u32 v23, v10, 23, 8
	v_and_b32_e32 v2, 0x7fffff, v10
	v_cmp_gt_u32_e64 s[20:21], s51, v23
	v_sub_u32_e32 v10, 0x79, v23
	v_cmp_eq_u32_e64 s[18:19], 0, v23
	v_cndmask_b32_e64 v10, 0, v10, s[20:21]
	v_mov_b32_e32 v14, 0x78
	v_cndmask_b32_e64 v31, v10, v14, s[18:19]
	v_or_b32_e32 v11, 0x800000, v2
	v_add_u32_e32 v10, 20, v31
	v_cndmask_b32_e64 v2, v11, v2, s[18:19]
	v_lshlrev_b64 v[10:11], v10, -1
	v_add_u32_e32 v14, 19, v31
	v_lshlrev_b64 v[14:15], v14, 1
	v_bfi_b32 v11, v11, 0, 0
	v_bfi_b32 v10, v10, 0, v2
	v_cmp_eq_u64_e64 s[20:21], v[10:11], v[14:15]
	v_lshrrev_b64 v[10:11], v31, v[2:3]
	v_mov_b32_e32 v15, v11
	v_mov_b32_e32 v14, v10
	s_and_saveexec_b64 s[94:95], s[20:21]
; %bb.5653:                             ;   in Loop: Header=BB6_5395 Depth=2
	v_bfe_u32 v2, v10, 20, 1
	v_add_co_u32_e64 v2, s[20:21], v10, v2
	v_add_co_u32_e64 v14, s[20:21], -1, v2
; %bb.5654:                             ;   in Loop: Header=BB6_5395 Depth=2
	s_or_b64 exec, exec, s[94:95]
	v_add_u32_e32 v2, 0xffffff81, v23
	v_mov_b32_e32 v11, 0xffffff82
	v_cndmask_b32_e64 v2, v2, v11, s[18:19]
	v_lshrrev_b32_e32 v11, 23, v10
	v_add3_u32 v23, v31, v2, v11
	v_add_u32_e32 v15, 6, v23
	v_and_b32_e32 v2, 0xfffff, v14
	v_add_u32_e32 v2, v2, v10
	v_cmp_ne_u32_e64 s[18:19], 0, v15
                                        ; implicit-def: $vgpr10_vgpr11
                                        ; implicit-def: $vgpr14
	s_and_saveexec_b64 s[20:21], s[18:19]
	s_xor_b64 s[20:21], exec, s[20:21]
; %bb.5655:                             ;   in Loop: Header=BB6_5395 Depth=2
	v_cmp_lt_u64_e64 s[18:19], s[58:59], v[2:3]
	v_add_u32_e32 v10, 7, v23
	v_cndmask_b32_e64 v14, v15, v10, s[18:19]
	v_cndmask_b32_e64 v10, 0, 1, s[18:19]
	v_lshrrev_b64 v[10:11], v10, v[2:3]
; %bb.5656:                             ;   in Loop: Header=BB6_5395 Depth=2
	s_andn2_saveexec_b64 s[18:19], s[20:21]
; %bb.5657:                             ;   in Loop: Header=BB6_5395 Depth=2
	v_mov_b32_e32 v11, v3
	v_bfe_u32 v14, v2, 23, 1
	v_mov_b32_e32 v10, v2
; %bb.5658:                             ;   in Loop: Header=BB6_5395 Depth=2
	s_or_b64 exec, exec, s[18:19]
	v_lshrrev_b64 v[10:11], 20, v[10:11]
	v_cmp_gt_i32_e64 s[18:19], 16, v14
	v_cndmask_b32_e64 v11, 0, v11, s[18:19]
	v_cndmask_b32_e64 v10, 7, v10, s[18:19]
	v_min_i32_e32 v2, 15, v14
	v_cmp_eq_u64_e64 s[20:21], 0, v[10:11]
	v_lshlrev_b32_e32 v2, 3, v2
	v_cmp_eq_u32_e64 s[18:19], 0, v14
	v_and_b32_e32 v2, 0xf8, v2
	v_and_or_b32 v2, v10, 7, v2
	s_and_b64 s[18:19], s[18:19], s[20:21]
	v_cndmask_b32_e64 v2, v2, 0, s[18:19]
	v_or_b32_e32 v31, v2, v22
.LBB6_5659:                             ;   in Loop: Header=BB6_5395 Depth=2
	s_or_b64 exec, exec, s[92:93]
                                        ; implicit-def: $vgpr22
.LBB6_5660:                             ;   in Loop: Header=BB6_5395 Depth=2
	s_andn2_saveexec_b64 s[18:19], s[90:91]
; %bb.5661:                             ;   in Loop: Header=BB6_5395 Depth=2
	v_or_b32_e32 v31, 0x7e, v22
; %bb.5662:                             ;   in Loop: Header=BB6_5395 Depth=2
	s_or_b64 exec, exec, s[18:19]
                                        ; implicit-def: $vgpr10
.LBB6_5663:                             ;   in Loop: Header=BB6_5395 Depth=2
	s_andn2_saveexec_b64 s[18:19], s[88:89]
; %bb.5664:                             ;   in Loop: Header=BB6_5395 Depth=2
	v_or_b32_sdwa v31, v10, s50 dst_sel:DWORD dst_unused:UNUSED_PAD src0_sel:BYTE_3 src1_sel:DWORD
; %bb.5665:                             ;   in Loop: Header=BB6_5395 Depth=2
	s_or_b64 exec, exec, s[18:19]
	v_lshrrev_b32_e32 v2, 16, v16
	v_cmp_ne_u16_sdwa s[18:19], v2, v3 src0_sel:BYTE_0 src1_sel:DWORD
	v_mov_b32_e32 v10, 0
	s_and_saveexec_b64 s[20:21], s[18:19]
	s_cbranch_execz .LBB6_5671
; %bb.5666:                             ;   in Loop: Header=BB6_5395 Depth=2
	v_cmp_ne_u16_sdwa s[18:19], v2, s49 src0_sel:BYTE_0 src1_sel:DWORD
	v_bfrev_b32_e32 v10, 1
	s_and_saveexec_b64 s[88:89], s[18:19]
	s_cbranch_execz .LBB6_5670
; %bb.5667:                             ;   in Loop: Header=BB6_5395 Depth=2
	v_bfe_u32 v11, v16, 16, 7
	v_cmp_ne_u32_e64 s[18:19], s50, v11
	v_mov_b32_e32 v10, 0x7f800001
	s_and_saveexec_b64 s[90:91], s[18:19]
	s_cbranch_execz .LBB6_5669
; %bb.5668:                             ;   in Loop: Header=BB6_5395 Depth=2
	v_and_b32_e32 v14, 7, v2
	v_ffbh_u32_e32 v10, v14
	v_min_u32_e32 v22, 32, v10
	v_subrev_u32_e32 v10, 28, v22
	v_lshrrev_b32_e32 v15, 3, v11
	v_cmp_gt_u32_e64 s[18:19], 8, v11
	v_lshlrev_b64 v[10:11], v10, v[2:3]
	v_sub_u32_e32 v11, 29, v22
	v_and_b32_e32 v10, 7, v10
	v_cndmask_b32_e64 v11, v15, v11, s[18:19]
	v_cndmask_b32_e64 v10, v14, v10, s[18:19]
	v_lshlrev_b32_e32 v2, 24, v2
	v_lshlrev_b32_e32 v10, 20, v10
	v_and_b32_e32 v2, 0x80000000, v2
	v_lshl_add_u32 v11, v11, 23, v57
	v_or3_b32 v10, v2, v11, v10
.LBB6_5669:                             ;   in Loop: Header=BB6_5395 Depth=2
	s_or_b64 exec, exec, s[90:91]
.LBB6_5670:                             ;   in Loop: Header=BB6_5395 Depth=2
	s_or_b64 exec, exec, s[88:89]
.LBB6_5671:                             ;   in Loop: Header=BB6_5395 Depth=2
	s_or_b64 exec, exec, s[20:21]
	v_lshrrev_b32_e32 v2, 16, v12
	v_cmp_gt_i16_sdwa s[20:21], v2, s50 src0_sel:BYTE_0 src1_sel:DWORD
	s_mov_b64 s[18:19], 0
	s_and_saveexec_b64 s[88:89], s[20:21]
	s_xor_b64 s[20:21], exec, s[88:89]
	s_cbranch_execz .LBB6_5837
; %bb.5672:                             ;   in Loop: Header=BB6_5395 Depth=2
	v_cmp_eq_u16_sdwa s[90:91], v2, s49 src0_sel:BYTE_0 src1_sel:DWORD
	s_mov_b64 s[18:19], -1
	s_and_saveexec_b64 s[88:89], s[90:91]
; %bb.5673:                             ;   in Loop: Header=BB6_5395 Depth=2
	s_xor_b64 s[18:19], exec, -1
; %bb.5674:                             ;   in Loop: Header=BB6_5395 Depth=2
	s_or_b64 exec, exec, s[88:89]
	s_and_b64 s[18:19], s[18:19], exec
	s_or_saveexec_b64 s[20:21], s[20:21]
	v_bfrev_b32_e32 v11, 1
	s_xor_b64 exec, exec, s[20:21]
	s_cbranch_execnz .LBB6_5838
.LBB6_5675:                             ;   in Loop: Header=BB6_5395 Depth=2
	s_or_b64 exec, exec, s[20:21]
	s_and_saveexec_b64 s[20:21], s[18:19]
	s_cbranch_execz .LBB6_5677
.LBB6_5676:                             ;   in Loop: Header=BB6_5395 Depth=2
	v_and_b32_e32 v11, 7, v2
	v_ffbh_u32_e32 v14, v11
	v_min_u32_e32 v32, 32, v14
	v_subrev_u32_e32 v14, 28, v32
	v_lshlrev_b64 v[14:15], v14, v[2:3]
	v_and_b32_e32 v22, 0x7f, v2
	v_bfe_u32 v23, v2, 3, 4
	v_sub_u32_e32 v15, 29, v32
	v_and_b32_e32 v14, 7, v14
	v_cmp_gt_u32_e64 s[18:19], 8, v22
	v_cndmask_b32_e64 v15, v23, v15, s[18:19]
	v_cndmask_b32_e64 v11, v11, v14, s[18:19]
	v_lshlrev_b32_e32 v2, 24, v2
	v_lshlrev_b32_e32 v11, 20, v11
	v_and_b32_e32 v2, 0x80000000, v2
	v_lshl_add_u32 v14, v15, 23, v57
	v_or3_b32 v2, v2, v14, v11
	v_cmp_ne_u32_e64 s[18:19], s50, v22
	v_cndmask_b32_e64 v11, v40, v2, s[18:19]
.LBB6_5677:                             ;   in Loop: Header=BB6_5395 Depth=2
	s_or_b64 exec, exec, s[20:21]
	v_add_f32_e32 v10, v10, v11
	v_and_b32_e32 v2, 0x7f800000, v10
	v_cmp_ne_u64_e64 s[18:19], s[46:47], v[2:3]
                                        ; implicit-def: $vgpr32
	s_and_saveexec_b64 s[20:21], s[18:19]
	s_xor_b64 s[88:89], exec, s[20:21]
	s_cbranch_execz .LBB6_5691
; %bb.5678:                             ;   in Loop: Header=BB6_5395 Depth=2
	v_and_b32_e32 v2, 0x7fffffff, v10
	v_cmp_gt_u64_e64 s[18:19], s[56:57], v[2:3]
	v_and_b32_sdwa v22, v10, s49 dst_sel:DWORD dst_unused:UNUSED_PAD src0_sel:BYTE_3 src1_sel:DWORD
                                        ; implicit-def: $vgpr32
	s_and_saveexec_b64 s[20:21], s[18:19]
	s_xor_b64 s[90:91], exec, s[20:21]
	s_cbranch_execz .LBB6_5688
; %bb.5679:                             ;   in Loop: Header=BB6_5395 Depth=2
	v_mov_b32_e32 v32, 0
	v_cmp_ne_u32_e64 s[18:19], 0, v10
	s_and_saveexec_b64 s[92:93], s[18:19]
	s_cbranch_execz .LBB6_5687
; %bb.5680:                             ;   in Loop: Header=BB6_5395 Depth=2
	v_bfe_u32 v23, v10, 23, 8
	v_and_b32_e32 v2, 0x7fffff, v10
	v_cmp_gt_u32_e64 s[20:21], s51, v23
	v_sub_u32_e32 v10, 0x79, v23
	v_cmp_eq_u32_e64 s[18:19], 0, v23
	v_cndmask_b32_e64 v10, 0, v10, s[20:21]
	v_mov_b32_e32 v14, 0x78
	v_cndmask_b32_e64 v32, v10, v14, s[18:19]
	v_or_b32_e32 v11, 0x800000, v2
	v_add_u32_e32 v10, 20, v32
	v_cndmask_b32_e64 v2, v11, v2, s[18:19]
	v_lshlrev_b64 v[10:11], v10, -1
	v_add_u32_e32 v14, 19, v32
	v_lshlrev_b64 v[14:15], v14, 1
	v_bfi_b32 v11, v11, 0, 0
	v_bfi_b32 v10, v10, 0, v2
	v_cmp_eq_u64_e64 s[20:21], v[10:11], v[14:15]
	v_lshrrev_b64 v[10:11], v32, v[2:3]
	v_mov_b32_e32 v15, v11
	v_mov_b32_e32 v14, v10
	s_and_saveexec_b64 s[94:95], s[20:21]
; %bb.5681:                             ;   in Loop: Header=BB6_5395 Depth=2
	v_bfe_u32 v2, v10, 20, 1
	v_add_co_u32_e64 v2, s[20:21], v10, v2
	v_add_co_u32_e64 v14, s[20:21], -1, v2
; %bb.5682:                             ;   in Loop: Header=BB6_5395 Depth=2
	s_or_b64 exec, exec, s[94:95]
	v_add_u32_e32 v2, 0xffffff81, v23
	v_mov_b32_e32 v11, 0xffffff82
	v_cndmask_b32_e64 v2, v2, v11, s[18:19]
	v_lshrrev_b32_e32 v11, 23, v10
	v_add3_u32 v23, v32, v2, v11
	v_add_u32_e32 v15, 6, v23
	v_and_b32_e32 v2, 0xfffff, v14
	v_add_u32_e32 v2, v2, v10
	v_cmp_ne_u32_e64 s[18:19], 0, v15
                                        ; implicit-def: $vgpr10_vgpr11
                                        ; implicit-def: $vgpr14
	s_and_saveexec_b64 s[20:21], s[18:19]
	s_xor_b64 s[20:21], exec, s[20:21]
; %bb.5683:                             ;   in Loop: Header=BB6_5395 Depth=2
	v_cmp_lt_u64_e64 s[18:19], s[58:59], v[2:3]
	v_add_u32_e32 v10, 7, v23
	v_cndmask_b32_e64 v14, v15, v10, s[18:19]
	v_cndmask_b32_e64 v10, 0, 1, s[18:19]
	v_lshrrev_b64 v[10:11], v10, v[2:3]
; %bb.5684:                             ;   in Loop: Header=BB6_5395 Depth=2
	s_andn2_saveexec_b64 s[18:19], s[20:21]
; %bb.5685:                             ;   in Loop: Header=BB6_5395 Depth=2
	v_mov_b32_e32 v11, v3
	v_bfe_u32 v14, v2, 23, 1
	v_mov_b32_e32 v10, v2
; %bb.5686:                             ;   in Loop: Header=BB6_5395 Depth=2
	s_or_b64 exec, exec, s[18:19]
	v_lshrrev_b64 v[10:11], 20, v[10:11]
	v_cmp_gt_i32_e64 s[18:19], 16, v14
	v_cndmask_b32_e64 v11, 0, v11, s[18:19]
	v_cndmask_b32_e64 v10, 7, v10, s[18:19]
	v_min_i32_e32 v2, 15, v14
	v_cmp_eq_u64_e64 s[20:21], 0, v[10:11]
	v_lshlrev_b32_e32 v2, 3, v2
	v_cmp_eq_u32_e64 s[18:19], 0, v14
	v_and_b32_e32 v2, 0xf8, v2
	v_and_or_b32 v2, v10, 7, v2
	s_and_b64 s[18:19], s[18:19], s[20:21]
	v_cndmask_b32_e64 v2, v2, 0, s[18:19]
	v_or_b32_e32 v32, v2, v22
.LBB6_5687:                             ;   in Loop: Header=BB6_5395 Depth=2
	s_or_b64 exec, exec, s[92:93]
                                        ; implicit-def: $vgpr22
.LBB6_5688:                             ;   in Loop: Header=BB6_5395 Depth=2
	s_andn2_saveexec_b64 s[18:19], s[90:91]
; %bb.5689:                             ;   in Loop: Header=BB6_5395 Depth=2
	v_or_b32_e32 v32, 0x7e, v22
; %bb.5690:                             ;   in Loop: Header=BB6_5395 Depth=2
	s_or_b64 exec, exec, s[18:19]
                                        ; implicit-def: $vgpr10
.LBB6_5691:                             ;   in Loop: Header=BB6_5395 Depth=2
	s_andn2_saveexec_b64 s[18:19], s[88:89]
; %bb.5692:                             ;   in Loop: Header=BB6_5395 Depth=2
	v_or_b32_sdwa v32, v10, s50 dst_sel:DWORD dst_unused:UNUSED_PAD src0_sel:BYTE_3 src1_sel:DWORD
; %bb.5693:                             ;   in Loop: Header=BB6_5395 Depth=2
	s_or_b64 exec, exec, s[18:19]
	v_cmp_lt_u32_e64 s[18:19], s61, v16
	v_mov_b32_e32 v10, 0
	s_and_saveexec_b64 s[20:21], s[18:19]
	s_cbranch_execz .LBB6_5699
; %bb.5694:                             ;   in Loop: Header=BB6_5395 Depth=2
	v_lshrrev_b32_e32 v2, 24, v16
	v_cmp_ne_u32_e64 s[18:19], s49, v2
	v_bfrev_b32_e32 v10, 1
	s_and_saveexec_b64 s[88:89], s[18:19]
	s_cbranch_execz .LBB6_5698
; %bb.5695:                             ;   in Loop: Header=BB6_5395 Depth=2
	v_bfe_u32 v11, v16, 24, 7
	v_cmp_ne_u32_e64 s[18:19], s50, v11
	v_mov_b32_e32 v10, 0x7f800001
	s_and_saveexec_b64 s[90:91], s[18:19]
	s_cbranch_execz .LBB6_5697
; %bb.5696:                             ;   in Loop: Header=BB6_5395 Depth=2
	v_and_b32_e32 v14, 7, v2
	v_ffbh_u32_e32 v10, v14
	v_min_u32_e32 v22, 32, v10
	v_subrev_u32_e32 v10, 28, v22
	v_lshrrev_b32_e32 v15, 3, v11
	v_cmp_gt_u32_e64 s[18:19], 8, v11
	v_lshlrev_b64 v[10:11], v10, v[2:3]
	v_sub_u32_e32 v11, 29, v22
	v_and_b32_e32 v10, 7, v10
	v_cndmask_b32_e64 v11, v15, v11, s[18:19]
	v_cndmask_b32_e64 v10, v14, v10, s[18:19]
	v_lshlrev_b32_e32 v2, 24, v2
	v_lshlrev_b32_e32 v10, 20, v10
	v_and_b32_e32 v2, 0x80000000, v2
	v_lshl_add_u32 v11, v11, 23, v57
	v_or3_b32 v10, v2, v11, v10
.LBB6_5697:                             ;   in Loop: Header=BB6_5395 Depth=2
	s_or_b64 exec, exec, s[90:91]
.LBB6_5698:                             ;   in Loop: Header=BB6_5395 Depth=2
	s_or_b64 exec, exec, s[88:89]
.LBB6_5699:                             ;   in Loop: Header=BB6_5395 Depth=2
	s_or_b64 exec, exec, s[20:21]
	v_bfe_u32 v11, v12, 24, 3
	v_ffbh_u32_e32 v14, v11
	v_min_u32_e32 v33, 32, v14
	v_lshrrev_b32_e32 v2, 24, v12
	v_subrev_u32_e32 v14, 28, v33
	v_lshlrev_b64 v[14:15], v14, v[2:3]
	v_bfe_u32 v22, v12, 24, 7
	v_bfe_u32 v23, v2, 3, 4
	v_sub_u32_e32 v15, 29, v33
	v_and_b32_e32 v14, 7, v14
	v_cmp_gt_u32_e64 s[18:19], 8, v22
	v_cndmask_b32_e64 v15, v23, v15, s[18:19]
	v_cndmask_b32_e64 v11, v11, v14, s[18:19]
	v_lshlrev_b32_e32 v11, 20, v11
	v_and_b32_e32 v14, 0x80000000, v12
	v_lshl_add_u32 v15, v15, 23, v57
	v_or3_b32 v11, v14, v15, v11
	v_cmp_ne_u32_e64 s[18:19], s50, v22
	v_cndmask_b32_e64 v11, v40, v11, s[18:19]
	v_cmp_ne_u32_e64 s[18:19], s49, v2
	v_cndmask_b32_e64 v2, v41, v11, s[18:19]
	v_cmp_lt_u32_e64 s[18:19], s61, v12
	v_cndmask_b32_e64 v2, 0, v2, s[18:19]
	v_add_f32_e32 v10, v2, v10
	v_and_b32_e32 v2, 0x7f800000, v10
	v_cmp_ne_u64_e64 s[18:19], s[46:47], v[2:3]
                                        ; implicit-def: $vgpr33
	s_and_saveexec_b64 s[20:21], s[18:19]
	s_xor_b64 s[88:89], exec, s[20:21]
	s_cbranch_execz .LBB6_5713
; %bb.5700:                             ;   in Loop: Header=BB6_5395 Depth=2
	v_and_b32_e32 v2, 0x7fffffff, v10
	v_cmp_gt_u64_e64 s[18:19], s[56:57], v[2:3]
	v_and_b32_sdwa v22, v10, s49 dst_sel:DWORD dst_unused:UNUSED_PAD src0_sel:BYTE_3 src1_sel:DWORD
                                        ; implicit-def: $vgpr33
	s_and_saveexec_b64 s[20:21], s[18:19]
	s_xor_b64 s[90:91], exec, s[20:21]
	s_cbranch_execz .LBB6_5710
; %bb.5701:                             ;   in Loop: Header=BB6_5395 Depth=2
	v_mov_b32_e32 v33, 0
	v_cmp_ne_u32_e64 s[18:19], 0, v10
	s_and_saveexec_b64 s[92:93], s[18:19]
	s_cbranch_execz .LBB6_5709
; %bb.5702:                             ;   in Loop: Header=BB6_5395 Depth=2
	v_bfe_u32 v23, v10, 23, 8
	v_and_b32_e32 v2, 0x7fffff, v10
	v_cmp_gt_u32_e64 s[20:21], s51, v23
	v_sub_u32_e32 v10, 0x79, v23
	v_cmp_eq_u32_e64 s[18:19], 0, v23
	v_cndmask_b32_e64 v10, 0, v10, s[20:21]
	v_mov_b32_e32 v14, 0x78
	v_cndmask_b32_e64 v33, v10, v14, s[18:19]
	v_or_b32_e32 v11, 0x800000, v2
	v_add_u32_e32 v10, 20, v33
	v_cndmask_b32_e64 v2, v11, v2, s[18:19]
	v_lshlrev_b64 v[10:11], v10, -1
	v_add_u32_e32 v14, 19, v33
	v_lshlrev_b64 v[14:15], v14, 1
	v_bfi_b32 v11, v11, 0, 0
	v_bfi_b32 v10, v10, 0, v2
	v_cmp_eq_u64_e64 s[20:21], v[10:11], v[14:15]
	v_lshrrev_b64 v[10:11], v33, v[2:3]
	v_mov_b32_e32 v15, v11
	v_mov_b32_e32 v14, v10
	s_and_saveexec_b64 s[94:95], s[20:21]
; %bb.5703:                             ;   in Loop: Header=BB6_5395 Depth=2
	v_bfe_u32 v2, v10, 20, 1
	v_add_co_u32_e64 v2, s[20:21], v10, v2
	v_add_co_u32_e64 v14, s[20:21], -1, v2
; %bb.5704:                             ;   in Loop: Header=BB6_5395 Depth=2
	s_or_b64 exec, exec, s[94:95]
	v_add_u32_e32 v2, 0xffffff81, v23
	v_mov_b32_e32 v11, 0xffffff82
	v_cndmask_b32_e64 v2, v2, v11, s[18:19]
	v_lshrrev_b32_e32 v11, 23, v10
	v_add3_u32 v23, v33, v2, v11
	v_add_u32_e32 v15, 6, v23
	v_and_b32_e32 v2, 0xfffff, v14
	v_add_u32_e32 v2, v2, v10
	v_cmp_ne_u32_e64 s[18:19], 0, v15
                                        ; implicit-def: $vgpr10_vgpr11
                                        ; implicit-def: $vgpr14
	s_and_saveexec_b64 s[20:21], s[18:19]
	s_xor_b64 s[20:21], exec, s[20:21]
; %bb.5705:                             ;   in Loop: Header=BB6_5395 Depth=2
	v_cmp_lt_u64_e64 s[18:19], s[58:59], v[2:3]
	v_add_u32_e32 v10, 7, v23
	v_cndmask_b32_e64 v14, v15, v10, s[18:19]
	v_cndmask_b32_e64 v10, 0, 1, s[18:19]
	v_lshrrev_b64 v[10:11], v10, v[2:3]
; %bb.5706:                             ;   in Loop: Header=BB6_5395 Depth=2
	s_andn2_saveexec_b64 s[18:19], s[20:21]
; %bb.5707:                             ;   in Loop: Header=BB6_5395 Depth=2
	v_mov_b32_e32 v11, v3
	v_bfe_u32 v14, v2, 23, 1
	v_mov_b32_e32 v10, v2
; %bb.5708:                             ;   in Loop: Header=BB6_5395 Depth=2
	s_or_b64 exec, exec, s[18:19]
	v_lshrrev_b64 v[10:11], 20, v[10:11]
	v_cmp_gt_i32_e64 s[18:19], 16, v14
	v_cndmask_b32_e64 v11, 0, v11, s[18:19]
	v_cndmask_b32_e64 v10, 7, v10, s[18:19]
	v_min_i32_e32 v2, 15, v14
	v_cmp_eq_u64_e64 s[20:21], 0, v[10:11]
	v_lshlrev_b32_e32 v2, 3, v2
	v_cmp_eq_u32_e64 s[18:19], 0, v14
	v_and_b32_e32 v2, 0xf8, v2
	v_and_or_b32 v2, v10, 7, v2
	s_and_b64 s[18:19], s[18:19], s[20:21]
	v_cndmask_b32_e64 v2, v2, 0, s[18:19]
	v_or_b32_e32 v33, v2, v22
.LBB6_5709:                             ;   in Loop: Header=BB6_5395 Depth=2
	s_or_b64 exec, exec, s[92:93]
                                        ; implicit-def: $vgpr22
.LBB6_5710:                             ;   in Loop: Header=BB6_5395 Depth=2
	s_andn2_saveexec_b64 s[18:19], s[90:91]
; %bb.5711:                             ;   in Loop: Header=BB6_5395 Depth=2
	v_or_b32_e32 v33, 0x7e, v22
; %bb.5712:                             ;   in Loop: Header=BB6_5395 Depth=2
	s_or_b64 exec, exec, s[18:19]
                                        ; implicit-def: $vgpr10
.LBB6_5713:                             ;   in Loop: Header=BB6_5395 Depth=2
	s_andn2_saveexec_b64 s[18:19], s[88:89]
; %bb.5714:                             ;   in Loop: Header=BB6_5395 Depth=2
	v_or_b32_sdwa v33, v10, s50 dst_sel:DWORD dst_unused:UNUSED_PAD src0_sel:BYTE_3 src1_sel:DWORD
; %bb.5715:                             ;   in Loop: Header=BB6_5395 Depth=2
	s_or_b64 exec, exec, s[18:19]
	v_mov_b32_e32 v2, v17
	v_cmp_ne_u16_sdwa s[18:19], v17, v3 src0_sel:BYTE_0 src1_sel:DWORD
	v_mov_b32_e32 v14, 0
	s_and_saveexec_b64 s[20:21], s[18:19]
	s_cbranch_execz .LBB6_5721
; %bb.5716:                             ;   in Loop: Header=BB6_5395 Depth=2
	v_cmp_ne_u16_sdwa s[18:19], v17, s49 src0_sel:BYTE_0 src1_sel:DWORD
	v_bfrev_b32_e32 v14, 1
	s_and_saveexec_b64 s[88:89], s[18:19]
	s_cbranch_execz .LBB6_5720
; %bb.5717:                             ;   in Loop: Header=BB6_5395 Depth=2
	v_and_b32_e32 v10, 0x7f, v17
	v_cmp_ne_u32_e64 s[18:19], s50, v10
	v_mov_b32_e32 v14, 0x7f800001
	s_and_saveexec_b64 s[90:91], s[18:19]
	s_cbranch_execz .LBB6_5719
; %bb.5718:                             ;   in Loop: Header=BB6_5395 Depth=2
	v_and_b32_e32 v11, 7, v17
	v_lshrrev_b32_e32 v14, 3, v10
	v_cmp_gt_u32_e64 s[18:19], 8, v10
	v_ffbh_u32_e32 v10, v11
	v_min_u32_e32 v10, 32, v10
	v_subrev_u32_e32 v11, 28, v10
	v_sub_u32_e32 v10, 29, v10
	v_cndmask_b32_e64 v14, v14, v10, s[18:19]
	v_cndmask_b32_e64 v10, 0, v11, s[18:19]
	v_lshlrev_b64 v[10:11], v10, v[2:3]
	v_lshlrev_b32_e32 v11, 24, v2
	v_lshlrev_b32_e32 v10, 20, v10
	v_and_b32_e32 v10, 0x700000, v10
	v_and_b32_e32 v11, 0x80000000, v11
	v_lshl_add_u32 v14, v14, 23, v57
	v_or3_b32 v14, v11, v14, v10
.LBB6_5719:                             ;   in Loop: Header=BB6_5395 Depth=2
	s_or_b64 exec, exec, s[90:91]
.LBB6_5720:                             ;   in Loop: Header=BB6_5395 Depth=2
	s_or_b64 exec, exec, s[88:89]
.LBB6_5721:                             ;   in Loop: Header=BB6_5395 Depth=2
	s_or_b64 exec, exec, s[20:21]
	v_cmp_gt_i16_sdwa s[20:21], v13, s50 src0_sel:BYTE_0 src1_sel:DWORD
	s_mov_b64 s[18:19], 0
	s_and_saveexec_b64 s[88:89], s[20:21]
	s_xor_b64 s[20:21], exec, s[88:89]
	s_cbranch_execz .LBB6_5725
; %bb.5722:                             ;   in Loop: Header=BB6_5395 Depth=2
	v_cmp_eq_u16_sdwa s[90:91], v13, s49 src0_sel:BYTE_0 src1_sel:DWORD
	s_mov_b64 s[18:19], -1
	s_and_saveexec_b64 s[88:89], s[90:91]
; %bb.5723:                             ;   in Loop: Header=BB6_5395 Depth=2
	s_xor_b64 s[18:19], exec, -1
; %bb.5724:                             ;   in Loop: Header=BB6_5395 Depth=2
	s_or_b64 exec, exec, s[88:89]
	s_and_b64 s[18:19], s[18:19], exec
.LBB6_5725:                             ;   in Loop: Header=BB6_5395 Depth=2
	s_or_saveexec_b64 s[20:21], s[20:21]
	v_bfrev_b32_e32 v15, 1
	s_xor_b64 exec, exec, s[20:21]
; %bb.5726:                             ;   in Loop: Header=BB6_5395 Depth=2
	v_cmp_ne_u16_sdwa s[88:89], v13, v3 src0_sel:BYTE_0 src1_sel:DWORD
	s_andn2_b64 s[18:19], s[18:19], exec
	s_and_b64 s[88:89], s[88:89], exec
	v_mov_b32_e32 v15, 0
	s_or_b64 s[18:19], s[18:19], s[88:89]
; %bb.5727:                             ;   in Loop: Header=BB6_5395 Depth=2
	s_or_b64 exec, exec, s[20:21]
	v_mov_b32_e32 v10, v13
	v_mov_b32_e32 v11, v3
	s_and_saveexec_b64 s[20:21], s[18:19]
	s_cbranch_execz .LBB6_5729
; %bb.5728:                             ;   in Loop: Header=BB6_5395 Depth=2
	v_and_b32_e32 v15, 7, v13
	v_ffbh_u32_e32 v15, v15
	v_and_b32_e32 v34, 0x7f, v13
	v_min_u32_e32 v15, 32, v15
	v_bfe_u32 v22, v13, 3, 4
	v_subrev_u32_e32 v23, 28, v15
	v_sub_u32_e32 v15, 29, v15
	v_cmp_gt_u32_e64 s[18:19], 8, v34
	v_cndmask_b32_e64 v15, v22, v15, s[18:19]
	v_cndmask_b32_e64 v22, 0, v23, s[18:19]
	v_lshlrev_b64 v[22:23], v22, v[10:11]
	v_lshl_add_u32 v15, v15, 23, v57
	v_lshlrev_b32_e32 v11, 20, v22
	v_lshlrev_b32_e32 v22, 24, v10
	v_and_b32_e32 v11, 0x700000, v11
	v_and_b32_e32 v22, 0x80000000, v22
	v_or3_b32 v11, v22, v15, v11
	v_cmp_ne_u32_e64 s[18:19], s50, v34
	v_cndmask_b32_e64 v15, v40, v11, s[18:19]
.LBB6_5729:                             ;   in Loop: Header=BB6_5395 Depth=2
	s_or_b64 exec, exec, s[20:21]
	v_add_f32_e32 v14, v14, v15
	v_and_b32_e32 v22, 0x7f800000, v14
	v_mov_b32_e32 v23, v3
	v_cmp_ne_u64_e64 s[18:19], s[46:47], v[22:23]
                                        ; implicit-def: $vgpr22
	s_and_saveexec_b64 s[20:21], s[18:19]
	s_xor_b64 s[88:89], exec, s[20:21]
	s_cbranch_execz .LBB6_5743
; %bb.5730:                             ;   in Loop: Header=BB6_5395 Depth=2
	v_and_b32_e32 v22, 0x7fffffff, v14
	v_mov_b32_e32 v23, v3
	v_cmp_gt_u64_e64 s[18:19], s[56:57], v[22:23]
	v_and_b32_sdwa v11, v14, s49 dst_sel:DWORD dst_unused:UNUSED_PAD src0_sel:BYTE_3 src1_sel:DWORD
                                        ; implicit-def: $vgpr22
	s_and_saveexec_b64 s[20:21], s[18:19]
	s_xor_b64 s[90:91], exec, s[20:21]
	s_cbranch_execz .LBB6_5740
; %bb.5731:                             ;   in Loop: Header=BB6_5395 Depth=2
	v_mov_b32_e32 v22, 0
	v_cmp_ne_u32_e64 s[18:19], 0, v14
	s_and_saveexec_b64 s[92:93], s[18:19]
	s_cbranch_execz .LBB6_5739
; %bb.5732:                             ;   in Loop: Header=BB6_5395 Depth=2
	v_bfe_u32 v34, v14, 23, 8
	v_and_b32_e32 v15, 0x7fffff, v14
	v_cmp_gt_u32_e64 s[20:21], s51, v34
	v_sub_u32_e32 v14, 0x79, v34
	v_cmp_eq_u32_e64 s[18:19], 0, v34
	v_cndmask_b32_e64 v14, 0, v14, s[20:21]
	v_mov_b32_e32 v23, 0x78
	v_or_b32_e32 v22, 0x800000, v15
	v_cndmask_b32_e64 v35, v14, v23, s[18:19]
	v_cndmask_b32_e64 v14, v22, v15, s[18:19]
	v_add_u32_e32 v22, 20, v35
	v_lshlrev_b64 v[22:23], v22, -1
	v_mov_b32_e32 v15, v3
	v_add_u32_e32 v36, 19, v35
	v_bfi_b32 v22, v22, 0, v14
	v_lshlrev_b64 v[36:37], v36, 1
	v_lshrrev_b64 v[14:15], v35, v[14:15]
	v_bfi_b32 v23, v23, 0, 0
	v_cmp_eq_u64_e64 s[20:21], v[22:23], v[36:37]
	v_mov_b32_e32 v23, v15
	v_mov_b32_e32 v22, v14
	s_and_saveexec_b64 s[94:95], s[20:21]
; %bb.5733:                             ;   in Loop: Header=BB6_5395 Depth=2
	v_bfe_u32 v15, v14, 20, 1
	v_add_co_u32_e64 v15, s[20:21], v14, v15
	v_add_co_u32_e64 v22, s[20:21], -1, v15
; %bb.5734:                             ;   in Loop: Header=BB6_5395 Depth=2
	s_or_b64 exec, exec, s[94:95]
	v_add_u32_e32 v15, 0xffffff81, v34
	v_mov_b32_e32 v23, 0xffffff82
	v_cndmask_b32_e64 v15, v15, v23, s[18:19]
	v_lshrrev_b32_e32 v23, 23, v14
	v_add3_u32 v34, v35, v15, v23
	v_add_u32_e32 v23, 6, v34
	v_and_b32_e32 v15, 0xfffff, v22
	v_add_u32_e32 v14, v15, v14
	v_mov_b32_e32 v15, v3
	v_cmp_ne_u32_e64 s[18:19], 0, v23
                                        ; implicit-def: $vgpr22
	s_and_saveexec_b64 s[20:21], s[18:19]
	s_xor_b64 s[20:21], exec, s[20:21]
; %bb.5735:                             ;   in Loop: Header=BB6_5395 Depth=2
	v_cmp_lt_u64_e64 s[18:19], s[58:59], v[14:15]
	v_add_u32_e32 v22, 7, v34
	v_cndmask_b32_e64 v22, v23, v22, s[18:19]
	v_cndmask_b32_e64 v23, 0, 1, s[18:19]
	v_lshrrev_b64 v[14:15], v23, v[14:15]
; %bb.5736:                             ;   in Loop: Header=BB6_5395 Depth=2
	s_andn2_saveexec_b64 s[18:19], s[20:21]
; %bb.5737:                             ;   in Loop: Header=BB6_5395 Depth=2
	v_bfe_u32 v22, v14, 23, 1
; %bb.5738:                             ;   in Loop: Header=BB6_5395 Depth=2
	s_or_b64 exec, exec, s[18:19]
	v_lshrrev_b64 v[14:15], 20, v[14:15]
	v_cmp_gt_i32_e64 s[18:19], 16, v22
	v_cndmask_b32_e64 v15, 0, v15, s[18:19]
	v_cndmask_b32_e64 v14, 7, v14, s[18:19]
	v_cmp_eq_u64_e64 s[20:21], 0, v[14:15]
	v_min_i32_e32 v15, 15, v22
	v_lshlrev_b32_e32 v15, 3, v15
	v_cmp_eq_u32_e64 s[18:19], 0, v22
	v_and_b32_e32 v15, 0xf8, v15
	v_and_or_b32 v14, v14, 7, v15
	s_and_b64 s[18:19], s[18:19], s[20:21]
	v_cndmask_b32_e64 v14, v14, 0, s[18:19]
	v_or_b32_e32 v22, v14, v11
.LBB6_5739:                             ;   in Loop: Header=BB6_5395 Depth=2
	s_or_b64 exec, exec, s[92:93]
                                        ; implicit-def: $vgpr11
.LBB6_5740:                             ;   in Loop: Header=BB6_5395 Depth=2
	s_andn2_saveexec_b64 s[18:19], s[90:91]
; %bb.5741:                             ;   in Loop: Header=BB6_5395 Depth=2
	v_or_b32_e32 v22, 0x7e, v11
; %bb.5742:                             ;   in Loop: Header=BB6_5395 Depth=2
	s_or_b64 exec, exec, s[18:19]
                                        ; implicit-def: $vgpr14
.LBB6_5743:                             ;   in Loop: Header=BB6_5395 Depth=2
	s_andn2_saveexec_b64 s[18:19], s[88:89]
; %bb.5744:                             ;   in Loop: Header=BB6_5395 Depth=2
	v_or_b32_sdwa v22, v14, s50 dst_sel:DWORD dst_unused:UNUSED_PAD src0_sel:BYTE_3 src1_sel:DWORD
; %bb.5745:                             ;   in Loop: Header=BB6_5395 Depth=2
	s_or_b64 exec, exec, s[18:19]
	v_lshrrev_b16_e32 v11, 8, v2
	v_cmp_ne_u16_e64 s[18:19], 0, v11
	v_mov_b32_e32 v14, 0
	s_and_saveexec_b64 s[20:21], s[18:19]
	s_cbranch_execz .LBB6_5751
; %bb.5746:                             ;   in Loop: Header=BB6_5395 Depth=2
	v_cmp_ne_u16_e64 s[18:19], s49, v11
	v_bfrev_b32_e32 v14, 1
	s_and_saveexec_b64 s[88:89], s[18:19]
	s_cbranch_execz .LBB6_5750
; %bb.5747:                             ;   in Loop: Header=BB6_5395 Depth=2
	v_and_b32_e32 v15, 0x7f, v11
	v_cmp_ne_u32_e64 s[18:19], s50, v15
	v_mov_b32_e32 v14, 0x7f800001
	s_and_saveexec_b64 s[90:91], s[18:19]
	s_cbranch_execz .LBB6_5749
; %bb.5748:                             ;   in Loop: Header=BB6_5395 Depth=2
	v_and_b32_e32 v23, 7, v11
	v_ffbh_u32_e32 v14, v23
	v_min_u32_e32 v35, 32, v14
	v_subrev_u32_e32 v14, 28, v35
	v_lshrrev_b32_e32 v34, 3, v15
	v_cmp_gt_u32_e64 s[18:19], 8, v15
	v_lshlrev_b64 v[14:15], v14, v[11:12]
	v_sub_u32_e32 v11, 29, v35
	v_and_b32_e32 v14, 7, v14
	v_cndmask_b32_e64 v11, v34, v11, s[18:19]
	v_cndmask_b32_e64 v14, v23, v14, s[18:19]
	v_lshlrev_b32_e32 v2, 16, v2
	v_lshlrev_b32_e32 v14, 20, v14
	v_and_b32_e32 v2, 0x80000000, v2
	v_lshl_add_u32 v11, v11, 23, v57
	v_or3_b32 v14, v2, v11, v14
.LBB6_5749:                             ;   in Loop: Header=BB6_5395 Depth=2
	s_or_b64 exec, exec, s[90:91]
.LBB6_5750:                             ;   in Loop: Header=BB6_5395 Depth=2
	s_or_b64 exec, exec, s[88:89]
.LBB6_5751:                             ;   in Loop: Header=BB6_5395 Depth=2
	s_or_b64 exec, exec, s[20:21]
	v_lshrrev_b16_e32 v2, 8, v10
	v_cmp_lt_i16_e64 s[18:19], s50, v2
	s_mov_b64 s[20:21], 0
	s_and_saveexec_b64 s[88:89], s[18:19]
	s_xor_b64 s[88:89], exec, s[88:89]
	s_cbranch_execz .LBB6_5839
; %bb.5752:                             ;   in Loop: Header=BB6_5395 Depth=2
	v_cmp_eq_u16_e64 s[18:19], s49, v2
	s_mov_b64 s[20:21], -1
	s_and_saveexec_b64 s[90:91], s[18:19]
; %bb.5753:                             ;   in Loop: Header=BB6_5395 Depth=2
	s_xor_b64 s[20:21], exec, -1
; %bb.5754:                             ;   in Loop: Header=BB6_5395 Depth=2
	s_or_b64 exec, exec, s[90:91]
	s_and_b64 s[20:21], s[20:21], exec
	s_or_saveexec_b64 s[88:89], s[88:89]
	v_bfrev_b32_e32 v10, 1
	s_xor_b64 exec, exec, s[88:89]
	s_cbranch_execnz .LBB6_5840
.LBB6_5755:                             ;   in Loop: Header=BB6_5395 Depth=2
	s_or_b64 exec, exec, s[88:89]
	s_and_saveexec_b64 s[88:89], s[20:21]
	s_cbranch_execz .LBB6_5757
.LBB6_5756:                             ;   in Loop: Header=BB6_5395 Depth=2
	v_and_b32_e32 v15, 7, v2
	v_ffbh_u32_e32 v10, v15
	v_min_u32_e32 v35, 32, v10
	v_subrev_u32_e32 v10, 28, v35
	v_lshlrev_b64 v[10:11], v10, v[2:3]
	v_and_b32_e32 v23, 0x7f, v2
	v_bfe_u32 v34, v2, 3, 4
	v_sub_u32_e32 v11, 29, v35
	v_and_b32_e32 v10, 7, v10
	v_cmp_gt_u32_e64 s[18:19], 8, v23
	v_cndmask_b32_e64 v11, v34, v11, s[18:19]
	v_cndmask_b32_e64 v10, v15, v10, s[18:19]
	v_lshlrev_b32_e32 v2, 24, v2
	v_lshlrev_b32_e32 v10, 20, v10
	v_and_b32_e32 v2, 0x80000000, v2
	v_lshl_add_u32 v11, v11, 23, v57
	v_or3_b32 v2, v2, v11, v10
	v_cmp_ne_u32_e64 s[18:19], s50, v23
	v_cndmask_b32_e64 v10, v40, v2, s[18:19]
.LBB6_5757:                             ;   in Loop: Header=BB6_5395 Depth=2
	s_or_b64 exec, exec, s[88:89]
	v_add_f32_e32 v10, v14, v10
	v_and_b32_e32 v2, 0x7f800000, v10
	v_cmp_ne_u64_e64 s[18:19], s[46:47], v[2:3]
                                        ; implicit-def: $vgpr23
	s_and_saveexec_b64 s[20:21], s[18:19]
	s_xor_b64 s[88:89], exec, s[20:21]
	s_cbranch_execz .LBB6_5771
; %bb.5758:                             ;   in Loop: Header=BB6_5395 Depth=2
	v_and_b32_e32 v2, 0x7fffffff, v10
	v_cmp_gt_u64_e64 s[18:19], s[56:57], v[2:3]
	v_and_b32_sdwa v34, v10, s49 dst_sel:DWORD dst_unused:UNUSED_PAD src0_sel:BYTE_3 src1_sel:DWORD
                                        ; implicit-def: $vgpr23
	s_and_saveexec_b64 s[20:21], s[18:19]
	s_xor_b64 s[90:91], exec, s[20:21]
	s_cbranch_execz .LBB6_5768
; %bb.5759:                             ;   in Loop: Header=BB6_5395 Depth=2
	v_mov_b32_e32 v23, 0
	v_cmp_ne_u32_e64 s[18:19], 0, v10
	s_and_saveexec_b64 s[92:93], s[18:19]
	s_cbranch_execz .LBB6_5767
; %bb.5760:                             ;   in Loop: Header=BB6_5395 Depth=2
	v_bfe_u32 v23, v10, 23, 8
	v_and_b32_e32 v2, 0x7fffff, v10
	v_cmp_gt_u32_e64 s[20:21], s51, v23
	v_sub_u32_e32 v10, 0x79, v23
	v_cmp_eq_u32_e64 s[18:19], 0, v23
	v_cndmask_b32_e64 v10, 0, v10, s[20:21]
	v_mov_b32_e32 v14, 0x78
	v_cndmask_b32_e64 v35, v10, v14, s[18:19]
	v_or_b32_e32 v11, 0x800000, v2
	v_add_u32_e32 v10, 20, v35
	v_cndmask_b32_e64 v2, v11, v2, s[18:19]
	v_lshlrev_b64 v[10:11], v10, -1
	v_add_u32_e32 v14, 19, v35
	v_lshlrev_b64 v[14:15], v14, 1
	v_bfi_b32 v11, v11, 0, 0
	v_bfi_b32 v10, v10, 0, v2
	v_cmp_eq_u64_e64 s[20:21], v[10:11], v[14:15]
	v_lshrrev_b64 v[10:11], v35, v[2:3]
	v_mov_b32_e32 v15, v11
	v_mov_b32_e32 v14, v10
	s_and_saveexec_b64 s[94:95], s[20:21]
; %bb.5761:                             ;   in Loop: Header=BB6_5395 Depth=2
	v_bfe_u32 v2, v10, 20, 1
	v_add_co_u32_e64 v2, s[20:21], v10, v2
	v_add_co_u32_e64 v14, s[20:21], -1, v2
; %bb.5762:                             ;   in Loop: Header=BB6_5395 Depth=2
	s_or_b64 exec, exec, s[94:95]
	v_add_u32_e32 v2, 0xffffff81, v23
	v_mov_b32_e32 v11, 0xffffff82
	v_cndmask_b32_e64 v2, v2, v11, s[18:19]
	v_lshrrev_b32_e32 v11, 23, v10
	v_add3_u32 v23, v35, v2, v11
	v_add_u32_e32 v15, 6, v23
	v_and_b32_e32 v2, 0xfffff, v14
	v_add_u32_e32 v2, v2, v10
	v_cmp_ne_u32_e64 s[18:19], 0, v15
                                        ; implicit-def: $vgpr10_vgpr11
                                        ; implicit-def: $vgpr14
	s_and_saveexec_b64 s[20:21], s[18:19]
	s_xor_b64 s[20:21], exec, s[20:21]
; %bb.5763:                             ;   in Loop: Header=BB6_5395 Depth=2
	v_cmp_lt_u64_e64 s[18:19], s[58:59], v[2:3]
	v_add_u32_e32 v10, 7, v23
	v_cndmask_b32_e64 v14, v15, v10, s[18:19]
	v_cndmask_b32_e64 v10, 0, 1, s[18:19]
	v_lshrrev_b64 v[10:11], v10, v[2:3]
; %bb.5764:                             ;   in Loop: Header=BB6_5395 Depth=2
	s_andn2_saveexec_b64 s[18:19], s[20:21]
; %bb.5765:                             ;   in Loop: Header=BB6_5395 Depth=2
	v_mov_b32_e32 v11, v3
	v_bfe_u32 v14, v2, 23, 1
	v_mov_b32_e32 v10, v2
; %bb.5766:                             ;   in Loop: Header=BB6_5395 Depth=2
	s_or_b64 exec, exec, s[18:19]
	v_lshrrev_b64 v[10:11], 20, v[10:11]
	v_cmp_gt_i32_e64 s[18:19], 16, v14
	v_cndmask_b32_e64 v11, 0, v11, s[18:19]
	v_cndmask_b32_e64 v10, 7, v10, s[18:19]
	v_min_i32_e32 v2, 15, v14
	v_cmp_eq_u64_e64 s[20:21], 0, v[10:11]
	v_lshlrev_b32_e32 v2, 3, v2
	v_cmp_eq_u32_e64 s[18:19], 0, v14
	v_and_b32_e32 v2, 0xf8, v2
	v_and_or_b32 v2, v10, 7, v2
	s_and_b64 s[18:19], s[18:19], s[20:21]
	v_cndmask_b32_e64 v2, v2, 0, s[18:19]
	v_or_b32_e32 v23, v2, v34
.LBB6_5767:                             ;   in Loop: Header=BB6_5395 Depth=2
	s_or_b64 exec, exec, s[92:93]
                                        ; implicit-def: $vgpr34
.LBB6_5768:                             ;   in Loop: Header=BB6_5395 Depth=2
	s_andn2_saveexec_b64 s[18:19], s[90:91]
; %bb.5769:                             ;   in Loop: Header=BB6_5395 Depth=2
	v_or_b32_e32 v23, 0x7e, v34
; %bb.5770:                             ;   in Loop: Header=BB6_5395 Depth=2
	s_or_b64 exec, exec, s[18:19]
                                        ; implicit-def: $vgpr10
.LBB6_5771:                             ;   in Loop: Header=BB6_5395 Depth=2
	s_andn2_saveexec_b64 s[18:19], s[88:89]
; %bb.5772:                             ;   in Loop: Header=BB6_5395 Depth=2
	v_or_b32_sdwa v23, v10, s50 dst_sel:DWORD dst_unused:UNUSED_PAD src0_sel:BYTE_3 src1_sel:DWORD
; %bb.5773:                             ;   in Loop: Header=BB6_5395 Depth=2
	s_or_b64 exec, exec, s[18:19]
	v_lshrrev_b32_e32 v2, 16, v17
	v_cmp_ne_u16_sdwa s[18:19], v2, v3 src0_sel:BYTE_0 src1_sel:DWORD
	v_mov_b32_e32 v10, 0
	s_and_saveexec_b64 s[20:21], s[18:19]
	s_cbranch_execz .LBB6_5779
; %bb.5774:                             ;   in Loop: Header=BB6_5395 Depth=2
	v_cmp_ne_u16_sdwa s[18:19], v2, s49 src0_sel:BYTE_0 src1_sel:DWORD
	v_bfrev_b32_e32 v10, 1
	s_and_saveexec_b64 s[88:89], s[18:19]
	s_cbranch_execz .LBB6_5778
; %bb.5775:                             ;   in Loop: Header=BB6_5395 Depth=2
	v_bfe_u32 v11, v17, 16, 7
	v_cmp_ne_u32_e64 s[18:19], s50, v11
	v_mov_b32_e32 v10, 0x7f800001
	s_and_saveexec_b64 s[90:91], s[18:19]
	s_cbranch_execz .LBB6_5777
; %bb.5776:                             ;   in Loop: Header=BB6_5395 Depth=2
	v_and_b32_e32 v14, 7, v2
	v_ffbh_u32_e32 v10, v14
	v_min_u32_e32 v34, 32, v10
	v_subrev_u32_e32 v10, 28, v34
	v_lshrrev_b32_e32 v15, 3, v11
	v_cmp_gt_u32_e64 s[18:19], 8, v11
	v_lshlrev_b64 v[10:11], v10, v[2:3]
	v_sub_u32_e32 v11, 29, v34
	v_and_b32_e32 v10, 7, v10
	v_cndmask_b32_e64 v11, v15, v11, s[18:19]
	v_cndmask_b32_e64 v10, v14, v10, s[18:19]
	v_lshlrev_b32_e32 v2, 24, v2
	v_lshlrev_b32_e32 v10, 20, v10
	v_and_b32_e32 v2, 0x80000000, v2
	v_lshl_add_u32 v11, v11, 23, v57
	v_or3_b32 v10, v2, v11, v10
.LBB6_5777:                             ;   in Loop: Header=BB6_5395 Depth=2
	s_or_b64 exec, exec, s[90:91]
.LBB6_5778:                             ;   in Loop: Header=BB6_5395 Depth=2
	s_or_b64 exec, exec, s[88:89]
.LBB6_5779:                             ;   in Loop: Header=BB6_5395 Depth=2
	s_or_b64 exec, exec, s[20:21]
	v_lshrrev_b32_e32 v2, 16, v13
	v_cmp_gt_i16_sdwa s[20:21], v2, s50 src0_sel:BYTE_0 src1_sel:DWORD
	s_mov_b64 s[18:19], 0
	s_and_saveexec_b64 s[88:89], s[20:21]
	s_xor_b64 s[20:21], exec, s[88:89]
	s_cbranch_execz .LBB6_5841
; %bb.5780:                             ;   in Loop: Header=BB6_5395 Depth=2
	v_cmp_eq_u16_sdwa s[90:91], v2, s49 src0_sel:BYTE_0 src1_sel:DWORD
	s_mov_b64 s[18:19], -1
	s_and_saveexec_b64 s[88:89], s[90:91]
; %bb.5781:                             ;   in Loop: Header=BB6_5395 Depth=2
	s_xor_b64 s[18:19], exec, -1
; %bb.5782:                             ;   in Loop: Header=BB6_5395 Depth=2
	s_or_b64 exec, exec, s[88:89]
	s_and_b64 s[18:19], s[18:19], exec
	s_or_saveexec_b64 s[20:21], s[20:21]
	v_bfrev_b32_e32 v11, 1
	s_xor_b64 exec, exec, s[20:21]
	s_cbranch_execnz .LBB6_5842
.LBB6_5783:                             ;   in Loop: Header=BB6_5395 Depth=2
	s_or_b64 exec, exec, s[20:21]
	s_and_saveexec_b64 s[20:21], s[18:19]
	s_cbranch_execz .LBB6_5785
.LBB6_5784:                             ;   in Loop: Header=BB6_5395 Depth=2
	v_and_b32_e32 v11, 7, v2
	v_ffbh_u32_e32 v14, v11
	v_min_u32_e32 v36, 32, v14
	v_subrev_u32_e32 v14, 28, v36
	v_lshlrev_b64 v[14:15], v14, v[2:3]
	v_and_b32_e32 v34, 0x7f, v2
	v_bfe_u32 v35, v2, 3, 4
	v_sub_u32_e32 v15, 29, v36
	v_and_b32_e32 v14, 7, v14
	v_cmp_gt_u32_e64 s[18:19], 8, v34
	v_cndmask_b32_e64 v15, v35, v15, s[18:19]
	v_cndmask_b32_e64 v11, v11, v14, s[18:19]
	v_lshlrev_b32_e32 v2, 24, v2
	v_lshlrev_b32_e32 v11, 20, v11
	v_and_b32_e32 v2, 0x80000000, v2
	v_lshl_add_u32 v14, v15, 23, v57
	v_or3_b32 v2, v2, v14, v11
	v_cmp_ne_u32_e64 s[18:19], s50, v34
	v_cndmask_b32_e64 v11, v40, v2, s[18:19]
.LBB6_5785:                             ;   in Loop: Header=BB6_5395 Depth=2
	s_or_b64 exec, exec, s[20:21]
	v_add_f32_e32 v10, v10, v11
	v_and_b32_e32 v2, 0x7f800000, v10
	v_cmp_ne_u64_e64 s[18:19], s[46:47], v[2:3]
                                        ; implicit-def: $vgpr14
	s_and_saveexec_b64 s[20:21], s[18:19]
	s_xor_b64 s[88:89], exec, s[20:21]
	s_cbranch_execz .LBB6_5799
; %bb.5786:                             ;   in Loop: Header=BB6_5395 Depth=2
	v_and_b32_e32 v2, 0x7fffffff, v10
	v_cmp_gt_u64_e64 s[18:19], s[56:57], v[2:3]
	v_and_b32_sdwa v34, v10, s49 dst_sel:DWORD dst_unused:UNUSED_PAD src0_sel:BYTE_3 src1_sel:DWORD
                                        ; implicit-def: $vgpr14
	s_and_saveexec_b64 s[20:21], s[18:19]
	s_xor_b64 s[90:91], exec, s[20:21]
	s_cbranch_execz .LBB6_5796
; %bb.5787:                             ;   in Loop: Header=BB6_5395 Depth=2
	v_mov_b32_e32 v14, 0
	v_cmp_ne_u32_e64 s[18:19], 0, v10
	s_and_saveexec_b64 s[92:93], s[18:19]
	s_cbranch_execz .LBB6_5795
; %bb.5788:                             ;   in Loop: Header=BB6_5395 Depth=2
	v_bfe_u32 v35, v10, 23, 8
	v_and_b32_e32 v2, 0x7fffff, v10
	v_cmp_gt_u32_e64 s[20:21], s51, v35
	v_sub_u32_e32 v10, 0x79, v35
	v_cmp_eq_u32_e64 s[18:19], 0, v35
	v_cndmask_b32_e64 v10, 0, v10, s[20:21]
	v_mov_b32_e32 v14, 0x78
	v_cndmask_b32_e64 v36, v10, v14, s[18:19]
	v_or_b32_e32 v11, 0x800000, v2
	v_add_u32_e32 v10, 20, v36
	v_cndmask_b32_e64 v2, v11, v2, s[18:19]
	v_lshlrev_b64 v[10:11], v10, -1
	v_add_u32_e32 v14, 19, v36
	v_lshlrev_b64 v[14:15], v14, 1
	v_bfi_b32 v11, v11, 0, 0
	v_bfi_b32 v10, v10, 0, v2
	v_cmp_eq_u64_e64 s[20:21], v[10:11], v[14:15]
	v_lshrrev_b64 v[10:11], v36, v[2:3]
	v_mov_b32_e32 v15, v11
	v_mov_b32_e32 v14, v10
	s_and_saveexec_b64 s[94:95], s[20:21]
; %bb.5789:                             ;   in Loop: Header=BB6_5395 Depth=2
	v_bfe_u32 v2, v10, 20, 1
	v_add_co_u32_e64 v2, s[20:21], v10, v2
	v_add_co_u32_e64 v14, s[20:21], -1, v2
; %bb.5790:                             ;   in Loop: Header=BB6_5395 Depth=2
	s_or_b64 exec, exec, s[94:95]
	v_add_u32_e32 v2, 0xffffff81, v35
	v_mov_b32_e32 v11, 0xffffff82
	v_cndmask_b32_e64 v2, v2, v11, s[18:19]
	v_lshrrev_b32_e32 v11, 23, v10
	v_add3_u32 v35, v36, v2, v11
	v_add_u32_e32 v15, 6, v35
	v_and_b32_e32 v2, 0xfffff, v14
	v_add_u32_e32 v2, v2, v10
	v_cmp_ne_u32_e64 s[18:19], 0, v15
                                        ; implicit-def: $vgpr10_vgpr11
                                        ; implicit-def: $vgpr14
	s_and_saveexec_b64 s[20:21], s[18:19]
	s_xor_b64 s[20:21], exec, s[20:21]
; %bb.5791:                             ;   in Loop: Header=BB6_5395 Depth=2
	v_cmp_lt_u64_e64 s[18:19], s[58:59], v[2:3]
	v_add_u32_e32 v10, 7, v35
	v_cndmask_b32_e64 v14, v15, v10, s[18:19]
	v_cndmask_b32_e64 v10, 0, 1, s[18:19]
	v_lshrrev_b64 v[10:11], v10, v[2:3]
; %bb.5792:                             ;   in Loop: Header=BB6_5395 Depth=2
	s_andn2_saveexec_b64 s[18:19], s[20:21]
; %bb.5793:                             ;   in Loop: Header=BB6_5395 Depth=2
	v_mov_b32_e32 v11, v3
	v_bfe_u32 v14, v2, 23, 1
	v_mov_b32_e32 v10, v2
; %bb.5794:                             ;   in Loop: Header=BB6_5395 Depth=2
	s_or_b64 exec, exec, s[18:19]
	v_lshrrev_b64 v[10:11], 20, v[10:11]
	v_cmp_gt_i32_e64 s[18:19], 16, v14
	v_cndmask_b32_e64 v11, 0, v11, s[18:19]
	v_cndmask_b32_e64 v10, 7, v10, s[18:19]
	v_min_i32_e32 v2, 15, v14
	v_cmp_eq_u64_e64 s[20:21], 0, v[10:11]
	v_lshlrev_b32_e32 v2, 3, v2
	v_cmp_eq_u32_e64 s[18:19], 0, v14
	v_and_b32_e32 v2, 0xf8, v2
	v_and_or_b32 v2, v10, 7, v2
	s_and_b64 s[18:19], s[18:19], s[20:21]
	v_cndmask_b32_e64 v2, v2, 0, s[18:19]
	v_or_b32_e32 v14, v2, v34
.LBB6_5795:                             ;   in Loop: Header=BB6_5395 Depth=2
	s_or_b64 exec, exec, s[92:93]
                                        ; implicit-def: $vgpr34
.LBB6_5796:                             ;   in Loop: Header=BB6_5395 Depth=2
	s_andn2_saveexec_b64 s[18:19], s[90:91]
; %bb.5797:                             ;   in Loop: Header=BB6_5395 Depth=2
	v_or_b32_e32 v14, 0x7e, v34
; %bb.5798:                             ;   in Loop: Header=BB6_5395 Depth=2
	s_or_b64 exec, exec, s[18:19]
                                        ; implicit-def: $vgpr10
.LBB6_5799:                             ;   in Loop: Header=BB6_5395 Depth=2
	s_andn2_saveexec_b64 s[18:19], s[88:89]
; %bb.5800:                             ;   in Loop: Header=BB6_5395 Depth=2
	v_or_b32_sdwa v14, v10, s50 dst_sel:DWORD dst_unused:UNUSED_PAD src0_sel:BYTE_3 src1_sel:DWORD
; %bb.5801:                             ;   in Loop: Header=BB6_5395 Depth=2
	s_or_b64 exec, exec, s[18:19]
	v_cmp_lt_u64_e64 s[18:19], s[60:61], v[16:17]
	v_mov_b32_e32 v10, 0
	s_and_saveexec_b64 s[20:21], s[18:19]
	s_cbranch_execz .LBB6_5807
; %bb.5802:                             ;   in Loop: Header=BB6_5395 Depth=2
	v_lshrrev_b32_e32 v2, 24, v17
	v_cmp_ne_u32_e64 s[18:19], s49, v2
	v_bfrev_b32_e32 v10, 1
	s_and_saveexec_b64 s[88:89], s[18:19]
	s_cbranch_execz .LBB6_5806
; %bb.5803:                             ;   in Loop: Header=BB6_5395 Depth=2
	v_bfe_u32 v11, v17, 24, 7
	v_cmp_ne_u32_e64 s[18:19], s50, v11
	v_mov_b32_e32 v10, 0x7f800001
	s_and_saveexec_b64 s[90:91], s[18:19]
	s_cbranch_execz .LBB6_5805
; %bb.5804:                             ;   in Loop: Header=BB6_5395 Depth=2
	v_and_b32_e32 v15, 7, v2
	v_ffbh_u32_e32 v10, v15
	v_min_u32_e32 v17, 32, v10
	v_subrev_u32_e32 v10, 28, v17
	v_lshrrev_b32_e32 v16, 3, v11
	v_cmp_gt_u32_e64 s[18:19], 8, v11
	v_lshlrev_b64 v[10:11], v10, v[2:3]
	v_sub_u32_e32 v11, 29, v17
	v_and_b32_e32 v10, 7, v10
	v_cndmask_b32_e64 v11, v16, v11, s[18:19]
	v_cndmask_b32_e64 v10, v15, v10, s[18:19]
	v_lshlrev_b32_e32 v2, 24, v2
	v_lshlrev_b32_e32 v10, 20, v10
	v_and_b32_e32 v2, 0x80000000, v2
	v_lshl_add_u32 v11, v11, 23, v57
	v_or3_b32 v10, v2, v11, v10
.LBB6_5805:                             ;   in Loop: Header=BB6_5395 Depth=2
	s_or_b64 exec, exec, s[90:91]
.LBB6_5806:                             ;   in Loop: Header=BB6_5395 Depth=2
	s_or_b64 exec, exec, s[88:89]
.LBB6_5807:                             ;   in Loop: Header=BB6_5395 Depth=2
	s_or_b64 exec, exec, s[20:21]
	v_bfe_u32 v11, v13, 24, 3
	v_ffbh_u32_e32 v15, v11
	v_min_u32_e32 v35, 32, v15
	v_lshrrev_b32_e32 v2, 24, v13
	v_subrev_u32_e32 v15, 28, v35
	v_lshlrev_b64 v[15:16], v15, v[2:3]
	v_bfe_u32 v17, v13, 24, 7
	v_bfe_u32 v34, v2, 3, 4
	v_sub_u32_e32 v16, 29, v35
	v_and_b32_e32 v15, 7, v15
	v_cmp_gt_u32_e64 s[18:19], 8, v17
	v_cndmask_b32_e64 v16, v34, v16, s[18:19]
	v_cndmask_b32_e64 v11, v11, v15, s[18:19]
	v_lshlrev_b32_e32 v11, 20, v11
	v_and_b32_e32 v15, 0x80000000, v13
	v_lshl_add_u32 v16, v16, 23, v57
	v_or3_b32 v11, v15, v16, v11
	v_cmp_ne_u32_e64 s[18:19], s50, v17
	v_cndmask_b32_e64 v11, v40, v11, s[18:19]
	v_cmp_ne_u32_e64 s[18:19], s49, v2
	v_cndmask_b32_e64 v2, v41, v11, s[18:19]
	v_cmp_lt_u64_e64 s[18:19], s[60:61], v[12:13]
	v_cndmask_b32_e64 v2, 0, v2, s[18:19]
	v_add_f32_e32 v10, v2, v10
	v_and_b32_e32 v2, 0x7f800000, v10
	v_cmp_ne_u64_e64 s[18:19], s[46:47], v[2:3]
                                        ; implicit-def: $vgpr2
	s_and_saveexec_b64 s[20:21], s[18:19]
	s_xor_b64 s[88:89], exec, s[20:21]
	s_cbranch_execz .LBB6_5821
; %bb.5808:                             ;   in Loop: Header=BB6_5395 Depth=2
	v_and_b32_e32 v2, 0x7fffffff, v10
	v_cmp_gt_u64_e64 s[18:19], s[56:57], v[2:3]
	v_and_b32_sdwa v13, v10, s49 dst_sel:DWORD dst_unused:UNUSED_PAD src0_sel:BYTE_3 src1_sel:DWORD
                                        ; implicit-def: $vgpr2
	s_and_saveexec_b64 s[20:21], s[18:19]
	s_xor_b64 s[90:91], exec, s[20:21]
	s_cbranch_execz .LBB6_5818
; %bb.5809:                             ;   in Loop: Header=BB6_5395 Depth=2
	v_mov_b32_e32 v2, 0
	v_cmp_ne_u32_e64 s[18:19], 0, v10
	s_and_saveexec_b64 s[92:93], s[18:19]
	s_cbranch_execz .LBB6_5817
; %bb.5810:                             ;   in Loop: Header=BB6_5395 Depth=2
	v_bfe_u32 v15, v10, 23, 8
	v_and_b32_e32 v2, 0x7fffff, v10
	v_cmp_gt_u32_e64 s[20:21], s51, v15
	v_sub_u32_e32 v10, 0x79, v15
	v_cmp_eq_u32_e64 s[18:19], 0, v15
	v_cndmask_b32_e64 v10, 0, v10, s[20:21]
	v_mov_b32_e32 v12, 0x78
	v_cndmask_b32_e64 v16, v10, v12, s[18:19]
	v_or_b32_e32 v11, 0x800000, v2
	v_add_u32_e32 v10, 20, v16
	v_cndmask_b32_e64 v2, v11, v2, s[18:19]
	v_lshlrev_b64 v[10:11], v10, -1
	v_add_u32_e32 v12, 19, v16
	v_lshlrev_b64 v[34:35], v12, 1
	v_bfi_b32 v11, v11, 0, 0
	v_bfi_b32 v10, v10, 0, v2
	v_cmp_eq_u64_e64 s[20:21], v[10:11], v[34:35]
	v_lshrrev_b64 v[10:11], v16, v[2:3]
	v_mov_b32_e32 v12, v11
	v_mov_b32_e32 v11, v10
	s_and_saveexec_b64 s[94:95], s[20:21]
; %bb.5811:                             ;   in Loop: Header=BB6_5395 Depth=2
	v_bfe_u32 v2, v10, 20, 1
	v_add_co_u32_e64 v2, s[20:21], v10, v2
	v_add_co_u32_e64 v11, s[20:21], -1, v2
; %bb.5812:                             ;   in Loop: Header=BB6_5395 Depth=2
	s_or_b64 exec, exec, s[94:95]
	v_add_u32_e32 v2, 0xffffff81, v15
	v_mov_b32_e32 v12, 0xffffff82
	v_cndmask_b32_e64 v2, v2, v12, s[18:19]
	v_lshrrev_b32_e32 v12, 23, v10
	v_add3_u32 v16, v16, v2, v12
	v_add_u32_e32 v15, 6, v16
	v_and_b32_e32 v2, 0xfffff, v11
	v_add_u32_e32 v2, v2, v10
	v_cmp_ne_u32_e64 s[18:19], 0, v15
                                        ; implicit-def: $vgpr10_vgpr11
                                        ; implicit-def: $vgpr12
	s_and_saveexec_b64 s[20:21], s[18:19]
	s_xor_b64 s[20:21], exec, s[20:21]
; %bb.5813:                             ;   in Loop: Header=BB6_5395 Depth=2
	v_cmp_lt_u64_e64 s[18:19], s[58:59], v[2:3]
	v_add_u32_e32 v10, 7, v16
	v_cndmask_b32_e64 v12, v15, v10, s[18:19]
	v_cndmask_b32_e64 v10, 0, 1, s[18:19]
	v_lshrrev_b64 v[10:11], v10, v[2:3]
; %bb.5814:                             ;   in Loop: Header=BB6_5395 Depth=2
	s_andn2_saveexec_b64 s[18:19], s[20:21]
; %bb.5815:                             ;   in Loop: Header=BB6_5395 Depth=2
	v_mov_b32_e32 v11, v3
	v_bfe_u32 v12, v2, 23, 1
	v_mov_b32_e32 v10, v2
; %bb.5816:                             ;   in Loop: Header=BB6_5395 Depth=2
	s_or_b64 exec, exec, s[18:19]
	v_lshrrev_b64 v[10:11], 20, v[10:11]
	v_cmp_gt_i32_e64 s[18:19], 16, v12
	v_cndmask_b32_e64 v11, 0, v11, s[18:19]
	v_cndmask_b32_e64 v10, 7, v10, s[18:19]
	v_min_i32_e32 v2, 15, v12
	v_cmp_eq_u64_e64 s[20:21], 0, v[10:11]
	v_lshlrev_b32_e32 v2, 3, v2
	v_cmp_eq_u32_e64 s[18:19], 0, v12
	v_and_b32_e32 v2, 0xf8, v2
	v_and_or_b32 v2, v10, 7, v2
	s_and_b64 s[18:19], s[18:19], s[20:21]
	v_cndmask_b32_e64 v2, v2, 0, s[18:19]
	v_or_b32_e32 v2, v2, v13
.LBB6_5817:                             ;   in Loop: Header=BB6_5395 Depth=2
	s_or_b64 exec, exec, s[92:93]
                                        ; implicit-def: $vgpr13
.LBB6_5818:                             ;   in Loop: Header=BB6_5395 Depth=2
	s_andn2_saveexec_b64 s[18:19], s[90:91]
; %bb.5819:                             ;   in Loop: Header=BB6_5395 Depth=2
	v_or_b32_e32 v2, 0x7e, v13
; %bb.5820:                             ;   in Loop: Header=BB6_5395 Depth=2
	s_or_b64 exec, exec, s[18:19]
                                        ; implicit-def: $vgpr10
.LBB6_5821:                             ;   in Loop: Header=BB6_5395 Depth=2
	s_andn2_saveexec_b64 s[18:19], s[88:89]
	s_cbranch_execz .LBB6_5394
; %bb.5822:                             ;   in Loop: Header=BB6_5395 Depth=2
	v_or_b32_sdwa v2, v10, s50 dst_sel:DWORD dst_unused:UNUSED_PAD src0_sel:BYTE_3 src1_sel:DWORD
	s_branch .LBB6_5394
.LBB6_5823:                             ;   in Loop: Header=BB6_5395 Depth=2
	s_or_saveexec_b64 s[20:21], s[20:21]
	v_bfrev_b32_e32 v8, 1
	s_xor_b64 exec, exec, s[20:21]
	s_cbranch_execz .LBB6_5405
.LBB6_5824:                             ;   in Loop: Header=BB6_5395 Depth=2
	v_cmp_ne_u16_sdwa s[88:89], v10, v3 src0_sel:BYTE_0 src1_sel:DWORD
	s_andn2_b64 s[18:19], s[18:19], exec
	s_and_b64 s[88:89], s[88:89], exec
	v_mov_b32_e32 v8, 0
	s_or_b64 s[18:19], s[18:19], s[88:89]
	s_or_b64 exec, exec, s[20:21]
	s_and_saveexec_b64 s[20:21], s[18:19]
	s_cbranch_execnz .LBB6_5406
	s_branch .LBB6_5407
.LBB6_5825:                             ;   in Loop: Header=BB6_5395 Depth=2
	s_or_saveexec_b64 s[88:89], s[88:89]
	v_bfrev_b32_e32 v22, 1
	s_xor_b64 exec, exec, s[88:89]
	s_cbranch_execz .LBB6_5433
.LBB6_5826:                             ;   in Loop: Header=BB6_5395 Depth=2
	v_cmp_ne_u16_e64 s[18:19], 0, v2
	s_andn2_b64 s[20:21], s[20:21], exec
	s_and_b64 s[18:19], s[18:19], exec
	v_mov_b32_e32 v22, 0
	s_or_b64 s[20:21], s[20:21], s[18:19]
	s_or_b64 exec, exec, s[88:89]
	s_and_saveexec_b64 s[88:89], s[20:21]
	s_cbranch_execnz .LBB6_5434
	s_branch .LBB6_5435
.LBB6_5827:                             ;   in Loop: Header=BB6_5395 Depth=2
	s_or_saveexec_b64 s[20:21], s[20:21]
	v_bfrev_b32_e32 v23, 1
	s_xor_b64 exec, exec, s[20:21]
	s_cbranch_execz .LBB6_5461
.LBB6_5828:                             ;   in Loop: Header=BB6_5395 Depth=2
	v_cmp_ne_u16_sdwa s[88:89], v2, v3 src0_sel:BYTE_0 src1_sel:DWORD
	s_andn2_b64 s[18:19], s[18:19], exec
	s_and_b64 s[88:89], s[88:89], exec
	v_mov_b32_e32 v23, 0
	s_or_b64 s[18:19], s[18:19], s[88:89]
	s_or_b64 exec, exec, s[20:21]
	s_and_saveexec_b64 s[20:21], s[18:19]
	s_cbranch_execnz .LBB6_5462
	s_branch .LBB6_5463
.LBB6_5829:                             ;   in Loop: Header=BB6_5395 Depth=2
	s_or_saveexec_b64 s[88:89], s[88:89]
	v_bfrev_b32_e32 v22, 1
	s_xor_b64 exec, exec, s[88:89]
	s_cbranch_execz .LBB6_5541
.LBB6_5830:                             ;   in Loop: Header=BB6_5395 Depth=2
	v_cmp_ne_u16_e64 s[18:19], 0, v2
	s_andn2_b64 s[20:21], s[20:21], exec
	s_and_b64 s[18:19], s[18:19], exec
	v_mov_b32_e32 v22, 0
	s_or_b64 s[20:21], s[20:21], s[18:19]
	s_or_b64 exec, exec, s[88:89]
	s_and_saveexec_b64 s[88:89], s[20:21]
	s_cbranch_execnz .LBB6_5542
	s_branch .LBB6_5543
.LBB6_5831:                             ;   in Loop: Header=BB6_5395 Depth=2
	s_or_saveexec_b64 s[20:21], s[20:21]
	v_bfrev_b32_e32 v23, 1
	s_xor_b64 exec, exec, s[20:21]
	s_cbranch_execz .LBB6_5569
.LBB6_5832:                             ;   in Loop: Header=BB6_5395 Depth=2
	v_cmp_ne_u16_sdwa s[88:89], v2, v3 src0_sel:BYTE_0 src1_sel:DWORD
	s_andn2_b64 s[18:19], s[18:19], exec
	s_and_b64 s[88:89], s[88:89], exec
	v_mov_b32_e32 v23, 0
	s_or_b64 s[18:19], s[18:19], s[88:89]
	s_or_b64 exec, exec, s[20:21]
	s_and_saveexec_b64 s[20:21], s[18:19]
	s_cbranch_execnz .LBB6_5570
	s_branch .LBB6_5571
.LBB6_5833:                             ;   in Loop: Header=BB6_5395 Depth=2
	s_or_saveexec_b64 s[20:21], s[20:21]
	v_bfrev_b32_e32 v10, 1
	s_xor_b64 exec, exec, s[20:21]
	s_cbranch_execz .LBB6_5619
.LBB6_5834:                             ;   in Loop: Header=BB6_5395 Depth=2
	v_cmp_ne_u16_sdwa s[88:89], v12, v3 src0_sel:BYTE_0 src1_sel:DWORD
	s_andn2_b64 s[18:19], s[18:19], exec
	s_and_b64 s[88:89], s[88:89], exec
	v_mov_b32_e32 v10, 0
	s_or_b64 s[18:19], s[18:19], s[88:89]
	s_or_b64 exec, exec, s[20:21]
	s_and_saveexec_b64 s[20:21], s[18:19]
	s_cbranch_execnz .LBB6_5620
	s_branch .LBB6_5621
.LBB6_5835:                             ;   in Loop: Header=BB6_5395 Depth=2
	s_or_saveexec_b64 s[88:89], s[88:89]
	v_bfrev_b32_e32 v11, 1
	s_xor_b64 exec, exec, s[88:89]
	s_cbranch_execz .LBB6_5647
.LBB6_5836:                             ;   in Loop: Header=BB6_5395 Depth=2
	v_cmp_ne_u16_e64 s[18:19], 0, v2
	s_andn2_b64 s[20:21], s[20:21], exec
	s_and_b64 s[18:19], s[18:19], exec
	v_mov_b32_e32 v11, 0
	s_or_b64 s[20:21], s[20:21], s[18:19]
	s_or_b64 exec, exec, s[88:89]
	s_and_saveexec_b64 s[88:89], s[20:21]
	s_cbranch_execnz .LBB6_5648
	s_branch .LBB6_5649
.LBB6_5837:                             ;   in Loop: Header=BB6_5395 Depth=2
	s_or_saveexec_b64 s[20:21], s[20:21]
	v_bfrev_b32_e32 v11, 1
	s_xor_b64 exec, exec, s[20:21]
	s_cbranch_execz .LBB6_5675
.LBB6_5838:                             ;   in Loop: Header=BB6_5395 Depth=2
	v_cmp_ne_u16_sdwa s[88:89], v2, v3 src0_sel:BYTE_0 src1_sel:DWORD
	s_andn2_b64 s[18:19], s[18:19], exec
	s_and_b64 s[88:89], s[88:89], exec
	v_mov_b32_e32 v11, 0
	s_or_b64 s[18:19], s[18:19], s[88:89]
	s_or_b64 exec, exec, s[20:21]
	s_and_saveexec_b64 s[20:21], s[18:19]
	s_cbranch_execnz .LBB6_5676
	s_branch .LBB6_5677
.LBB6_5839:                             ;   in Loop: Header=BB6_5395 Depth=2
	s_or_saveexec_b64 s[88:89], s[88:89]
	v_bfrev_b32_e32 v10, 1
	s_xor_b64 exec, exec, s[88:89]
	s_cbranch_execz .LBB6_5755
.LBB6_5840:                             ;   in Loop: Header=BB6_5395 Depth=2
	v_cmp_ne_u16_e64 s[18:19], 0, v2
	s_andn2_b64 s[20:21], s[20:21], exec
	s_and_b64 s[18:19], s[18:19], exec
	v_mov_b32_e32 v10, 0
	s_or_b64 s[20:21], s[20:21], s[18:19]
	s_or_b64 exec, exec, s[88:89]
	s_and_saveexec_b64 s[88:89], s[20:21]
	s_cbranch_execnz .LBB6_5756
	s_branch .LBB6_5757
.LBB6_5841:                             ;   in Loop: Header=BB6_5395 Depth=2
	s_or_saveexec_b64 s[20:21], s[20:21]
	v_bfrev_b32_e32 v11, 1
	s_xor_b64 exec, exec, s[20:21]
	s_cbranch_execz .LBB6_5783
.LBB6_5842:                             ;   in Loop: Header=BB6_5395 Depth=2
	v_cmp_ne_u16_sdwa s[88:89], v2, v3 src0_sel:BYTE_0 src1_sel:DWORD
	s_andn2_b64 s[18:19], s[18:19], exec
	s_and_b64 s[88:89], s[88:89], exec
	v_mov_b32_e32 v11, 0
	s_or_b64 s[18:19], s[18:19], s[88:89]
	s_or_b64 exec, exec, s[20:21]
	s_and_saveexec_b64 s[20:21], s[18:19]
	s_cbranch_execnz .LBB6_5784
	s_branch .LBB6_5785
.LBB6_5843:                             ;   in Loop: Header=BB6_3523 Depth=1
	s_or_b64 exec, exec, s[78:79]
.LBB6_5844:                             ;   in Loop: Header=BB6_3523 Depth=1
	s_or_b64 exec, exec, s[76:77]
	v_and_b32_e32 v0, 15, v44
	v_cndmask_b32_e32 v6, v6, v0, vcc
	v_mov_b32_e32 v9, 0
	v_cmp_ne_u32_e64 s[18:19], 0, v6
	s_mov_b64 s[20:21], 0
                                        ; implicit-def: $vgpr2
                                        ; implicit-def: $vgpr0
	s_and_saveexec_b64 s[76:77], s[18:19]
	s_cbranch_execz .LBB6_5846
; %bb.5845:                             ;   in Loop: Header=BB6_3523 Depth=1
	v_and_b32_e32 v0, 0x3f0, v44
	v_cndmask_b32_e32 v0, 0, v0, vcc
	v_and_or_b32 v9, v44, s52, v0
	buffer_load_dword v0, off, s[0:3], s33 offset:84 ; 4-byte Folded Reload
	v_cmp_lt_i32_e32 vcc, 0, v5
	s_mov_b64 s[20:21], exec
	s_waitcnt vmcnt(0)
	v_cndmask_b32_e32 v0, 0, v0, vcc
	v_sub_u32_e32 v0, v0, v5
	v_lshl_add_u32 v2, v0, 6, v4
	v_ashrrev_i32_e32 v0, 31, v2
	v_lshrrev_b32_e32 v0, 26, v0
	v_add_u32_e32 v0, v2, v0
	v_ashrrev_i32_e32 v0, 6, v0
.LBB6_5846:                             ;   in Loop: Header=BB6_3523 Depth=1
	s_or_b64 exec, exec, s[76:77]
	s_and_b64 s[18:19], s[20:21], exec
.LBB6_5847:                             ;   in Loop: Header=BB6_3523 Depth=1
	s_or_b64 exec, exec, s[74:75]
	s_and_saveexec_b64 s[20:21], s[18:19]
	s_cbranch_execz .LBB6_6912
.LBB6_5848:                             ;   in Loop: Header=BB6_3523 Depth=1
	v_lshrrev_b32_e32 v1, 11, v6
	v_sub_u32_e32 v18, v1, v0
	v_ashrrev_i32_e32 v1, 31, v2
	v_cmp_lt_i32_e32 vcc, 0, v18
	v_lshrrev_b32_e32 v1, 26, v1
	s_and_saveexec_b64 s[74:75], vcc
	s_cbranch_execz .LBB6_6876
; %bb.5849:                             ;   in Loop: Header=BB6_3523 Depth=1
	buffer_store_dword v6, off, s[0:3], s33 offset:176 ; 4-byte Folded Spill
	buffer_store_dword v44, off, s[0:3], s33 offset:304 ; 4-byte Folded Spill
	;; [unrolled: 1-line block ×4, first 2 shown]
	s_nop 0
	buffer_store_dword v43, off, s[0:3], s33 offset:292 ; 4-byte Folded Spill
	buffer_store_dword v54, off, s[0:3], s33 offset:268 ; 4-byte Folded Spill
	s_nop 0
	buffer_store_dword v55, off, s[0:3], s33 offset:272 ; 4-byte Folded Spill
	buffer_store_dword v1, off, s[0:3], s33 offset:184 ; 4-byte Folded Spill
	v_add_u32_e32 v1, v2, v1
	v_lshlrev_b32_e32 v0, 11, v0
	v_and_b32_e32 v1, 0xffffffc0, v1
	buffer_store_dword v2, off, s[0:3], s33 offset:180 ; 4-byte Folded Spill
	buffer_store_dword v9, off, s[0:3], s33 offset:172 ; 4-byte Folded Spill
	s_trap 2
	ds_read_b64 v[4:5], v0
	v_sub_u32_e32 v1, v2, v1
	v_add3_u32 v2, v9, v1, v0
	v_ashrrev_i32_e32 v6, 31, v2
	s_waitcnt vmcnt(0)
	v_add_co_u32_e32 v0, vcc, v2, v61
	s_waitcnt vmcnt(10)
	v_addc_co_u32_e32 v1, vcc, v6, v62, vcc
	s_waitcnt lgkmcnt(0)
	v_add_co_u32_e32 v10, vcc, v4, v2
	v_addc_co_u32_e32 v11, vcc, v5, v6, vcc
	v_add_co_u32_e32 v4, vcc, 0x7c0, v58
	v_addc_co_u32_e32 v5, vcc, 0, v59, vcc
	;; [unrolled: 2-line block ×3, first 2 shown]
	s_mov_b64 s[76:77], 0
	s_branch .LBB6_5851
.LBB6_5850:                             ;   in Loop: Header=BB6_5851 Depth=2
	s_or_b64 exec, exec, s[18:19]
	v_add_co_u32_e32 v14, vcc, 0xfffff840, v12
	v_addc_co_u32_e32 v15, vcc, -1, v13, vcc
	flat_store_byte v[14:15], v46 glc slc
	v_add_co_u32_e32 v14, vcc, 0xfffff880, v12
	v_addc_co_u32_e32 v15, vcc, -1, v13, vcc
	flat_store_byte v[14:15], v53 glc slc
	;; [unrolled: 3-line block ×17, first 2 shown]
	v_add_co_u32_e32 v14, vcc, 0xfffffc80, v12
	v_addc_co_u32_e32 v15, vcc, -1, v13, vcc
	v_add_co_u32_e32 v8, vcc, 0xfffffcc0, v12
	flat_store_byte v[14:15], v9 glc slc
	v_addc_co_u32_e32 v9, vcc, -1, v13, vcc
	v_add_co_u32_e32 v5, vcc, 0xfffffd00, v12
	flat_store_byte v[8:9], v6 glc slc
	v_addc_co_u32_e32 v6, vcc, -1, v13, vcc
	flat_store_byte v[5:6], v7 glc slc
	v_add_co_u32_e32 v5, vcc, 0xfffffd40, v12
	v_addc_co_u32_e32 v6, vcc, -1, v13, vcc
	flat_store_byte v[5:6], v4 glc slc
	v_add_co_u32_e32 v4, vcc, 0xfffffd80, v12
	;; [unrolled: 3-line block ×11, first 2 shown]
	v_addc_co_u32_e32 v5, vcc, -1, v13, vcc
	flat_store_byte v[4:5], v30 glc slc
	flat_store_byte v[12:13], v2 glc slc
	buffer_load_dword v2, off, s[0:3], s33 offset:216 ; 4-byte Folded Reload
	s_nop 0
	buffer_load_dword v4, off, s[0:3], s33 offset:84 ; 4-byte Folded Reload
	s_waitcnt vmcnt(0)
	v_add_co_u32_e32 v0, vcc, v0, v2
	v_addc_co_u32_e32 v1, vcc, 0, v1, vcc
	v_add_co_u32_e32 v10, vcc, v10, v2
	v_addc_co_u32_e32 v11, vcc, 0, v11, vcc
	v_sub_u32_e32 v18, v18, v4
	v_cmp_gt_i32_e32 vcc, 1, v18
	s_or_b64 s[76:77], vcc, s[76:77]
	v_add_co_u32_e32 v12, vcc, v12, v2
	v_addc_co_u32_e32 v13, vcc, 0, v13, vcc
	s_andn2_b64 exec, exec, s[76:77]
	s_cbranch_execz .LBB6_6875
.LBB6_5851:                             ;   Parent Loop BB6_3523 Depth=1
                                        ; =>  This Inner Loop Header: Depth=2
	flat_load_ubyte v15, v[0:1] glc slc
	flat_load_ubyte v48, v[0:1] offset:64 glc slc
	flat_load_ubyte v41, v[0:1] offset:128 glc slc
	;; [unrolled: 1-line block ×22, first 2 shown]
	v_mov_b32_e32 v16, 0
	v_mov_b32_e32 v50, 0
	s_waitcnt vmcnt(0) lgkmcnt(0)
	v_cmp_ne_u16_e32 vcc, 0, v15
	buffer_store_dword v2, off, s[0:3], s33 offset:152 ; 4-byte Folded Spill
	flat_load_ubyte v2, v[0:1] offset:1472 glc slc
	s_waitcnt vmcnt(0) lgkmcnt(0)
	buffer_store_dword v2, off, s[0:3], s33 offset:148 ; 4-byte Folded Spill
	flat_load_ubyte v2, v[0:1] offset:1536 glc slc
	s_waitcnt vmcnt(0) lgkmcnt(0)
	;; [unrolled: 3-line block ×8, first 2 shown]
	buffer_store_dword v2, off, s[0:3], s33 offset:92 ; 4-byte Folded Spill
	flat_load_ubyte v44, v[0:1] offset:1984 glc slc
	flat_load_ubyte v14, v[10:11] glc slc
	flat_load_ubyte v39, v[10:11] offset:64 glc slc
	flat_load_ubyte v40, v[10:11] offset:128 glc slc
	;; [unrolled: 1-line block ×24, first 2 shown]
	s_waitcnt vmcnt(0) lgkmcnt(0)
	buffer_store_dword v2, off, s[0:3], s33 offset:144 ; 4-byte Folded Spill
	flat_load_ubyte v2, v[10:11] offset:1536 glc slc
	s_waitcnt vmcnt(0) lgkmcnt(0)
	buffer_store_dword v2, off, s[0:3], s33 offset:136 ; 4-byte Folded Spill
	flat_load_ubyte v2, v[10:11] offset:1600 glc slc
	;; [unrolled: 3-line block ×7, first 2 shown]
	s_waitcnt vmcnt(0) lgkmcnt(0)
	buffer_store_dword v2, off, s[0:3], s33 offset:88 ; 4-byte Folded Spill
	s_and_saveexec_b64 s[18:19], vcc
	s_cbranch_execz .LBB6_5857
; %bb.5852:                             ;   in Loop: Header=BB6_5851 Depth=2
	v_cmp_ne_u16_e32 vcc, s49, v15
	v_bfrev_b32_e32 v50, 1
	s_and_saveexec_b64 s[78:79], vcc
	s_cbranch_execz .LBB6_5856
; %bb.5853:                             ;   in Loop: Header=BB6_5851 Depth=2
	v_and_b32_e32 v2, 0xffff, v15
	v_and_b32_e32 v51, 0x7f, v2
	v_cmp_ne_u32_e32 vcc, s50, v51
	v_mov_b32_e32 v50, 0x7f800001
	s_and_saveexec_b64 s[88:89], vcc
	s_cbranch_execz .LBB6_5855
; %bb.5854:                             ;   in Loop: Header=BB6_5851 Depth=2
	v_and_b32_e32 v53, 7, v2
	v_ffbh_u32_e32 v50, v53
	v_min_u32_e32 v45, 32, v50
	v_subrev_u32_e32 v50, 28, v45
	v_mov_b32_e32 v46, v44
	v_lshrrev_b32_e32 v44, 3, v51
	v_cmp_gt_u32_e32 vcc, 8, v51
	v_lshlrev_b64 v[50:51], v50, v[2:3]
	v_sub_u32_e32 v2, 29, v45
	v_and_b32_e32 v50, 7, v50
	v_cndmask_b32_e32 v2, v44, v2, vcc
	v_cndmask_b32_e32 v50, v53, v50, vcc
	v_lshlrev_b32_e32 v15, 24, v15
	v_lshlrev_b32_e32 v50, 20, v50
	v_and_b32_e32 v15, 0x80000000, v15
	v_lshl_add_u32 v2, v2, 23, v57
	v_mov_b32_e32 v44, v46
	v_or3_b32 v50, v15, v2, v50
.LBB6_5855:                             ;   in Loop: Header=BB6_5851 Depth=2
	s_or_b64 exec, exec, s[88:89]
.LBB6_5856:                             ;   in Loop: Header=BB6_5851 Depth=2
	s_or_b64 exec, exec, s[78:79]
.LBB6_5857:                             ;   in Loop: Header=BB6_5851 Depth=2
	s_or_b64 exec, exec, s[18:19]
	v_and_b32_e32 v2, 0xff, v14
	v_cmp_ne_u16_e32 vcc, 0, v2
	s_and_saveexec_b64 s[18:19], vcc
	s_cbranch_execz .LBB6_5863
; %bb.5858:                             ;   in Loop: Header=BB6_5851 Depth=2
	v_cmp_ne_u16_e32 vcc, s49, v2
	v_bfrev_b32_e32 v16, 1
	s_and_saveexec_b64 s[78:79], vcc
	s_cbranch_execz .LBB6_5862
; %bb.5859:                             ;   in Loop: Header=BB6_5851 Depth=2
	v_and_b32_e32 v15, 0x7f, v14
	v_cmp_ne_u32_e32 vcc, s50, v15
	v_mov_b32_e32 v16, 0x7f800001
	s_and_saveexec_b64 s[88:89], vcc
	s_cbranch_execz .LBB6_5861
; %bb.5860:                             ;   in Loop: Header=BB6_5851 Depth=2
	v_and_b32_e32 v51, 7, v2
	v_lshrrev_b32_e32 v53, 3, v15
	v_cmp_gt_u32_e32 vcc, 8, v15
	v_ffbh_u32_e32 v15, v51
	v_mov_b32_e32 v46, v44
	v_min_u32_e32 v44, 32, v15
	v_subrev_u32_e32 v15, 28, v44
	v_lshlrev_b64 v[15:16], v15, v[2:3]
	v_sub_u32_e32 v2, 29, v44
	v_and_b32_e32 v15, 7, v15
	v_cndmask_b32_e32 v2, v53, v2, vcc
	v_cndmask_b32_e32 v15, v51, v15, vcc
	v_lshlrev_b32_e32 v14, 24, v14
	v_lshlrev_b32_e32 v15, 20, v15
	v_and_b32_e32 v14, 0x80000000, v14
	v_lshl_add_u32 v2, v2, 23, v57
	v_mov_b32_e32 v44, v46
	v_or3_b32 v16, v14, v2, v15
.LBB6_5861:                             ;   in Loop: Header=BB6_5851 Depth=2
	s_or_b64 exec, exec, s[88:89]
.LBB6_5862:                             ;   in Loop: Header=BB6_5851 Depth=2
	s_or_b64 exec, exec, s[78:79]
.LBB6_5863:                             ;   in Loop: Header=BB6_5851 Depth=2
	s_or_b64 exec, exec, s[18:19]
	v_add_f32_e32 v14, v50, v16
	v_and_b32_e32 v2, 0x7f800000, v14
	v_cmp_ne_u64_e32 vcc, s[46:47], v[2:3]
                                        ; implicit-def: $vgpr46
	s_and_saveexec_b64 s[18:19], vcc
	s_xor_b64 s[78:79], exec, s[18:19]
	s_cbranch_execz .LBB6_5881
; %bb.5864:                             ;   in Loop: Header=BB6_5851 Depth=2
	v_and_b32_e32 v2, 0x7fffffff, v14
	v_cmp_gt_u64_e32 vcc, s[56:57], v[2:3]
	v_and_b32_sdwa v50, v14, s49 dst_sel:DWORD dst_unused:UNUSED_PAD src0_sel:BYTE_3 src1_sel:DWORD
                                        ; implicit-def: $vgpr46
	s_and_saveexec_b64 s[18:19], vcc
	s_xor_b64 s[88:89], exec, s[18:19]
	s_cbranch_execz .LBB6_5878
; %bb.5865:                             ;   in Loop: Header=BB6_5851 Depth=2
	v_cmp_ne_u32_e32 vcc, 0, v14
	v_mov_b32_e32 v46, 0
	s_and_saveexec_b64 s[90:91], vcc
	s_cbranch_execz .LBB6_5877
; %bb.5866:                             ;   in Loop: Header=BB6_5851 Depth=2
	v_bfe_u32 v51, v14, 23, 8
	v_and_b32_e32 v2, 0x7fffff, v14
	v_cmp_gt_u32_e64 s[18:19], s51, v51
	v_sub_u32_e32 v14, 0x79, v51
	v_cmp_eq_u32_e32 vcc, 0, v51
	v_cndmask_b32_e64 v14, 0, v14, s[18:19]
	v_mov_b32_e32 v16, 0x78
	v_cndmask_b32_e32 v53, v14, v16, vcc
	v_or_b32_e32 v15, 0x800000, v2
	v_add_u32_e32 v14, 20, v53
	v_cndmask_b32_e32 v2, v15, v2, vcc
	v_lshlrev_b64 v[14:15], v14, -1
	v_add_u32_e32 v16, 19, v53
	v_mov_b32_e32 v46, v44
	v_lshlrev_b64 v[44:45], v16, 1
	v_bfi_b32 v15, v15, 0, 0
	v_bfi_b32 v14, v14, 0, v2
	v_cmp_eq_u64_e64 s[18:19], v[14:15], v[44:45]
	v_lshrrev_b64 v[14:15], v53, v[2:3]
	v_mov_b32_e32 v16, v15
	v_mov_b32_e32 v15, v14
	s_and_saveexec_b64 s[92:93], s[18:19]
; %bb.5867:                             ;   in Loop: Header=BB6_5851 Depth=2
	v_bfe_u32 v2, v14, 20, 1
	v_add_co_u32_e64 v2, s[18:19], v14, v2
	v_add_co_u32_e64 v15, s[18:19], -1, v2
; %bb.5868:                             ;   in Loop: Header=BB6_5851 Depth=2
	s_or_b64 exec, exec, s[92:93]
	v_add_u32_e32 v2, 0xffffff81, v51
	v_mov_b32_e32 v16, 0xffffff82
	v_cndmask_b32_e32 v2, v2, v16, vcc
	v_lshrrev_b32_e32 v16, 23, v14
	v_add3_u32 v53, v53, v2, v16
	v_add_u32_e32 v51, 6, v53
	v_and_b32_e32 v2, 0xfffff, v15
	v_add_u32_e32 v2, v2, v14
	v_cmp_ne_u32_e32 vcc, 0, v51
                                        ; implicit-def: $vgpr14_vgpr15
                                        ; implicit-def: $vgpr16
	s_and_saveexec_b64 s[18:19], vcc
	s_xor_b64 s[18:19], exec, s[18:19]
; %bb.5869:                             ;   in Loop: Header=BB6_5851 Depth=2
	v_cmp_lt_u64_e32 vcc, s[58:59], v[2:3]
	v_add_u32_e32 v14, 7, v53
	v_cndmask_b32_e32 v16, v51, v14, vcc
	v_cndmask_b32_e64 v14, 0, 1, vcc
	v_lshrrev_b64 v[14:15], v14, v[2:3]
; %bb.5870:                             ;   in Loop: Header=BB6_5851 Depth=2
	s_or_saveexec_b64 s[18:19], s[18:19]
	v_mov_b32_e32 v44, v46
	s_xor_b64 exec, exec, s[18:19]
; %bb.5871:                             ;   in Loop: Header=BB6_5851 Depth=2
	v_mov_b32_e32 v15, v3
	v_bfe_u32 v16, v2, 23, 1
	v_mov_b32_e32 v14, v2
; %bb.5872:                             ;   in Loop: Header=BB6_5851 Depth=2
	s_or_b64 exec, exec, s[18:19]
	v_lshrrev_b64 v[14:15], 20, v[14:15]
	v_cmp_gt_i32_e32 vcc, 16, v16
	v_cndmask_b32_e32 v15, 0, v15, vcc
	v_cndmask_b32_e32 v14, 7, v14, vcc
	v_cmp_ne_u64_e32 vcc, 0, v[14:15]
	v_cmp_ne_u32_e64 s[18:19], 0, v16
	s_or_b64 s[18:19], s[18:19], vcc
                                        ; implicit-def: $vgpr46
	s_and_saveexec_b64 s[92:93], s[18:19]
	s_xor_b64 s[18:19], exec, s[92:93]
; %bb.5873:                             ;   in Loop: Header=BB6_5851 Depth=2
	v_min_i32_e32 v2, 15, v16
	v_lshl_or_b32 v2, v2, 3, v50
	v_and_or_b32 v46, v14, 7, v2
                                        ; implicit-def: $vgpr50
; %bb.5874:                             ;   in Loop: Header=BB6_5851 Depth=2
	s_andn2_saveexec_b64 s[18:19], s[18:19]
; %bb.5875:                             ;   in Loop: Header=BB6_5851 Depth=2
	v_mov_b32_e32 v46, v50
; %bb.5876:                             ;   in Loop: Header=BB6_5851 Depth=2
	s_or_b64 exec, exec, s[18:19]
.LBB6_5877:                             ;   in Loop: Header=BB6_5851 Depth=2
	s_or_b64 exec, exec, s[90:91]
                                        ; implicit-def: $vgpr50
.LBB6_5878:                             ;   in Loop: Header=BB6_5851 Depth=2
	s_andn2_saveexec_b64 s[18:19], s[88:89]
; %bb.5879:                             ;   in Loop: Header=BB6_5851 Depth=2
	v_or_b32_e32 v46, 0x7e, v50
; %bb.5880:                             ;   in Loop: Header=BB6_5851 Depth=2
	s_or_b64 exec, exec, s[18:19]
                                        ; implicit-def: $vgpr14
.LBB6_5881:                             ;   in Loop: Header=BB6_5851 Depth=2
	s_andn2_saveexec_b64 s[18:19], s[78:79]
; %bb.5882:                             ;   in Loop: Header=BB6_5851 Depth=2
	v_or_b32_sdwa v46, v14, s50 dst_sel:DWORD dst_unused:UNUSED_PAD src0_sel:BYTE_3 src1_sel:DWORD
; %bb.5883:                             ;   in Loop: Header=BB6_5851 Depth=2
	s_or_b64 exec, exec, s[18:19]
	v_and_b32_e32 v2, 0xff, v48
	v_cmp_ne_u16_e32 vcc, 0, v2
	v_mov_b32_e32 v14, 0
	v_mov_b32_e32 v15, 0
	s_and_saveexec_b64 s[18:19], vcc
	s_cbranch_execz .LBB6_5889
; %bb.5884:                             ;   in Loop: Header=BB6_5851 Depth=2
	v_cmp_ne_u16_e32 vcc, s49, v2
	v_bfrev_b32_e32 v15, 1
	s_and_saveexec_b64 s[78:79], vcc
	s_cbranch_execz .LBB6_5888
; %bb.5885:                             ;   in Loop: Header=BB6_5851 Depth=2
	v_and_b32_e32 v16, 0x7f, v48
	v_cmp_ne_u32_e32 vcc, s50, v16
	v_mov_b32_e32 v15, 0x7f800001
	s_and_saveexec_b64 s[88:89], vcc
	s_cbranch_execz .LBB6_5887
; %bb.5886:                             ;   in Loop: Header=BB6_5851 Depth=2
	v_and_b32_e32 v50, 7, v2
	v_ffbh_u32_e32 v15, v50
	v_min_u32_e32 v53, 32, v15
	v_subrev_u32_e32 v15, 28, v53
	v_lshrrev_b32_e32 v51, 3, v16
	v_cmp_gt_u32_e32 vcc, 8, v16
	v_lshlrev_b64 v[15:16], v15, v[2:3]
	v_sub_u32_e32 v2, 29, v53
	v_and_b32_e32 v15, 7, v15
	v_cndmask_b32_e32 v2, v51, v2, vcc
	v_cndmask_b32_e32 v15, v50, v15, vcc
	v_lshlrev_b32_e32 v16, 24, v48
	v_lshlrev_b32_e32 v15, 20, v15
	v_and_b32_e32 v16, 0x80000000, v16
	v_lshl_add_u32 v2, v2, 23, v57
	v_or3_b32 v15, v16, v2, v15
.LBB6_5887:                             ;   in Loop: Header=BB6_5851 Depth=2
	s_or_b64 exec, exec, s[88:89]
.LBB6_5888:                             ;   in Loop: Header=BB6_5851 Depth=2
	s_or_b64 exec, exec, s[78:79]
.LBB6_5889:                             ;   in Loop: Header=BB6_5851 Depth=2
	s_or_b64 exec, exec, s[18:19]
	v_and_b32_e32 v2, 0xff, v39
	v_cmp_ne_u16_e32 vcc, 0, v2
	s_and_saveexec_b64 s[18:19], vcc
	s_cbranch_execz .LBB6_5895
; %bb.5890:                             ;   in Loop: Header=BB6_5851 Depth=2
	v_cmp_ne_u16_e32 vcc, s49, v2
	v_bfrev_b32_e32 v14, 1
	s_and_saveexec_b64 s[78:79], vcc
	s_cbranch_execz .LBB6_5894
; %bb.5891:                             ;   in Loop: Header=BB6_5851 Depth=2
	v_and_b32_e32 v16, 0x7f, v39
	v_cmp_ne_u32_e32 vcc, s50, v16
	v_mov_b32_e32 v14, 0x7f800001
	s_and_saveexec_b64 s[88:89], vcc
	s_cbranch_execz .LBB6_5893
; %bb.5892:                             ;   in Loop: Header=BB6_5851 Depth=2
	v_and_b32_e32 v14, 7, v2
	v_lshrrev_b32_e32 v48, 3, v16
	v_cmp_gt_u32_e32 vcc, 8, v16
	v_ffbh_u32_e32 v16, v14
	v_min_u32_e32 v16, 32, v16
	v_subrev_u32_e32 v50, 28, v16
	v_lshlrev_b64 v[50:51], v50, v[2:3]
	v_sub_u32_e32 v2, 29, v16
	v_and_b32_e32 v16, 7, v50
	v_cndmask_b32_e32 v2, v48, v2, vcc
	v_cndmask_b32_e32 v14, v14, v16, vcc
	v_lshlrev_b32_e32 v16, 24, v39
	v_lshlrev_b32_e32 v14, 20, v14
	v_and_b32_e32 v16, 0x80000000, v16
	v_lshl_add_u32 v2, v2, 23, v57
	v_or3_b32 v14, v16, v2, v14
.LBB6_5893:                             ;   in Loop: Header=BB6_5851 Depth=2
	s_or_b64 exec, exec, s[88:89]
.LBB6_5894:                             ;   in Loop: Header=BB6_5851 Depth=2
	s_or_b64 exec, exec, s[78:79]
.LBB6_5895:                             ;   in Loop: Header=BB6_5851 Depth=2
	s_or_b64 exec, exec, s[18:19]
	v_add_f32_e32 v14, v15, v14
	v_and_b32_e32 v2, 0x7f800000, v14
	v_cmp_ne_u64_e32 vcc, s[46:47], v[2:3]
                                        ; implicit-def: $vgpr53
	s_and_saveexec_b64 s[18:19], vcc
	s_xor_b64 s[78:79], exec, s[18:19]
	s_cbranch_execz .LBB6_5913
; %bb.5896:                             ;   in Loop: Header=BB6_5851 Depth=2
	v_and_b32_e32 v2, 0x7fffffff, v14
	v_cmp_gt_u64_e32 vcc, s[56:57], v[2:3]
	v_and_b32_sdwa v39, v14, s49 dst_sel:DWORD dst_unused:UNUSED_PAD src0_sel:BYTE_3 src1_sel:DWORD
                                        ; implicit-def: $vgpr53
	s_and_saveexec_b64 s[18:19], vcc
	s_xor_b64 s[88:89], exec, s[18:19]
	s_cbranch_execz .LBB6_5910
; %bb.5897:                             ;   in Loop: Header=BB6_5851 Depth=2
	v_cmp_ne_u32_e32 vcc, 0, v14
	v_mov_b32_e32 v53, 0
	s_and_saveexec_b64 s[90:91], vcc
	s_cbranch_execz .LBB6_5909
; %bb.5898:                             ;   in Loop: Header=BB6_5851 Depth=2
	v_bfe_u32 v48, v14, 23, 8
	v_and_b32_e32 v2, 0x7fffff, v14
	v_cmp_gt_u32_e64 s[18:19], s51, v48
	v_sub_u32_e32 v14, 0x79, v48
	v_cmp_eq_u32_e32 vcc, 0, v48
	v_cndmask_b32_e64 v14, 0, v14, s[18:19]
	v_mov_b32_e32 v16, 0x78
	v_cndmask_b32_e32 v50, v14, v16, vcc
	v_or_b32_e32 v15, 0x800000, v2
	v_add_u32_e32 v14, 20, v50
	v_cndmask_b32_e32 v2, v15, v2, vcc
	v_lshlrev_b64 v[14:15], v14, -1
	v_add_u32_e32 v16, 19, v50
	v_mov_b32_e32 v53, v44
	v_lshlrev_b64 v[44:45], v16, 1
	v_bfi_b32 v15, v15, 0, 0
	v_bfi_b32 v14, v14, 0, v2
	v_cmp_eq_u64_e64 s[18:19], v[14:15], v[44:45]
	v_lshrrev_b64 v[14:15], v50, v[2:3]
	v_mov_b32_e32 v16, v15
	v_mov_b32_e32 v15, v14
	s_and_saveexec_b64 s[92:93], s[18:19]
; %bb.5899:                             ;   in Loop: Header=BB6_5851 Depth=2
	v_bfe_u32 v2, v14, 20, 1
	v_add_co_u32_e64 v2, s[18:19], v14, v2
	v_add_co_u32_e64 v15, s[18:19], -1, v2
; %bb.5900:                             ;   in Loop: Header=BB6_5851 Depth=2
	s_or_b64 exec, exec, s[92:93]
	v_add_u32_e32 v2, 0xffffff81, v48
	v_mov_b32_e32 v16, 0xffffff82
	v_cndmask_b32_e32 v2, v2, v16, vcc
	v_lshrrev_b32_e32 v16, 23, v14
	v_add3_u32 v50, v50, v2, v16
	v_add_u32_e32 v48, 6, v50
	v_and_b32_e32 v2, 0xfffff, v15
	v_add_u32_e32 v2, v2, v14
	v_cmp_ne_u32_e32 vcc, 0, v48
                                        ; implicit-def: $vgpr14_vgpr15
                                        ; implicit-def: $vgpr16
	s_and_saveexec_b64 s[18:19], vcc
	s_xor_b64 s[18:19], exec, s[18:19]
; %bb.5901:                             ;   in Loop: Header=BB6_5851 Depth=2
	v_cmp_lt_u64_e32 vcc, s[58:59], v[2:3]
	v_add_u32_e32 v14, 7, v50
	v_cndmask_b32_e32 v16, v48, v14, vcc
	v_cndmask_b32_e64 v14, 0, 1, vcc
	v_lshrrev_b64 v[14:15], v14, v[2:3]
; %bb.5902:                             ;   in Loop: Header=BB6_5851 Depth=2
	s_or_saveexec_b64 s[18:19], s[18:19]
	v_mov_b32_e32 v44, v53
	s_xor_b64 exec, exec, s[18:19]
; %bb.5903:                             ;   in Loop: Header=BB6_5851 Depth=2
	v_mov_b32_e32 v15, v3
	v_bfe_u32 v16, v2, 23, 1
	v_mov_b32_e32 v14, v2
; %bb.5904:                             ;   in Loop: Header=BB6_5851 Depth=2
	s_or_b64 exec, exec, s[18:19]
	v_lshrrev_b64 v[14:15], 20, v[14:15]
	v_cmp_gt_i32_e32 vcc, 16, v16
	v_cndmask_b32_e32 v15, 0, v15, vcc
	v_cndmask_b32_e32 v14, 7, v14, vcc
	v_cmp_ne_u64_e32 vcc, 0, v[14:15]
	v_cmp_ne_u32_e64 s[18:19], 0, v16
	s_or_b64 s[18:19], s[18:19], vcc
                                        ; implicit-def: $vgpr53
	s_and_saveexec_b64 s[92:93], s[18:19]
	s_xor_b64 s[18:19], exec, s[92:93]
; %bb.5905:                             ;   in Loop: Header=BB6_5851 Depth=2
	v_min_i32_e32 v2, 15, v16
	v_lshl_or_b32 v2, v2, 3, v39
	v_and_or_b32 v53, v14, 7, v2
                                        ; implicit-def: $vgpr39
; %bb.5906:                             ;   in Loop: Header=BB6_5851 Depth=2
	s_andn2_saveexec_b64 s[18:19], s[18:19]
; %bb.5907:                             ;   in Loop: Header=BB6_5851 Depth=2
	v_mov_b32_e32 v53, v39
; %bb.5908:                             ;   in Loop: Header=BB6_5851 Depth=2
	s_or_b64 exec, exec, s[18:19]
.LBB6_5909:                             ;   in Loop: Header=BB6_5851 Depth=2
	s_or_b64 exec, exec, s[90:91]
                                        ; implicit-def: $vgpr39
.LBB6_5910:                             ;   in Loop: Header=BB6_5851 Depth=2
	s_andn2_saveexec_b64 s[18:19], s[88:89]
; %bb.5911:                             ;   in Loop: Header=BB6_5851 Depth=2
	v_or_b32_e32 v53, 0x7e, v39
; %bb.5912:                             ;   in Loop: Header=BB6_5851 Depth=2
	s_or_b64 exec, exec, s[18:19]
                                        ; implicit-def: $vgpr14
.LBB6_5913:                             ;   in Loop: Header=BB6_5851 Depth=2
	s_andn2_saveexec_b64 s[18:19], s[78:79]
; %bb.5914:                             ;   in Loop: Header=BB6_5851 Depth=2
	v_or_b32_sdwa v53, v14, s50 dst_sel:DWORD dst_unused:UNUSED_PAD src0_sel:BYTE_3 src1_sel:DWORD
; %bb.5915:                             ;   in Loop: Header=BB6_5851 Depth=2
	s_or_b64 exec, exec, s[18:19]
	v_and_b32_e32 v2, 0xff, v41
	v_cmp_ne_u16_e32 vcc, 0, v2
	v_mov_b32_e32 v14, 0
	v_mov_b32_e32 v15, 0
	s_and_saveexec_b64 s[18:19], vcc
	s_cbranch_execz .LBB6_5921
; %bb.5916:                             ;   in Loop: Header=BB6_5851 Depth=2
	v_cmp_ne_u16_e32 vcc, s49, v2
	v_bfrev_b32_e32 v15, 1
	s_and_saveexec_b64 s[78:79], vcc
	s_cbranch_execz .LBB6_5920
; %bb.5917:                             ;   in Loop: Header=BB6_5851 Depth=2
	v_and_b32_e32 v16, 0x7f, v41
	v_cmp_ne_u32_e32 vcc, s50, v16
	v_mov_b32_e32 v15, 0x7f800001
	s_and_saveexec_b64 s[88:89], vcc
	s_cbranch_execz .LBB6_5919
; %bb.5918:                             ;   in Loop: Header=BB6_5851 Depth=2
	v_and_b32_e32 v39, 7, v2
	v_ffbh_u32_e32 v15, v39
	v_min_u32_e32 v50, 32, v15
	v_subrev_u32_e32 v15, 28, v50
	v_lshrrev_b32_e32 v48, 3, v16
	v_cmp_gt_u32_e32 vcc, 8, v16
	v_lshlrev_b64 v[15:16], v15, v[2:3]
	v_sub_u32_e32 v2, 29, v50
	v_and_b32_e32 v15, 7, v15
	v_cndmask_b32_e32 v2, v48, v2, vcc
	v_cndmask_b32_e32 v15, v39, v15, vcc
	v_lshlrev_b32_e32 v16, 24, v41
	v_lshlrev_b32_e32 v15, 20, v15
	v_and_b32_e32 v16, 0x80000000, v16
	v_lshl_add_u32 v2, v2, 23, v57
	v_or3_b32 v15, v16, v2, v15
.LBB6_5919:                             ;   in Loop: Header=BB6_5851 Depth=2
	s_or_b64 exec, exec, s[88:89]
.LBB6_5920:                             ;   in Loop: Header=BB6_5851 Depth=2
	s_or_b64 exec, exec, s[78:79]
.LBB6_5921:                             ;   in Loop: Header=BB6_5851 Depth=2
	s_or_b64 exec, exec, s[18:19]
	v_and_b32_e32 v2, 0xff, v40
	v_cmp_ne_u16_e32 vcc, 0, v2
	s_and_saveexec_b64 s[18:19], vcc
	s_cbranch_execz .LBB6_5927
; %bb.5922:                             ;   in Loop: Header=BB6_5851 Depth=2
	v_cmp_ne_u16_e32 vcc, s49, v2
	v_bfrev_b32_e32 v14, 1
	s_and_saveexec_b64 s[78:79], vcc
	s_cbranch_execz .LBB6_5926
; %bb.5923:                             ;   in Loop: Header=BB6_5851 Depth=2
	v_and_b32_e32 v16, 0x7f, v40
	v_cmp_ne_u32_e32 vcc, s50, v16
	v_mov_b32_e32 v14, 0x7f800001
	s_and_saveexec_b64 s[88:89], vcc
	s_cbranch_execz .LBB6_5925
; %bb.5924:                             ;   in Loop: Header=BB6_5851 Depth=2
	v_and_b32_e32 v14, 7, v2
	v_lshrrev_b32_e32 v39, 3, v16
	v_cmp_gt_u32_e32 vcc, 8, v16
	v_ffbh_u32_e32 v16, v14
	v_min_u32_e32 v16, 32, v16
	v_subrev_u32_e32 v48, 28, v16
	v_lshlrev_b64 v[50:51], v48, v[2:3]
	v_sub_u32_e32 v2, 29, v16
	v_and_b32_e32 v16, 7, v50
	v_cndmask_b32_e32 v2, v39, v2, vcc
	v_cndmask_b32_e32 v14, v14, v16, vcc
	v_lshlrev_b32_e32 v16, 24, v40
	v_lshlrev_b32_e32 v14, 20, v14
	v_and_b32_e32 v16, 0x80000000, v16
	v_lshl_add_u32 v2, v2, 23, v57
	v_or3_b32 v14, v16, v2, v14
.LBB6_5925:                             ;   in Loop: Header=BB6_5851 Depth=2
	s_or_b64 exec, exec, s[88:89]
.LBB6_5926:                             ;   in Loop: Header=BB6_5851 Depth=2
	s_or_b64 exec, exec, s[78:79]
.LBB6_5927:                             ;   in Loop: Header=BB6_5851 Depth=2
	s_or_b64 exec, exec, s[18:19]
	v_add_f32_e32 v14, v15, v14
	v_and_b32_e32 v2, 0x7f800000, v14
	v_cmp_ne_u64_e32 vcc, s[46:47], v[2:3]
                                        ; implicit-def: $vgpr40
	s_and_saveexec_b64 s[18:19], vcc
	s_xor_b64 s[78:79], exec, s[18:19]
	s_cbranch_execz .LBB6_5945
; %bb.5928:                             ;   in Loop: Header=BB6_5851 Depth=2
	v_and_b32_e32 v2, 0x7fffffff, v14
	v_cmp_gt_u64_e32 vcc, s[56:57], v[2:3]
	v_and_b32_sdwa v39, v14, s49 dst_sel:DWORD dst_unused:UNUSED_PAD src0_sel:BYTE_3 src1_sel:DWORD
                                        ; implicit-def: $vgpr40
	s_and_saveexec_b64 s[18:19], vcc
	s_xor_b64 s[88:89], exec, s[18:19]
	s_cbranch_execz .LBB6_5942
; %bb.5929:                             ;   in Loop: Header=BB6_5851 Depth=2
	v_cmp_ne_u32_e32 vcc, 0, v14
	v_mov_b32_e32 v40, 0
	s_and_saveexec_b64 s[90:91], vcc
	s_cbranch_execz .LBB6_5941
; %bb.5930:                             ;   in Loop: Header=BB6_5851 Depth=2
	v_bfe_u32 v48, v14, 23, 8
	v_and_b32_e32 v2, 0x7fffff, v14
	v_cmp_gt_u32_e64 s[18:19], s51, v48
	v_sub_u32_e32 v14, 0x79, v48
	v_cmp_eq_u32_e32 vcc, 0, v48
	v_cndmask_b32_e64 v14, 0, v14, s[18:19]
	v_mov_b32_e32 v16, 0x78
	v_cndmask_b32_e32 v50, v14, v16, vcc
	v_or_b32_e32 v15, 0x800000, v2
	v_add_u32_e32 v14, 20, v50
	v_cndmask_b32_e32 v2, v15, v2, vcc
	v_lshlrev_b64 v[14:15], v14, -1
	v_add_u32_e32 v16, 19, v50
	v_lshlrev_b64 v[40:41], v16, 1
	v_bfi_b32 v15, v15, 0, 0
	v_bfi_b32 v14, v14, 0, v2
	v_cmp_eq_u64_e64 s[18:19], v[14:15], v[40:41]
	v_lshrrev_b64 v[14:15], v50, v[2:3]
	v_mov_b32_e32 v16, v15
	v_mov_b32_e32 v15, v14
	s_and_saveexec_b64 s[92:93], s[18:19]
; %bb.5931:                             ;   in Loop: Header=BB6_5851 Depth=2
	v_bfe_u32 v2, v14, 20, 1
	v_add_co_u32_e64 v2, s[18:19], v14, v2
	v_add_co_u32_e64 v15, s[18:19], -1, v2
; %bb.5932:                             ;   in Loop: Header=BB6_5851 Depth=2
	s_or_b64 exec, exec, s[92:93]
	v_add_u32_e32 v2, 0xffffff81, v48
	v_mov_b32_e32 v16, 0xffffff82
	v_cndmask_b32_e32 v2, v2, v16, vcc
	v_lshrrev_b32_e32 v16, 23, v14
	v_add3_u32 v50, v50, v2, v16
	v_add_u32_e32 v48, 6, v50
	v_and_b32_e32 v2, 0xfffff, v15
	v_add_u32_e32 v2, v2, v14
	v_cmp_ne_u32_e32 vcc, 0, v48
                                        ; implicit-def: $vgpr14_vgpr15
                                        ; implicit-def: $vgpr16
	s_and_saveexec_b64 s[18:19], vcc
	s_xor_b64 s[18:19], exec, s[18:19]
; %bb.5933:                             ;   in Loop: Header=BB6_5851 Depth=2
	v_cmp_lt_u64_e32 vcc, s[58:59], v[2:3]
	v_add_u32_e32 v14, 7, v50
	v_cndmask_b32_e32 v16, v48, v14, vcc
	v_cndmask_b32_e64 v14, 0, 1, vcc
	v_lshrrev_b64 v[14:15], v14, v[2:3]
; %bb.5934:                             ;   in Loop: Header=BB6_5851 Depth=2
	s_andn2_saveexec_b64 s[18:19], s[18:19]
; %bb.5935:                             ;   in Loop: Header=BB6_5851 Depth=2
	v_mov_b32_e32 v15, v3
	v_bfe_u32 v16, v2, 23, 1
	v_mov_b32_e32 v14, v2
; %bb.5936:                             ;   in Loop: Header=BB6_5851 Depth=2
	s_or_b64 exec, exec, s[18:19]
	v_lshrrev_b64 v[14:15], 20, v[14:15]
	v_cmp_gt_i32_e32 vcc, 16, v16
	v_cndmask_b32_e32 v15, 0, v15, vcc
	v_cndmask_b32_e32 v14, 7, v14, vcc
	v_cmp_ne_u64_e32 vcc, 0, v[14:15]
	v_cmp_ne_u32_e64 s[18:19], 0, v16
	s_or_b64 s[18:19], s[18:19], vcc
                                        ; implicit-def: $vgpr40
	s_and_saveexec_b64 s[92:93], s[18:19]
	s_xor_b64 s[18:19], exec, s[92:93]
; %bb.5937:                             ;   in Loop: Header=BB6_5851 Depth=2
	v_min_i32_e32 v2, 15, v16
	v_lshl_or_b32 v2, v2, 3, v39
	v_and_or_b32 v40, v14, 7, v2
                                        ; implicit-def: $vgpr39
; %bb.5938:                             ;   in Loop: Header=BB6_5851 Depth=2
	s_andn2_saveexec_b64 s[18:19], s[18:19]
; %bb.5939:                             ;   in Loop: Header=BB6_5851 Depth=2
	v_mov_b32_e32 v40, v39
; %bb.5940:                             ;   in Loop: Header=BB6_5851 Depth=2
	s_or_b64 exec, exec, s[18:19]
.LBB6_5941:                             ;   in Loop: Header=BB6_5851 Depth=2
	s_or_b64 exec, exec, s[90:91]
                                        ; implicit-def: $vgpr39
.LBB6_5942:                             ;   in Loop: Header=BB6_5851 Depth=2
	s_andn2_saveexec_b64 s[18:19], s[88:89]
; %bb.5943:                             ;   in Loop: Header=BB6_5851 Depth=2
	v_or_b32_e32 v40, 0x7e, v39
; %bb.5944:                             ;   in Loop: Header=BB6_5851 Depth=2
	s_or_b64 exec, exec, s[18:19]
                                        ; implicit-def: $vgpr14
.LBB6_5945:                             ;   in Loop: Header=BB6_5851 Depth=2
	s_andn2_saveexec_b64 s[18:19], s[78:79]
; %bb.5946:                             ;   in Loop: Header=BB6_5851 Depth=2
	v_or_b32_sdwa v40, v14, s50 dst_sel:DWORD dst_unused:UNUSED_PAD src0_sel:BYTE_3 src1_sel:DWORD
; %bb.5947:                             ;   in Loop: Header=BB6_5851 Depth=2
	s_or_b64 exec, exec, s[18:19]
	v_and_b32_e32 v2, 0xff, v37
	v_cmp_ne_u16_e32 vcc, 0, v2
	v_mov_b32_e32 v14, 0
	v_mov_b32_e32 v15, 0
	s_and_saveexec_b64 s[18:19], vcc
	s_cbranch_execz .LBB6_5953
; %bb.5948:                             ;   in Loop: Header=BB6_5851 Depth=2
	v_cmp_ne_u16_e32 vcc, s49, v2
	v_bfrev_b32_e32 v15, 1
	s_and_saveexec_b64 s[78:79], vcc
	s_cbranch_execz .LBB6_5952
; %bb.5949:                             ;   in Loop: Header=BB6_5851 Depth=2
	v_and_b32_e32 v16, 0x7f, v37
	v_cmp_ne_u32_e32 vcc, s50, v16
	v_mov_b32_e32 v15, 0x7f800001
	s_and_saveexec_b64 s[88:89], vcc
	s_cbranch_execz .LBB6_5951
; %bb.5950:                             ;   in Loop: Header=BB6_5851 Depth=2
	v_and_b32_e32 v39, 7, v2
	v_ffbh_u32_e32 v15, v39
	v_min_u32_e32 v50, 32, v15
	v_subrev_u32_e32 v15, 28, v50
	v_lshrrev_b32_e32 v48, 3, v16
	v_cmp_gt_u32_e32 vcc, 8, v16
	v_lshlrev_b64 v[15:16], v15, v[2:3]
	v_sub_u32_e32 v2, 29, v50
	v_and_b32_e32 v15, 7, v15
	v_cndmask_b32_e32 v2, v48, v2, vcc
	v_cndmask_b32_e32 v15, v39, v15, vcc
	v_lshlrev_b32_e32 v16, 24, v37
	v_lshlrev_b32_e32 v15, 20, v15
	v_and_b32_e32 v16, 0x80000000, v16
	v_lshl_add_u32 v2, v2, 23, v57
	v_or3_b32 v15, v16, v2, v15
.LBB6_5951:                             ;   in Loop: Header=BB6_5851 Depth=2
	s_or_b64 exec, exec, s[88:89]
.LBB6_5952:                             ;   in Loop: Header=BB6_5851 Depth=2
	s_or_b64 exec, exec, s[78:79]
.LBB6_5953:                             ;   in Loop: Header=BB6_5851 Depth=2
	s_or_b64 exec, exec, s[18:19]
	v_and_b32_e32 v2, 0xff, v36
	v_cmp_ne_u16_e32 vcc, 0, v2
	s_and_saveexec_b64 s[18:19], vcc
	s_cbranch_execz .LBB6_5959
; %bb.5954:                             ;   in Loop: Header=BB6_5851 Depth=2
	v_cmp_ne_u16_e32 vcc, s49, v2
	v_bfrev_b32_e32 v14, 1
	s_and_saveexec_b64 s[78:79], vcc
	s_cbranch_execz .LBB6_5958
; %bb.5955:                             ;   in Loop: Header=BB6_5851 Depth=2
	v_and_b32_e32 v16, 0x7f, v36
	v_cmp_ne_u32_e32 vcc, s50, v16
	v_mov_b32_e32 v14, 0x7f800001
	s_and_saveexec_b64 s[88:89], vcc
	s_cbranch_execz .LBB6_5957
; %bb.5956:                             ;   in Loop: Header=BB6_5851 Depth=2
	v_and_b32_e32 v14, 7, v2
	v_lshrrev_b32_e32 v37, 3, v16
	v_cmp_gt_u32_e32 vcc, 8, v16
	v_ffbh_u32_e32 v16, v14
	v_min_u32_e32 v16, 32, v16
	v_subrev_u32_e32 v39, 28, v16
	v_lshlrev_b64 v[50:51], v39, v[2:3]
	v_sub_u32_e32 v2, 29, v16
	v_and_b32_e32 v16, 7, v50
	v_cndmask_b32_e32 v2, v37, v2, vcc
	v_cndmask_b32_e32 v14, v14, v16, vcc
	v_lshlrev_b32_e32 v16, 24, v36
	v_lshlrev_b32_e32 v14, 20, v14
	v_and_b32_e32 v16, 0x80000000, v16
	v_lshl_add_u32 v2, v2, 23, v57
	v_or3_b32 v14, v16, v2, v14
.LBB6_5957:                             ;   in Loop: Header=BB6_5851 Depth=2
	s_or_b64 exec, exec, s[88:89]
.LBB6_5958:                             ;   in Loop: Header=BB6_5851 Depth=2
	s_or_b64 exec, exec, s[78:79]
.LBB6_5959:                             ;   in Loop: Header=BB6_5851 Depth=2
	s_or_b64 exec, exec, s[18:19]
	v_add_f32_e32 v14, v15, v14
	v_and_b32_e32 v2, 0x7f800000, v14
	v_cmp_ne_u64_e32 vcc, s[46:47], v[2:3]
                                        ; implicit-def: $vgpr48
	s_and_saveexec_b64 s[18:19], vcc
	s_xor_b64 s[78:79], exec, s[18:19]
	s_cbranch_execz .LBB6_5977
; %bb.5960:                             ;   in Loop: Header=BB6_5851 Depth=2
	v_and_b32_e32 v2, 0x7fffffff, v14
	v_cmp_gt_u64_e32 vcc, s[56:57], v[2:3]
	v_and_b32_sdwa v36, v14, s49 dst_sel:DWORD dst_unused:UNUSED_PAD src0_sel:BYTE_3 src1_sel:DWORD
                                        ; implicit-def: $vgpr48
	s_and_saveexec_b64 s[18:19], vcc
	s_xor_b64 s[88:89], exec, s[18:19]
	s_cbranch_execz .LBB6_5974
; %bb.5961:                             ;   in Loop: Header=BB6_5851 Depth=2
	v_cmp_ne_u32_e32 vcc, 0, v14
	v_mov_b32_e32 v48, 0
	s_and_saveexec_b64 s[90:91], vcc
	s_cbranch_execz .LBB6_5973
; %bb.5962:                             ;   in Loop: Header=BB6_5851 Depth=2
	v_bfe_u32 v37, v14, 23, 8
	v_and_b32_e32 v2, 0x7fffff, v14
	v_cmp_gt_u32_e64 s[18:19], s51, v37
	v_sub_u32_e32 v14, 0x79, v37
	v_cmp_eq_u32_e32 vcc, 0, v37
	v_cndmask_b32_e64 v14, 0, v14, s[18:19]
	v_mov_b32_e32 v16, 0x78
	v_cndmask_b32_e32 v39, v14, v16, vcc
	v_or_b32_e32 v15, 0x800000, v2
	v_add_u32_e32 v14, 20, v39
	v_cndmask_b32_e32 v2, v15, v2, vcc
	v_lshlrev_b64 v[14:15], v14, -1
	v_add_u32_e32 v16, 19, v39
	v_lshlrev_b64 v[50:51], v16, 1
	v_bfi_b32 v15, v15, 0, 0
	v_bfi_b32 v14, v14, 0, v2
	v_cmp_eq_u64_e64 s[18:19], v[14:15], v[50:51]
	v_lshrrev_b64 v[14:15], v39, v[2:3]
	v_mov_b32_e32 v16, v15
	v_mov_b32_e32 v15, v14
	s_and_saveexec_b64 s[92:93], s[18:19]
; %bb.5963:                             ;   in Loop: Header=BB6_5851 Depth=2
	v_bfe_u32 v2, v14, 20, 1
	v_add_co_u32_e64 v2, s[18:19], v14, v2
	v_add_co_u32_e64 v15, s[18:19], -1, v2
; %bb.5964:                             ;   in Loop: Header=BB6_5851 Depth=2
	s_or_b64 exec, exec, s[92:93]
	v_add_u32_e32 v2, 0xffffff81, v37
	v_mov_b32_e32 v16, 0xffffff82
	v_cndmask_b32_e32 v2, v2, v16, vcc
	v_lshrrev_b32_e32 v16, 23, v14
	v_add3_u32 v39, v39, v2, v16
	v_add_u32_e32 v37, 6, v39
	v_and_b32_e32 v2, 0xfffff, v15
	v_add_u32_e32 v2, v2, v14
	v_cmp_ne_u32_e32 vcc, 0, v37
                                        ; implicit-def: $vgpr14_vgpr15
                                        ; implicit-def: $vgpr16
	s_and_saveexec_b64 s[18:19], vcc
	s_xor_b64 s[18:19], exec, s[18:19]
; %bb.5965:                             ;   in Loop: Header=BB6_5851 Depth=2
	v_cmp_lt_u64_e32 vcc, s[58:59], v[2:3]
	v_add_u32_e32 v14, 7, v39
	v_cndmask_b32_e32 v16, v37, v14, vcc
	v_cndmask_b32_e64 v14, 0, 1, vcc
	v_lshrrev_b64 v[14:15], v14, v[2:3]
; %bb.5966:                             ;   in Loop: Header=BB6_5851 Depth=2
	s_andn2_saveexec_b64 s[18:19], s[18:19]
; %bb.5967:                             ;   in Loop: Header=BB6_5851 Depth=2
	v_mov_b32_e32 v15, v3
	v_bfe_u32 v16, v2, 23, 1
	v_mov_b32_e32 v14, v2
; %bb.5968:                             ;   in Loop: Header=BB6_5851 Depth=2
	s_or_b64 exec, exec, s[18:19]
	v_lshrrev_b64 v[14:15], 20, v[14:15]
	v_cmp_gt_i32_e32 vcc, 16, v16
	v_cndmask_b32_e32 v15, 0, v15, vcc
	v_cndmask_b32_e32 v14, 7, v14, vcc
	v_cmp_ne_u64_e32 vcc, 0, v[14:15]
	v_cmp_ne_u32_e64 s[18:19], 0, v16
	s_or_b64 s[18:19], s[18:19], vcc
                                        ; implicit-def: $vgpr48
	s_and_saveexec_b64 s[92:93], s[18:19]
	s_xor_b64 s[18:19], exec, s[92:93]
; %bb.5969:                             ;   in Loop: Header=BB6_5851 Depth=2
	v_min_i32_e32 v2, 15, v16
	v_lshl_or_b32 v2, v2, 3, v36
	v_and_or_b32 v48, v14, 7, v2
                                        ; implicit-def: $vgpr36
; %bb.5970:                             ;   in Loop: Header=BB6_5851 Depth=2
	s_andn2_saveexec_b64 s[18:19], s[18:19]
; %bb.5971:                             ;   in Loop: Header=BB6_5851 Depth=2
	v_mov_b32_e32 v48, v36
; %bb.5972:                             ;   in Loop: Header=BB6_5851 Depth=2
	s_or_b64 exec, exec, s[18:19]
.LBB6_5973:                             ;   in Loop: Header=BB6_5851 Depth=2
	s_or_b64 exec, exec, s[90:91]
                                        ; implicit-def: $vgpr36
.LBB6_5974:                             ;   in Loop: Header=BB6_5851 Depth=2
	s_andn2_saveexec_b64 s[18:19], s[88:89]
; %bb.5975:                             ;   in Loop: Header=BB6_5851 Depth=2
	v_or_b32_e32 v48, 0x7e, v36
; %bb.5976:                             ;   in Loop: Header=BB6_5851 Depth=2
	s_or_b64 exec, exec, s[18:19]
                                        ; implicit-def: $vgpr14
.LBB6_5977:                             ;   in Loop: Header=BB6_5851 Depth=2
	s_andn2_saveexec_b64 s[18:19], s[78:79]
; %bb.5978:                             ;   in Loop: Header=BB6_5851 Depth=2
	v_or_b32_sdwa v48, v14, s50 dst_sel:DWORD dst_unused:UNUSED_PAD src0_sel:BYTE_3 src1_sel:DWORD
; %bb.5979:                             ;   in Loop: Header=BB6_5851 Depth=2
	s_or_b64 exec, exec, s[18:19]
	v_and_b32_e32 v2, 0xff, v34
	v_cmp_ne_u16_e32 vcc, 0, v2
	v_mov_b32_e32 v14, 0
	v_mov_b32_e32 v15, 0
	s_and_saveexec_b64 s[18:19], vcc
	s_cbranch_execz .LBB6_5985
; %bb.5980:                             ;   in Loop: Header=BB6_5851 Depth=2
	v_cmp_ne_u16_e32 vcc, s49, v2
	v_bfrev_b32_e32 v15, 1
	s_and_saveexec_b64 s[78:79], vcc
	s_cbranch_execz .LBB6_5984
; %bb.5981:                             ;   in Loop: Header=BB6_5851 Depth=2
	v_and_b32_e32 v16, 0x7f, v34
	v_cmp_ne_u32_e32 vcc, s50, v16
	v_mov_b32_e32 v15, 0x7f800001
	s_and_saveexec_b64 s[88:89], vcc
	s_cbranch_execz .LBB6_5983
; %bb.5982:                             ;   in Loop: Header=BB6_5851 Depth=2
	v_and_b32_e32 v36, 7, v2
	v_ffbh_u32_e32 v15, v36
	v_min_u32_e32 v39, 32, v15
	v_subrev_u32_e32 v15, 28, v39
	v_lshrrev_b32_e32 v37, 3, v16
	v_cmp_gt_u32_e32 vcc, 8, v16
	v_lshlrev_b64 v[15:16], v15, v[2:3]
	v_sub_u32_e32 v2, 29, v39
	v_and_b32_e32 v15, 7, v15
	v_cndmask_b32_e32 v2, v37, v2, vcc
	v_cndmask_b32_e32 v15, v36, v15, vcc
	v_lshlrev_b32_e32 v16, 24, v34
	v_lshlrev_b32_e32 v15, 20, v15
	v_and_b32_e32 v16, 0x80000000, v16
	v_lshl_add_u32 v2, v2, 23, v57
	v_or3_b32 v15, v16, v2, v15
.LBB6_5983:                             ;   in Loop: Header=BB6_5851 Depth=2
	s_or_b64 exec, exec, s[88:89]
.LBB6_5984:                             ;   in Loop: Header=BB6_5851 Depth=2
	s_or_b64 exec, exec, s[78:79]
.LBB6_5985:                             ;   in Loop: Header=BB6_5851 Depth=2
	s_or_b64 exec, exec, s[18:19]
	v_and_b32_e32 v2, 0xff, v33
	v_cmp_ne_u16_e32 vcc, 0, v2
	s_and_saveexec_b64 s[18:19], vcc
	s_cbranch_execz .LBB6_5991
; %bb.5986:                             ;   in Loop: Header=BB6_5851 Depth=2
	v_cmp_ne_u16_e32 vcc, s49, v2
	v_bfrev_b32_e32 v14, 1
	s_and_saveexec_b64 s[78:79], vcc
	s_cbranch_execz .LBB6_5990
; %bb.5987:                             ;   in Loop: Header=BB6_5851 Depth=2
	v_and_b32_e32 v16, 0x7f, v33
	v_cmp_ne_u32_e32 vcc, s50, v16
	v_mov_b32_e32 v14, 0x7f800001
	s_and_saveexec_b64 s[88:89], vcc
	s_cbranch_execz .LBB6_5989
; %bb.5988:                             ;   in Loop: Header=BB6_5851 Depth=2
	v_and_b32_e32 v14, 7, v2
	v_lshrrev_b32_e32 v34, 3, v16
	v_cmp_gt_u32_e32 vcc, 8, v16
	v_ffbh_u32_e32 v16, v14
	v_min_u32_e32 v16, 32, v16
	v_subrev_u32_e32 v36, 28, v16
	v_lshlrev_b64 v[36:37], v36, v[2:3]
	v_sub_u32_e32 v2, 29, v16
	v_and_b32_e32 v16, 7, v36
	v_cndmask_b32_e32 v2, v34, v2, vcc
	v_cndmask_b32_e32 v14, v14, v16, vcc
	v_lshlrev_b32_e32 v16, 24, v33
	v_lshlrev_b32_e32 v14, 20, v14
	v_and_b32_e32 v16, 0x80000000, v16
	v_lshl_add_u32 v2, v2, 23, v57
	v_or3_b32 v14, v16, v2, v14
.LBB6_5989:                             ;   in Loop: Header=BB6_5851 Depth=2
	s_or_b64 exec, exec, s[88:89]
.LBB6_5990:                             ;   in Loop: Header=BB6_5851 Depth=2
	s_or_b64 exec, exec, s[78:79]
.LBB6_5991:                             ;   in Loop: Header=BB6_5851 Depth=2
	s_or_b64 exec, exec, s[18:19]
	v_add_f32_e32 v14, v15, v14
	v_and_b32_e32 v2, 0x7f800000, v14
	v_cmp_ne_u64_e32 vcc, s[46:47], v[2:3]
                                        ; implicit-def: $vgpr39
	s_and_saveexec_b64 s[18:19], vcc
	s_xor_b64 s[78:79], exec, s[18:19]
	s_cbranch_execz .LBB6_6009
; %bb.5992:                             ;   in Loop: Header=BB6_5851 Depth=2
	v_and_b32_e32 v2, 0x7fffffff, v14
	v_cmp_gt_u64_e32 vcc, s[56:57], v[2:3]
	v_and_b32_sdwa v33, v14, s49 dst_sel:DWORD dst_unused:UNUSED_PAD src0_sel:BYTE_3 src1_sel:DWORD
                                        ; implicit-def: $vgpr39
	s_and_saveexec_b64 s[18:19], vcc
	s_xor_b64 s[88:89], exec, s[18:19]
	s_cbranch_execz .LBB6_6006
; %bb.5993:                             ;   in Loop: Header=BB6_5851 Depth=2
	v_cmp_ne_u32_e32 vcc, 0, v14
	v_mov_b32_e32 v39, 0
	s_and_saveexec_b64 s[90:91], vcc
	s_cbranch_execz .LBB6_6005
; %bb.5994:                             ;   in Loop: Header=BB6_5851 Depth=2
	v_bfe_u32 v34, v14, 23, 8
	v_and_b32_e32 v2, 0x7fffff, v14
	v_cmp_gt_u32_e64 s[18:19], s51, v34
	v_sub_u32_e32 v14, 0x79, v34
	v_cmp_eq_u32_e32 vcc, 0, v34
	v_cndmask_b32_e64 v14, 0, v14, s[18:19]
	v_mov_b32_e32 v16, 0x78
	v_cndmask_b32_e32 v36, v14, v16, vcc
	v_or_b32_e32 v15, 0x800000, v2
	v_add_u32_e32 v14, 20, v36
	v_cndmask_b32_e32 v2, v15, v2, vcc
	v_lshlrev_b64 v[14:15], v14, -1
	v_add_u32_e32 v16, 19, v36
	v_lshlrev_b64 v[50:51], v16, 1
	v_bfi_b32 v15, v15, 0, 0
	v_bfi_b32 v14, v14, 0, v2
	v_cmp_eq_u64_e64 s[18:19], v[14:15], v[50:51]
	v_lshrrev_b64 v[14:15], v36, v[2:3]
	v_mov_b32_e32 v16, v15
	v_mov_b32_e32 v15, v14
	s_and_saveexec_b64 s[92:93], s[18:19]
; %bb.5995:                             ;   in Loop: Header=BB6_5851 Depth=2
	v_bfe_u32 v2, v14, 20, 1
	v_add_co_u32_e64 v2, s[18:19], v14, v2
	v_add_co_u32_e64 v15, s[18:19], -1, v2
; %bb.5996:                             ;   in Loop: Header=BB6_5851 Depth=2
	s_or_b64 exec, exec, s[92:93]
	v_add_u32_e32 v2, 0xffffff81, v34
	v_mov_b32_e32 v16, 0xffffff82
	v_cndmask_b32_e32 v2, v2, v16, vcc
	v_lshrrev_b32_e32 v16, 23, v14
	v_add3_u32 v36, v36, v2, v16
	v_add_u32_e32 v34, 6, v36
	v_and_b32_e32 v2, 0xfffff, v15
	v_add_u32_e32 v2, v2, v14
	v_cmp_ne_u32_e32 vcc, 0, v34
                                        ; implicit-def: $vgpr14_vgpr15
                                        ; implicit-def: $vgpr16
	s_and_saveexec_b64 s[18:19], vcc
	s_xor_b64 s[18:19], exec, s[18:19]
; %bb.5997:                             ;   in Loop: Header=BB6_5851 Depth=2
	v_cmp_lt_u64_e32 vcc, s[58:59], v[2:3]
	v_add_u32_e32 v14, 7, v36
	v_cndmask_b32_e32 v16, v34, v14, vcc
	v_cndmask_b32_e64 v14, 0, 1, vcc
	v_lshrrev_b64 v[14:15], v14, v[2:3]
; %bb.5998:                             ;   in Loop: Header=BB6_5851 Depth=2
	s_andn2_saveexec_b64 s[18:19], s[18:19]
; %bb.5999:                             ;   in Loop: Header=BB6_5851 Depth=2
	v_mov_b32_e32 v15, v3
	v_bfe_u32 v16, v2, 23, 1
	v_mov_b32_e32 v14, v2
; %bb.6000:                             ;   in Loop: Header=BB6_5851 Depth=2
	s_or_b64 exec, exec, s[18:19]
	v_lshrrev_b64 v[14:15], 20, v[14:15]
	v_cmp_gt_i32_e32 vcc, 16, v16
	v_cndmask_b32_e32 v15, 0, v15, vcc
	v_cndmask_b32_e32 v14, 7, v14, vcc
	v_cmp_ne_u64_e32 vcc, 0, v[14:15]
	v_cmp_ne_u32_e64 s[18:19], 0, v16
	s_or_b64 s[18:19], s[18:19], vcc
                                        ; implicit-def: $vgpr39
	s_and_saveexec_b64 s[92:93], s[18:19]
	s_xor_b64 s[18:19], exec, s[92:93]
; %bb.6001:                             ;   in Loop: Header=BB6_5851 Depth=2
	v_min_i32_e32 v2, 15, v16
	v_lshl_or_b32 v2, v2, 3, v33
	v_and_or_b32 v39, v14, 7, v2
                                        ; implicit-def: $vgpr33
; %bb.6002:                             ;   in Loop: Header=BB6_5851 Depth=2
	s_andn2_saveexec_b64 s[18:19], s[18:19]
; %bb.6003:                             ;   in Loop: Header=BB6_5851 Depth=2
	v_mov_b32_e32 v39, v33
; %bb.6004:                             ;   in Loop: Header=BB6_5851 Depth=2
	s_or_b64 exec, exec, s[18:19]
.LBB6_6005:                             ;   in Loop: Header=BB6_5851 Depth=2
	s_or_b64 exec, exec, s[90:91]
                                        ; implicit-def: $vgpr33
.LBB6_6006:                             ;   in Loop: Header=BB6_5851 Depth=2
	s_andn2_saveexec_b64 s[18:19], s[88:89]
; %bb.6007:                             ;   in Loop: Header=BB6_5851 Depth=2
	v_or_b32_e32 v39, 0x7e, v33
; %bb.6008:                             ;   in Loop: Header=BB6_5851 Depth=2
	s_or_b64 exec, exec, s[18:19]
                                        ; implicit-def: $vgpr14
.LBB6_6009:                             ;   in Loop: Header=BB6_5851 Depth=2
	s_andn2_saveexec_b64 s[18:19], s[78:79]
; %bb.6010:                             ;   in Loop: Header=BB6_5851 Depth=2
	v_or_b32_sdwa v39, v14, s50 dst_sel:DWORD dst_unused:UNUSED_PAD src0_sel:BYTE_3 src1_sel:DWORD
; %bb.6011:                             ;   in Loop: Header=BB6_5851 Depth=2
	s_or_b64 exec, exec, s[18:19]
	v_and_b32_e32 v2, 0xff, v59
	v_cmp_ne_u16_e32 vcc, 0, v2
	v_mov_b32_e32 v14, 0
	v_mov_b32_e32 v15, 0
	s_and_saveexec_b64 s[18:19], vcc
	s_cbranch_execz .LBB6_6017
; %bb.6012:                             ;   in Loop: Header=BB6_5851 Depth=2
	v_cmp_ne_u16_e32 vcc, s49, v2
	v_bfrev_b32_e32 v15, 1
	s_and_saveexec_b64 s[78:79], vcc
	s_cbranch_execz .LBB6_6016
; %bb.6013:                             ;   in Loop: Header=BB6_5851 Depth=2
	v_and_b32_e32 v16, 0x7f, v59
	v_cmp_ne_u32_e32 vcc, s50, v16
	v_mov_b32_e32 v15, 0x7f800001
	s_and_saveexec_b64 s[88:89], vcc
	s_cbranch_execz .LBB6_6015
; %bb.6014:                             ;   in Loop: Header=BB6_5851 Depth=2
	v_and_b32_e32 v33, 7, v2
	v_ffbh_u32_e32 v15, v33
	v_min_u32_e32 v36, 32, v15
	v_subrev_u32_e32 v15, 28, v36
	v_lshrrev_b32_e32 v34, 3, v16
	v_cmp_gt_u32_e32 vcc, 8, v16
	v_lshlrev_b64 v[15:16], v15, v[2:3]
	v_sub_u32_e32 v2, 29, v36
	v_and_b32_e32 v15, 7, v15
	v_cndmask_b32_e32 v2, v34, v2, vcc
	v_cndmask_b32_e32 v15, v33, v15, vcc
	v_lshlrev_b32_e32 v16, 24, v59
	v_lshlrev_b32_e32 v15, 20, v15
	v_and_b32_e32 v16, 0x80000000, v16
	v_lshl_add_u32 v2, v2, 23, v57
	v_or3_b32 v15, v16, v2, v15
.LBB6_6015:                             ;   in Loop: Header=BB6_5851 Depth=2
	s_or_b64 exec, exec, s[88:89]
.LBB6_6016:                             ;   in Loop: Header=BB6_5851 Depth=2
	s_or_b64 exec, exec, s[78:79]
.LBB6_6017:                             ;   in Loop: Header=BB6_5851 Depth=2
	s_or_b64 exec, exec, s[18:19]
	v_and_b32_e32 v2, 0xff, v58
	v_cmp_ne_u16_e32 vcc, 0, v2
	s_and_saveexec_b64 s[18:19], vcc
	s_cbranch_execz .LBB6_6023
; %bb.6018:                             ;   in Loop: Header=BB6_5851 Depth=2
	v_cmp_ne_u16_e32 vcc, s49, v2
	v_bfrev_b32_e32 v14, 1
	s_and_saveexec_b64 s[78:79], vcc
	s_cbranch_execz .LBB6_6022
; %bb.6019:                             ;   in Loop: Header=BB6_5851 Depth=2
	v_and_b32_e32 v16, 0x7f, v58
	v_cmp_ne_u32_e32 vcc, s50, v16
	v_mov_b32_e32 v14, 0x7f800001
	s_and_saveexec_b64 s[88:89], vcc
	s_cbranch_execz .LBB6_6021
; %bb.6020:                             ;   in Loop: Header=BB6_5851 Depth=2
	v_and_b32_e32 v14, 7, v2
	v_lshrrev_b32_e32 v36, 3, v16
	v_cmp_gt_u32_e32 vcc, 8, v16
	v_ffbh_u32_e32 v16, v14
	v_min_u32_e32 v16, 32, v16
	v_subrev_u32_e32 v33, 28, v16
	v_lshlrev_b64 v[33:34], v33, v[2:3]
	v_sub_u32_e32 v2, 29, v16
	v_and_b32_e32 v16, 7, v33
	v_cndmask_b32_e32 v2, v36, v2, vcc
	v_cndmask_b32_e32 v14, v14, v16, vcc
	v_lshlrev_b32_e32 v16, 24, v58
	v_lshlrev_b32_e32 v14, 20, v14
	v_and_b32_e32 v16, 0x80000000, v16
	v_lshl_add_u32 v2, v2, 23, v57
	v_or3_b32 v14, v16, v2, v14
.LBB6_6021:                             ;   in Loop: Header=BB6_5851 Depth=2
	s_or_b64 exec, exec, s[88:89]
.LBB6_6022:                             ;   in Loop: Header=BB6_5851 Depth=2
	s_or_b64 exec, exec, s[78:79]
.LBB6_6023:                             ;   in Loop: Header=BB6_5851 Depth=2
	s_or_b64 exec, exec, s[18:19]
	v_add_f32_e32 v14, v15, v14
	v_and_b32_e32 v2, 0x7f800000, v14
	v_cmp_ne_u64_e32 vcc, s[46:47], v[2:3]
                                        ; implicit-def: $vgpr50
	s_and_saveexec_b64 s[18:19], vcc
	s_xor_b64 s[78:79], exec, s[18:19]
	s_cbranch_execz .LBB6_6041
; %bb.6024:                             ;   in Loop: Header=BB6_5851 Depth=2
	v_and_b32_e32 v2, 0x7fffffff, v14
	v_cmp_gt_u64_e32 vcc, s[56:57], v[2:3]
	v_and_b32_sdwa v33, v14, s49 dst_sel:DWORD dst_unused:UNUSED_PAD src0_sel:BYTE_3 src1_sel:DWORD
                                        ; implicit-def: $vgpr50
	s_and_saveexec_b64 s[18:19], vcc
	s_xor_b64 s[88:89], exec, s[18:19]
	s_cbranch_execz .LBB6_6038
; %bb.6025:                             ;   in Loop: Header=BB6_5851 Depth=2
	v_cmp_ne_u32_e32 vcc, 0, v14
	v_mov_b32_e32 v50, 0
	s_and_saveexec_b64 s[90:91], vcc
	s_cbranch_execz .LBB6_6037
; %bb.6026:                             ;   in Loop: Header=BB6_5851 Depth=2
	v_bfe_u32 v34, v14, 23, 8
	v_and_b32_e32 v2, 0x7fffff, v14
	v_cmp_gt_u32_e64 s[18:19], s51, v34
	v_sub_u32_e32 v14, 0x79, v34
	v_cmp_eq_u32_e32 vcc, 0, v34
	v_cndmask_b32_e64 v14, 0, v14, s[18:19]
	v_mov_b32_e32 v16, 0x78
	v_cndmask_b32_e32 v36, v14, v16, vcc
	v_or_b32_e32 v15, 0x800000, v2
	v_add_u32_e32 v14, 20, v36
	v_cndmask_b32_e32 v2, v15, v2, vcc
	v_lshlrev_b64 v[14:15], v14, -1
	v_add_u32_e32 v16, 19, v36
	v_lshlrev_b64 v[50:51], v16, 1
	v_bfi_b32 v15, v15, 0, 0
	v_bfi_b32 v14, v14, 0, v2
	v_cmp_eq_u64_e64 s[18:19], v[14:15], v[50:51]
	v_lshrrev_b64 v[14:15], v36, v[2:3]
	v_mov_b32_e32 v16, v15
	v_mov_b32_e32 v15, v14
	s_and_saveexec_b64 s[92:93], s[18:19]
; %bb.6027:                             ;   in Loop: Header=BB6_5851 Depth=2
	v_bfe_u32 v2, v14, 20, 1
	v_add_co_u32_e64 v2, s[18:19], v14, v2
	v_add_co_u32_e64 v15, s[18:19], -1, v2
; %bb.6028:                             ;   in Loop: Header=BB6_5851 Depth=2
	s_or_b64 exec, exec, s[92:93]
	v_add_u32_e32 v2, 0xffffff81, v34
	v_mov_b32_e32 v16, 0xffffff82
	v_cndmask_b32_e32 v2, v2, v16, vcc
	v_lshrrev_b32_e32 v16, 23, v14
	v_add3_u32 v36, v36, v2, v16
	v_add_u32_e32 v34, 6, v36
	v_and_b32_e32 v2, 0xfffff, v15
	v_add_u32_e32 v2, v2, v14
	v_cmp_ne_u32_e32 vcc, 0, v34
                                        ; implicit-def: $vgpr14_vgpr15
                                        ; implicit-def: $vgpr16
	s_and_saveexec_b64 s[18:19], vcc
	s_xor_b64 s[18:19], exec, s[18:19]
; %bb.6029:                             ;   in Loop: Header=BB6_5851 Depth=2
	v_cmp_lt_u64_e32 vcc, s[58:59], v[2:3]
	v_add_u32_e32 v14, 7, v36
	v_cndmask_b32_e32 v16, v34, v14, vcc
	v_cndmask_b32_e64 v14, 0, 1, vcc
	v_lshrrev_b64 v[14:15], v14, v[2:3]
; %bb.6030:                             ;   in Loop: Header=BB6_5851 Depth=2
	s_andn2_saveexec_b64 s[18:19], s[18:19]
; %bb.6031:                             ;   in Loop: Header=BB6_5851 Depth=2
	v_mov_b32_e32 v15, v3
	v_bfe_u32 v16, v2, 23, 1
	v_mov_b32_e32 v14, v2
; %bb.6032:                             ;   in Loop: Header=BB6_5851 Depth=2
	s_or_b64 exec, exec, s[18:19]
	v_lshrrev_b64 v[14:15], 20, v[14:15]
	v_cmp_gt_i32_e32 vcc, 16, v16
	v_cndmask_b32_e32 v15, 0, v15, vcc
	v_cndmask_b32_e32 v14, 7, v14, vcc
	v_cmp_ne_u64_e32 vcc, 0, v[14:15]
	v_cmp_ne_u32_e64 s[18:19], 0, v16
	s_or_b64 s[18:19], s[18:19], vcc
                                        ; implicit-def: $vgpr50
	s_and_saveexec_b64 s[92:93], s[18:19]
	s_xor_b64 s[18:19], exec, s[92:93]
; %bb.6033:                             ;   in Loop: Header=BB6_5851 Depth=2
	v_min_i32_e32 v2, 15, v16
	v_lshl_or_b32 v2, v2, 3, v33
	v_and_or_b32 v50, v14, 7, v2
                                        ; implicit-def: $vgpr33
; %bb.6034:                             ;   in Loop: Header=BB6_5851 Depth=2
	s_andn2_saveexec_b64 s[18:19], s[18:19]
; %bb.6035:                             ;   in Loop: Header=BB6_5851 Depth=2
	v_mov_b32_e32 v50, v33
; %bb.6036:                             ;   in Loop: Header=BB6_5851 Depth=2
	s_or_b64 exec, exec, s[18:19]
.LBB6_6037:                             ;   in Loop: Header=BB6_5851 Depth=2
	s_or_b64 exec, exec, s[90:91]
                                        ; implicit-def: $vgpr33
.LBB6_6038:                             ;   in Loop: Header=BB6_5851 Depth=2
	s_andn2_saveexec_b64 s[18:19], s[88:89]
; %bb.6039:                             ;   in Loop: Header=BB6_5851 Depth=2
	v_or_b32_e32 v50, 0x7e, v33
; %bb.6040:                             ;   in Loop: Header=BB6_5851 Depth=2
	s_or_b64 exec, exec, s[18:19]
                                        ; implicit-def: $vgpr14
.LBB6_6041:                             ;   in Loop: Header=BB6_5851 Depth=2
	s_andn2_saveexec_b64 s[18:19], s[78:79]
; %bb.6042:                             ;   in Loop: Header=BB6_5851 Depth=2
	v_or_b32_sdwa v50, v14, s50 dst_sel:DWORD dst_unused:UNUSED_PAD src0_sel:BYTE_3 src1_sel:DWORD
; %bb.6043:                             ;   in Loop: Header=BB6_5851 Depth=2
	s_or_b64 exec, exec, s[18:19]
	v_and_b32_e32 v2, 0xff, v31
	v_cmp_ne_u16_e32 vcc, 0, v2
	v_mov_b32_e32 v14, 0
	v_mov_b32_e32 v15, 0
	s_and_saveexec_b64 s[18:19], vcc
	s_cbranch_execz .LBB6_6049
; %bb.6044:                             ;   in Loop: Header=BB6_5851 Depth=2
	v_cmp_ne_u16_e32 vcc, s49, v2
	v_bfrev_b32_e32 v15, 1
	s_and_saveexec_b64 s[78:79], vcc
	s_cbranch_execz .LBB6_6048
; %bb.6045:                             ;   in Loop: Header=BB6_5851 Depth=2
	v_and_b32_e32 v16, 0x7f, v31
	v_cmp_ne_u32_e32 vcc, s50, v16
	v_mov_b32_e32 v15, 0x7f800001
	s_and_saveexec_b64 s[88:89], vcc
	s_cbranch_execz .LBB6_6047
; %bb.6046:                             ;   in Loop: Header=BB6_5851 Depth=2
	v_and_b32_e32 v33, 7, v2
	v_ffbh_u32_e32 v15, v33
	v_min_u32_e32 v36, 32, v15
	v_subrev_u32_e32 v15, 28, v36
	v_lshrrev_b32_e32 v34, 3, v16
	v_cmp_gt_u32_e32 vcc, 8, v16
	v_lshlrev_b64 v[15:16], v15, v[2:3]
	v_sub_u32_e32 v2, 29, v36
	v_and_b32_e32 v15, 7, v15
	v_cndmask_b32_e32 v2, v34, v2, vcc
	v_cndmask_b32_e32 v15, v33, v15, vcc
	v_lshlrev_b32_e32 v16, 24, v31
	v_lshlrev_b32_e32 v15, 20, v15
	v_and_b32_e32 v16, 0x80000000, v16
	v_lshl_add_u32 v2, v2, 23, v57
	v_or3_b32 v15, v16, v2, v15
.LBB6_6047:                             ;   in Loop: Header=BB6_5851 Depth=2
	s_or_b64 exec, exec, s[88:89]
.LBB6_6048:                             ;   in Loop: Header=BB6_5851 Depth=2
	s_or_b64 exec, exec, s[78:79]
.LBB6_6049:                             ;   in Loop: Header=BB6_5851 Depth=2
	s_or_b64 exec, exec, s[18:19]
	v_and_b32_e32 v2, 0xff, v38
	v_cmp_ne_u16_e32 vcc, 0, v2
	s_and_saveexec_b64 s[18:19], vcc
	s_cbranch_execz .LBB6_6055
; %bb.6050:                             ;   in Loop: Header=BB6_5851 Depth=2
	v_cmp_ne_u16_e32 vcc, s49, v2
	v_bfrev_b32_e32 v14, 1
	s_and_saveexec_b64 s[78:79], vcc
	s_cbranch_execz .LBB6_6054
; %bb.6051:                             ;   in Loop: Header=BB6_5851 Depth=2
	v_and_b32_e32 v16, 0x7f, v38
	v_cmp_ne_u32_e32 vcc, s50, v16
	v_mov_b32_e32 v14, 0x7f800001
	s_and_saveexec_b64 s[88:89], vcc
	s_cbranch_execz .LBB6_6053
; %bb.6052:                             ;   in Loop: Header=BB6_5851 Depth=2
	v_and_b32_e32 v14, 7, v2
	v_lshrrev_b32_e32 v31, 3, v16
	v_cmp_gt_u32_e32 vcc, 8, v16
	v_ffbh_u32_e32 v16, v14
	v_min_u32_e32 v16, 32, v16
	v_subrev_u32_e32 v33, 28, v16
	v_lshlrev_b64 v[33:34], v33, v[2:3]
	v_sub_u32_e32 v2, 29, v16
	v_and_b32_e32 v16, 7, v33
	v_cndmask_b32_e32 v2, v31, v2, vcc
	v_cndmask_b32_e32 v14, v14, v16, vcc
	v_lshlrev_b32_e32 v16, 24, v38
	v_lshlrev_b32_e32 v14, 20, v14
	v_and_b32_e32 v16, 0x80000000, v16
	v_lshl_add_u32 v2, v2, 23, v57
	v_or3_b32 v14, v16, v2, v14
.LBB6_6053:                             ;   in Loop: Header=BB6_5851 Depth=2
	s_or_b64 exec, exec, s[88:89]
.LBB6_6054:                             ;   in Loop: Header=BB6_5851 Depth=2
	s_or_b64 exec, exec, s[78:79]
.LBB6_6055:                             ;   in Loop: Header=BB6_5851 Depth=2
	s_or_b64 exec, exec, s[18:19]
	v_add_f32_e32 v14, v15, v14
	v_and_b32_e32 v2, 0x7f800000, v14
	v_cmp_ne_u64_e32 vcc, s[46:47], v[2:3]
                                        ; implicit-def: $vgpr38
	s_and_saveexec_b64 s[18:19], vcc
	s_xor_b64 s[78:79], exec, s[18:19]
	s_cbranch_execz .LBB6_6073
; %bb.6056:                             ;   in Loop: Header=BB6_5851 Depth=2
	v_and_b32_e32 v2, 0x7fffffff, v14
	v_cmp_gt_u64_e32 vcc, s[56:57], v[2:3]
	v_and_b32_sdwa v31, v14, s49 dst_sel:DWORD dst_unused:UNUSED_PAD src0_sel:BYTE_3 src1_sel:DWORD
                                        ; implicit-def: $vgpr38
	s_and_saveexec_b64 s[18:19], vcc
	s_xor_b64 s[88:89], exec, s[18:19]
	s_cbranch_execz .LBB6_6070
; %bb.6057:                             ;   in Loop: Header=BB6_5851 Depth=2
	v_cmp_ne_u32_e32 vcc, 0, v14
	v_mov_b32_e32 v38, 0
	s_and_saveexec_b64 s[90:91], vcc
	s_cbranch_execz .LBB6_6069
; %bb.6058:                             ;   in Loop: Header=BB6_5851 Depth=2
	v_bfe_u32 v33, v14, 23, 8
	v_and_b32_e32 v2, 0x7fffff, v14
	v_cmp_gt_u32_e64 s[18:19], s51, v33
	v_sub_u32_e32 v14, 0x79, v33
	v_cmp_eq_u32_e32 vcc, 0, v33
	v_cndmask_b32_e64 v14, 0, v14, s[18:19]
	v_mov_b32_e32 v16, 0x78
	v_cndmask_b32_e32 v34, v14, v16, vcc
	v_or_b32_e32 v15, 0x800000, v2
	v_add_u32_e32 v14, 20, v34
	v_cndmask_b32_e32 v2, v15, v2, vcc
	v_lshlrev_b64 v[14:15], v14, -1
	v_add_u32_e32 v16, 19, v34
	v_lshlrev_b64 v[36:37], v16, 1
	v_bfi_b32 v15, v15, 0, 0
	v_bfi_b32 v14, v14, 0, v2
	v_cmp_eq_u64_e64 s[18:19], v[14:15], v[36:37]
	v_lshrrev_b64 v[14:15], v34, v[2:3]
	v_mov_b32_e32 v16, v15
	v_mov_b32_e32 v15, v14
	s_and_saveexec_b64 s[92:93], s[18:19]
; %bb.6059:                             ;   in Loop: Header=BB6_5851 Depth=2
	v_bfe_u32 v2, v14, 20, 1
	v_add_co_u32_e64 v2, s[18:19], v14, v2
	v_add_co_u32_e64 v15, s[18:19], -1, v2
; %bb.6060:                             ;   in Loop: Header=BB6_5851 Depth=2
	s_or_b64 exec, exec, s[92:93]
	v_add_u32_e32 v2, 0xffffff81, v33
	v_mov_b32_e32 v16, 0xffffff82
	v_cndmask_b32_e32 v2, v2, v16, vcc
	v_lshrrev_b32_e32 v16, 23, v14
	v_add3_u32 v34, v34, v2, v16
	v_add_u32_e32 v33, 6, v34
	v_and_b32_e32 v2, 0xfffff, v15
	v_add_u32_e32 v2, v2, v14
	v_cmp_ne_u32_e32 vcc, 0, v33
                                        ; implicit-def: $vgpr14_vgpr15
                                        ; implicit-def: $vgpr16
	s_and_saveexec_b64 s[18:19], vcc
	s_xor_b64 s[18:19], exec, s[18:19]
; %bb.6061:                             ;   in Loop: Header=BB6_5851 Depth=2
	v_cmp_lt_u64_e32 vcc, s[58:59], v[2:3]
	v_add_u32_e32 v14, 7, v34
	v_cndmask_b32_e32 v16, v33, v14, vcc
	v_cndmask_b32_e64 v14, 0, 1, vcc
	v_lshrrev_b64 v[14:15], v14, v[2:3]
; %bb.6062:                             ;   in Loop: Header=BB6_5851 Depth=2
	s_andn2_saveexec_b64 s[18:19], s[18:19]
; %bb.6063:                             ;   in Loop: Header=BB6_5851 Depth=2
	v_mov_b32_e32 v15, v3
	v_bfe_u32 v16, v2, 23, 1
	v_mov_b32_e32 v14, v2
; %bb.6064:                             ;   in Loop: Header=BB6_5851 Depth=2
	s_or_b64 exec, exec, s[18:19]
	v_lshrrev_b64 v[14:15], 20, v[14:15]
	v_cmp_gt_i32_e32 vcc, 16, v16
	v_cndmask_b32_e32 v15, 0, v15, vcc
	v_cndmask_b32_e32 v14, 7, v14, vcc
	v_cmp_ne_u64_e32 vcc, 0, v[14:15]
	v_cmp_ne_u32_e64 s[18:19], 0, v16
	s_or_b64 s[18:19], s[18:19], vcc
                                        ; implicit-def: $vgpr38
	s_and_saveexec_b64 s[92:93], s[18:19]
	s_xor_b64 s[18:19], exec, s[92:93]
; %bb.6065:                             ;   in Loop: Header=BB6_5851 Depth=2
	v_min_i32_e32 v2, 15, v16
	v_lshl_or_b32 v2, v2, 3, v31
	v_and_or_b32 v38, v14, 7, v2
                                        ; implicit-def: $vgpr31
; %bb.6066:                             ;   in Loop: Header=BB6_5851 Depth=2
	s_andn2_saveexec_b64 s[18:19], s[18:19]
; %bb.6067:                             ;   in Loop: Header=BB6_5851 Depth=2
	v_mov_b32_e32 v38, v31
; %bb.6068:                             ;   in Loop: Header=BB6_5851 Depth=2
	s_or_b64 exec, exec, s[18:19]
.LBB6_6069:                             ;   in Loop: Header=BB6_5851 Depth=2
	s_or_b64 exec, exec, s[90:91]
                                        ; implicit-def: $vgpr31
.LBB6_6070:                             ;   in Loop: Header=BB6_5851 Depth=2
	s_andn2_saveexec_b64 s[18:19], s[88:89]
; %bb.6071:                             ;   in Loop: Header=BB6_5851 Depth=2
	v_or_b32_e32 v38, 0x7e, v31
; %bb.6072:                             ;   in Loop: Header=BB6_5851 Depth=2
	s_or_b64 exec, exec, s[18:19]
                                        ; implicit-def: $vgpr14
.LBB6_6073:                             ;   in Loop: Header=BB6_5851 Depth=2
	s_andn2_saveexec_b64 s[18:19], s[78:79]
; %bb.6074:                             ;   in Loop: Header=BB6_5851 Depth=2
	v_or_b32_sdwa v38, v14, s50 dst_sel:DWORD dst_unused:UNUSED_PAD src0_sel:BYTE_3 src1_sel:DWORD
; %bb.6075:                             ;   in Loop: Header=BB6_5851 Depth=2
	s_or_b64 exec, exec, s[18:19]
	v_and_b32_e32 v2, 0xff, v30
	v_cmp_ne_u16_e32 vcc, 0, v2
	v_mov_b32_e32 v14, 0
	v_mov_b32_e32 v15, 0
	s_and_saveexec_b64 s[18:19], vcc
	s_cbranch_execz .LBB6_6081
; %bb.6076:                             ;   in Loop: Header=BB6_5851 Depth=2
	v_cmp_ne_u16_e32 vcc, s49, v2
	v_bfrev_b32_e32 v15, 1
	s_and_saveexec_b64 s[78:79], vcc
	s_cbranch_execz .LBB6_6080
; %bb.6077:                             ;   in Loop: Header=BB6_5851 Depth=2
	v_and_b32_e32 v16, 0x7f, v30
	v_cmp_ne_u32_e32 vcc, s50, v16
	v_mov_b32_e32 v15, 0x7f800001
	s_and_saveexec_b64 s[88:89], vcc
	s_cbranch_execz .LBB6_6079
; %bb.6078:                             ;   in Loop: Header=BB6_5851 Depth=2
	v_and_b32_e32 v31, 7, v2
	v_ffbh_u32_e32 v15, v31
	v_min_u32_e32 v34, 32, v15
	v_subrev_u32_e32 v15, 28, v34
	v_lshrrev_b32_e32 v33, 3, v16
	v_cmp_gt_u32_e32 vcc, 8, v16
	v_lshlrev_b64 v[15:16], v15, v[2:3]
	v_sub_u32_e32 v2, 29, v34
	v_and_b32_e32 v15, 7, v15
	v_cndmask_b32_e32 v2, v33, v2, vcc
	v_cndmask_b32_e32 v15, v31, v15, vcc
	v_lshlrev_b32_e32 v16, 24, v30
	v_lshlrev_b32_e32 v15, 20, v15
	v_and_b32_e32 v16, 0x80000000, v16
	v_lshl_add_u32 v2, v2, 23, v57
	v_or3_b32 v15, v16, v2, v15
.LBB6_6079:                             ;   in Loop: Header=BB6_5851 Depth=2
	s_or_b64 exec, exec, s[88:89]
.LBB6_6080:                             ;   in Loop: Header=BB6_5851 Depth=2
	s_or_b64 exec, exec, s[78:79]
.LBB6_6081:                             ;   in Loop: Header=BB6_5851 Depth=2
	s_or_b64 exec, exec, s[18:19]
	v_and_b32_e32 v2, 0xff, v49
	v_cmp_ne_u16_e32 vcc, 0, v2
	s_and_saveexec_b64 s[18:19], vcc
	s_cbranch_execz .LBB6_6087
; %bb.6082:                             ;   in Loop: Header=BB6_5851 Depth=2
	v_cmp_ne_u16_e32 vcc, s49, v2
	v_bfrev_b32_e32 v14, 1
	s_and_saveexec_b64 s[78:79], vcc
	s_cbranch_execz .LBB6_6086
; %bb.6083:                             ;   in Loop: Header=BB6_5851 Depth=2
	v_and_b32_e32 v16, 0x7f, v49
	v_cmp_ne_u32_e32 vcc, s50, v16
	v_mov_b32_e32 v14, 0x7f800001
	s_and_saveexec_b64 s[88:89], vcc
	s_cbranch_execz .LBB6_6085
; %bb.6084:                             ;   in Loop: Header=BB6_5851 Depth=2
	v_and_b32_e32 v14, 7, v2
	v_lshrrev_b32_e32 v33, 3, v16
	v_cmp_gt_u32_e32 vcc, 8, v16
	v_ffbh_u32_e32 v16, v14
	v_min_u32_e32 v16, 32, v16
	v_subrev_u32_e32 v30, 28, v16
	v_lshlrev_b64 v[30:31], v30, v[2:3]
	v_sub_u32_e32 v2, 29, v16
	v_and_b32_e32 v16, 7, v30
	v_cndmask_b32_e32 v2, v33, v2, vcc
	v_cndmask_b32_e32 v14, v14, v16, vcc
	v_lshlrev_b32_e32 v16, 24, v49
	v_lshlrev_b32_e32 v14, 20, v14
	v_and_b32_e32 v16, 0x80000000, v16
	v_lshl_add_u32 v2, v2, 23, v57
	v_or3_b32 v14, v16, v2, v14
.LBB6_6085:                             ;   in Loop: Header=BB6_5851 Depth=2
	s_or_b64 exec, exec, s[88:89]
.LBB6_6086:                             ;   in Loop: Header=BB6_5851 Depth=2
	s_or_b64 exec, exec, s[78:79]
.LBB6_6087:                             ;   in Loop: Header=BB6_5851 Depth=2
	s_or_b64 exec, exec, s[18:19]
	v_add_f32_e32 v14, v15, v14
	v_and_b32_e32 v2, 0x7f800000, v14
	v_cmp_ne_u64_e32 vcc, s[46:47], v[2:3]
                                        ; implicit-def: $vgpr49
	s_and_saveexec_b64 s[18:19], vcc
	s_xor_b64 s[78:79], exec, s[18:19]
	s_cbranch_execz .LBB6_6105
; %bb.6088:                             ;   in Loop: Header=BB6_5851 Depth=2
	v_and_b32_e32 v2, 0x7fffffff, v14
	v_cmp_gt_u64_e32 vcc, s[56:57], v[2:3]
	v_and_b32_sdwa v30, v14, s49 dst_sel:DWORD dst_unused:UNUSED_PAD src0_sel:BYTE_3 src1_sel:DWORD
                                        ; implicit-def: $vgpr49
	s_and_saveexec_b64 s[18:19], vcc
	s_xor_b64 s[88:89], exec, s[18:19]
	s_cbranch_execz .LBB6_6102
; %bb.6089:                             ;   in Loop: Header=BB6_5851 Depth=2
	v_cmp_ne_u32_e32 vcc, 0, v14
	v_mov_b32_e32 v49, 0
	s_and_saveexec_b64 s[90:91], vcc
	s_cbranch_execz .LBB6_6101
; %bb.6090:                             ;   in Loop: Header=BB6_5851 Depth=2
	v_bfe_u32 v31, v14, 23, 8
	v_and_b32_e32 v2, 0x7fffff, v14
	v_cmp_gt_u32_e64 s[18:19], s51, v31
	v_sub_u32_e32 v14, 0x79, v31
	v_cmp_eq_u32_e32 vcc, 0, v31
	v_cndmask_b32_e64 v14, 0, v14, s[18:19]
	v_mov_b32_e32 v16, 0x78
	v_cndmask_b32_e32 v33, v14, v16, vcc
	v_or_b32_e32 v15, 0x800000, v2
	v_add_u32_e32 v14, 20, v33
	v_cndmask_b32_e32 v2, v15, v2, vcc
	v_lshlrev_b64 v[14:15], v14, -1
	v_add_u32_e32 v16, 19, v33
	v_lshlrev_b64 v[36:37], v16, 1
	v_bfi_b32 v15, v15, 0, 0
	v_bfi_b32 v14, v14, 0, v2
	v_cmp_eq_u64_e64 s[18:19], v[14:15], v[36:37]
	v_lshrrev_b64 v[14:15], v33, v[2:3]
	v_mov_b32_e32 v16, v15
	v_mov_b32_e32 v15, v14
	s_and_saveexec_b64 s[92:93], s[18:19]
; %bb.6091:                             ;   in Loop: Header=BB6_5851 Depth=2
	v_bfe_u32 v2, v14, 20, 1
	v_add_co_u32_e64 v2, s[18:19], v14, v2
	v_add_co_u32_e64 v15, s[18:19], -1, v2
; %bb.6092:                             ;   in Loop: Header=BB6_5851 Depth=2
	s_or_b64 exec, exec, s[92:93]
	v_add_u32_e32 v2, 0xffffff81, v31
	v_mov_b32_e32 v16, 0xffffff82
	v_cndmask_b32_e32 v2, v2, v16, vcc
	v_lshrrev_b32_e32 v16, 23, v14
	v_add3_u32 v33, v33, v2, v16
	v_add_u32_e32 v31, 6, v33
	v_and_b32_e32 v2, 0xfffff, v15
	v_add_u32_e32 v2, v2, v14
	v_cmp_ne_u32_e32 vcc, 0, v31
                                        ; implicit-def: $vgpr14_vgpr15
                                        ; implicit-def: $vgpr16
	s_and_saveexec_b64 s[18:19], vcc
	s_xor_b64 s[18:19], exec, s[18:19]
; %bb.6093:                             ;   in Loop: Header=BB6_5851 Depth=2
	v_cmp_lt_u64_e32 vcc, s[58:59], v[2:3]
	v_add_u32_e32 v14, 7, v33
	v_cndmask_b32_e32 v16, v31, v14, vcc
	v_cndmask_b32_e64 v14, 0, 1, vcc
	v_lshrrev_b64 v[14:15], v14, v[2:3]
; %bb.6094:                             ;   in Loop: Header=BB6_5851 Depth=2
	s_andn2_saveexec_b64 s[18:19], s[18:19]
; %bb.6095:                             ;   in Loop: Header=BB6_5851 Depth=2
	v_mov_b32_e32 v15, v3
	v_bfe_u32 v16, v2, 23, 1
	v_mov_b32_e32 v14, v2
; %bb.6096:                             ;   in Loop: Header=BB6_5851 Depth=2
	s_or_b64 exec, exec, s[18:19]
	v_lshrrev_b64 v[14:15], 20, v[14:15]
	v_cmp_gt_i32_e32 vcc, 16, v16
	v_cndmask_b32_e32 v15, 0, v15, vcc
	v_cndmask_b32_e32 v14, 7, v14, vcc
	v_cmp_ne_u64_e32 vcc, 0, v[14:15]
	v_cmp_ne_u32_e64 s[18:19], 0, v16
	s_or_b64 s[18:19], s[18:19], vcc
                                        ; implicit-def: $vgpr49
	s_and_saveexec_b64 s[92:93], s[18:19]
	s_xor_b64 s[18:19], exec, s[92:93]
; %bb.6097:                             ;   in Loop: Header=BB6_5851 Depth=2
	v_min_i32_e32 v2, 15, v16
	v_lshl_or_b32 v2, v2, 3, v30
	v_and_or_b32 v49, v14, 7, v2
                                        ; implicit-def: $vgpr30
; %bb.6098:                             ;   in Loop: Header=BB6_5851 Depth=2
	s_andn2_saveexec_b64 s[18:19], s[18:19]
; %bb.6099:                             ;   in Loop: Header=BB6_5851 Depth=2
	v_mov_b32_e32 v49, v30
; %bb.6100:                             ;   in Loop: Header=BB6_5851 Depth=2
	s_or_b64 exec, exec, s[18:19]
.LBB6_6101:                             ;   in Loop: Header=BB6_5851 Depth=2
	s_or_b64 exec, exec, s[90:91]
                                        ; implicit-def: $vgpr30
.LBB6_6102:                             ;   in Loop: Header=BB6_5851 Depth=2
	s_andn2_saveexec_b64 s[18:19], s[88:89]
; %bb.6103:                             ;   in Loop: Header=BB6_5851 Depth=2
	v_or_b32_e32 v49, 0x7e, v30
; %bb.6104:                             ;   in Loop: Header=BB6_5851 Depth=2
	s_or_b64 exec, exec, s[18:19]
                                        ; implicit-def: $vgpr14
.LBB6_6105:                             ;   in Loop: Header=BB6_5851 Depth=2
	s_andn2_saveexec_b64 s[18:19], s[78:79]
; %bb.6106:                             ;   in Loop: Header=BB6_5851 Depth=2
	v_or_b32_sdwa v49, v14, s50 dst_sel:DWORD dst_unused:UNUSED_PAD src0_sel:BYTE_3 src1_sel:DWORD
; %bb.6107:                             ;   in Loop: Header=BB6_5851 Depth=2
	s_or_b64 exec, exec, s[18:19]
	v_and_b32_e32 v2, 0xff, v35
	v_cmp_ne_u16_e32 vcc, 0, v2
	v_mov_b32_e32 v14, 0
	v_mov_b32_e32 v15, 0
	s_and_saveexec_b64 s[18:19], vcc
	s_cbranch_execz .LBB6_6113
; %bb.6108:                             ;   in Loop: Header=BB6_5851 Depth=2
	v_cmp_ne_u16_e32 vcc, s49, v2
	v_bfrev_b32_e32 v15, 1
	s_and_saveexec_b64 s[78:79], vcc
	s_cbranch_execz .LBB6_6112
; %bb.6109:                             ;   in Loop: Header=BB6_5851 Depth=2
	v_and_b32_e32 v16, 0x7f, v35
	v_cmp_ne_u32_e32 vcc, s50, v16
	v_mov_b32_e32 v15, 0x7f800001
	s_and_saveexec_b64 s[88:89], vcc
	s_cbranch_execz .LBB6_6111
; %bb.6110:                             ;   in Loop: Header=BB6_5851 Depth=2
	v_and_b32_e32 v30, 7, v2
	v_ffbh_u32_e32 v15, v30
	v_min_u32_e32 v33, 32, v15
	v_subrev_u32_e32 v15, 28, v33
	v_lshrrev_b32_e32 v31, 3, v16
	v_cmp_gt_u32_e32 vcc, 8, v16
	v_lshlrev_b64 v[15:16], v15, v[2:3]
	v_sub_u32_e32 v2, 29, v33
	v_and_b32_e32 v15, 7, v15
	v_cndmask_b32_e32 v2, v31, v2, vcc
	v_cndmask_b32_e32 v15, v30, v15, vcc
	v_lshlrev_b32_e32 v16, 24, v35
	v_lshlrev_b32_e32 v15, 20, v15
	v_and_b32_e32 v16, 0x80000000, v16
	v_lshl_add_u32 v2, v2, 23, v57
	v_or3_b32 v15, v16, v2, v15
.LBB6_6111:                             ;   in Loop: Header=BB6_5851 Depth=2
	s_or_b64 exec, exec, s[88:89]
.LBB6_6112:                             ;   in Loop: Header=BB6_5851 Depth=2
	s_or_b64 exec, exec, s[78:79]
.LBB6_6113:                             ;   in Loop: Header=BB6_5851 Depth=2
	s_or_b64 exec, exec, s[18:19]
	v_and_b32_e32 v2, 0xff, v52
	v_cmp_ne_u16_e32 vcc, 0, v2
	s_and_saveexec_b64 s[18:19], vcc
	s_cbranch_execz .LBB6_6119
; %bb.6114:                             ;   in Loop: Header=BB6_5851 Depth=2
	v_cmp_ne_u16_e32 vcc, s49, v2
	v_bfrev_b32_e32 v14, 1
	s_and_saveexec_b64 s[78:79], vcc
	s_cbranch_execz .LBB6_6118
; %bb.6115:                             ;   in Loop: Header=BB6_5851 Depth=2
	v_and_b32_e32 v16, 0x7f, v52
	v_cmp_ne_u32_e32 vcc, s50, v16
	v_mov_b32_e32 v14, 0x7f800001
	s_and_saveexec_b64 s[88:89], vcc
	s_cbranch_execz .LBB6_6117
; %bb.6116:                             ;   in Loop: Header=BB6_5851 Depth=2
	v_and_b32_e32 v14, 7, v2
	v_lshrrev_b32_e32 v33, 3, v16
	v_cmp_gt_u32_e32 vcc, 8, v16
	v_ffbh_u32_e32 v16, v14
	v_min_u32_e32 v16, 32, v16
	v_subrev_u32_e32 v30, 28, v16
	v_lshlrev_b64 v[30:31], v30, v[2:3]
	v_sub_u32_e32 v2, 29, v16
	v_and_b32_e32 v16, 7, v30
	v_cndmask_b32_e32 v2, v33, v2, vcc
	v_cndmask_b32_e32 v14, v14, v16, vcc
	v_lshlrev_b32_e32 v16, 24, v52
	v_lshlrev_b32_e32 v14, 20, v14
	v_and_b32_e32 v16, 0x80000000, v16
	v_lshl_add_u32 v2, v2, 23, v57
	v_or3_b32 v14, v16, v2, v14
.LBB6_6117:                             ;   in Loop: Header=BB6_5851 Depth=2
	s_or_b64 exec, exec, s[88:89]
.LBB6_6118:                             ;   in Loop: Header=BB6_5851 Depth=2
	s_or_b64 exec, exec, s[78:79]
.LBB6_6119:                             ;   in Loop: Header=BB6_5851 Depth=2
	s_or_b64 exec, exec, s[18:19]
	v_add_f32_e32 v14, v15, v14
	v_and_b32_e32 v2, 0x7f800000, v14
	v_cmp_ne_u64_e32 vcc, s[46:47], v[2:3]
                                        ; implicit-def: $vgpr52
	s_and_saveexec_b64 s[18:19], vcc
	s_xor_b64 s[78:79], exec, s[18:19]
	s_cbranch_execz .LBB6_6137
; %bb.6120:                             ;   in Loop: Header=BB6_5851 Depth=2
	v_and_b32_e32 v2, 0x7fffffff, v14
	v_cmp_gt_u64_e32 vcc, s[56:57], v[2:3]
	v_and_b32_sdwa v30, v14, s49 dst_sel:DWORD dst_unused:UNUSED_PAD src0_sel:BYTE_3 src1_sel:DWORD
                                        ; implicit-def: $vgpr52
	s_and_saveexec_b64 s[18:19], vcc
	s_xor_b64 s[88:89], exec, s[18:19]
	s_cbranch_execz .LBB6_6134
; %bb.6121:                             ;   in Loop: Header=BB6_5851 Depth=2
	v_cmp_ne_u32_e32 vcc, 0, v14
	v_mov_b32_e32 v52, 0
	s_and_saveexec_b64 s[90:91], vcc
	s_cbranch_execz .LBB6_6133
; %bb.6122:                             ;   in Loop: Header=BB6_5851 Depth=2
	v_bfe_u32 v31, v14, 23, 8
	v_and_b32_e32 v2, 0x7fffff, v14
	v_cmp_gt_u32_e64 s[18:19], s51, v31
	v_sub_u32_e32 v14, 0x79, v31
	v_cmp_eq_u32_e32 vcc, 0, v31
	v_cndmask_b32_e64 v14, 0, v14, s[18:19]
	v_mov_b32_e32 v16, 0x78
	v_cndmask_b32_e32 v33, v14, v16, vcc
	v_or_b32_e32 v15, 0x800000, v2
	v_add_u32_e32 v14, 20, v33
	v_cndmask_b32_e32 v2, v15, v2, vcc
	v_lshlrev_b64 v[14:15], v14, -1
	v_add_u32_e32 v16, 19, v33
	v_lshlrev_b64 v[34:35], v16, 1
	v_bfi_b32 v15, v15, 0, 0
	v_bfi_b32 v14, v14, 0, v2
	v_cmp_eq_u64_e64 s[18:19], v[14:15], v[34:35]
	v_lshrrev_b64 v[14:15], v33, v[2:3]
	v_mov_b32_e32 v16, v15
	v_mov_b32_e32 v15, v14
	s_and_saveexec_b64 s[92:93], s[18:19]
; %bb.6123:                             ;   in Loop: Header=BB6_5851 Depth=2
	v_bfe_u32 v2, v14, 20, 1
	v_add_co_u32_e64 v2, s[18:19], v14, v2
	v_add_co_u32_e64 v15, s[18:19], -1, v2
; %bb.6124:                             ;   in Loop: Header=BB6_5851 Depth=2
	s_or_b64 exec, exec, s[92:93]
	v_add_u32_e32 v2, 0xffffff81, v31
	v_mov_b32_e32 v16, 0xffffff82
	v_cndmask_b32_e32 v2, v2, v16, vcc
	v_lshrrev_b32_e32 v16, 23, v14
	v_add3_u32 v33, v33, v2, v16
	v_add_u32_e32 v31, 6, v33
	v_and_b32_e32 v2, 0xfffff, v15
	v_add_u32_e32 v2, v2, v14
	v_cmp_ne_u32_e32 vcc, 0, v31
                                        ; implicit-def: $vgpr14_vgpr15
                                        ; implicit-def: $vgpr16
	s_and_saveexec_b64 s[18:19], vcc
	s_xor_b64 s[18:19], exec, s[18:19]
; %bb.6125:                             ;   in Loop: Header=BB6_5851 Depth=2
	v_cmp_lt_u64_e32 vcc, s[58:59], v[2:3]
	v_add_u32_e32 v14, 7, v33
	v_cndmask_b32_e32 v16, v31, v14, vcc
	v_cndmask_b32_e64 v14, 0, 1, vcc
	v_lshrrev_b64 v[14:15], v14, v[2:3]
; %bb.6126:                             ;   in Loop: Header=BB6_5851 Depth=2
	s_andn2_saveexec_b64 s[18:19], s[18:19]
; %bb.6127:                             ;   in Loop: Header=BB6_5851 Depth=2
	v_mov_b32_e32 v15, v3
	v_bfe_u32 v16, v2, 23, 1
	v_mov_b32_e32 v14, v2
; %bb.6128:                             ;   in Loop: Header=BB6_5851 Depth=2
	s_or_b64 exec, exec, s[18:19]
	v_lshrrev_b64 v[14:15], 20, v[14:15]
	v_cmp_gt_i32_e32 vcc, 16, v16
	v_cndmask_b32_e32 v15, 0, v15, vcc
	v_cndmask_b32_e32 v14, 7, v14, vcc
	v_cmp_ne_u64_e32 vcc, 0, v[14:15]
	v_cmp_ne_u32_e64 s[18:19], 0, v16
	s_or_b64 s[18:19], s[18:19], vcc
                                        ; implicit-def: $vgpr52
	s_and_saveexec_b64 s[92:93], s[18:19]
	s_xor_b64 s[18:19], exec, s[92:93]
; %bb.6129:                             ;   in Loop: Header=BB6_5851 Depth=2
	v_min_i32_e32 v2, 15, v16
	v_lshl_or_b32 v2, v2, 3, v30
	v_and_or_b32 v52, v14, 7, v2
                                        ; implicit-def: $vgpr30
; %bb.6130:                             ;   in Loop: Header=BB6_5851 Depth=2
	s_andn2_saveexec_b64 s[18:19], s[18:19]
; %bb.6131:                             ;   in Loop: Header=BB6_5851 Depth=2
	v_mov_b32_e32 v52, v30
; %bb.6132:                             ;   in Loop: Header=BB6_5851 Depth=2
	s_or_b64 exec, exec, s[18:19]
.LBB6_6133:                             ;   in Loop: Header=BB6_5851 Depth=2
	s_or_b64 exec, exec, s[90:91]
                                        ; implicit-def: $vgpr30
.LBB6_6134:                             ;   in Loop: Header=BB6_5851 Depth=2
	s_andn2_saveexec_b64 s[18:19], s[88:89]
; %bb.6135:                             ;   in Loop: Header=BB6_5851 Depth=2
	v_or_b32_e32 v52, 0x7e, v30
; %bb.6136:                             ;   in Loop: Header=BB6_5851 Depth=2
	s_or_b64 exec, exec, s[18:19]
                                        ; implicit-def: $vgpr14
.LBB6_6137:                             ;   in Loop: Header=BB6_5851 Depth=2
	s_andn2_saveexec_b64 s[18:19], s[78:79]
; %bb.6138:                             ;   in Loop: Header=BB6_5851 Depth=2
	v_or_b32_sdwa v52, v14, s50 dst_sel:DWORD dst_unused:UNUSED_PAD src0_sel:BYTE_3 src1_sel:DWORD
; %bb.6139:                             ;   in Loop: Header=BB6_5851 Depth=2
	s_or_b64 exec, exec, s[18:19]
	v_and_b32_e32 v2, 0xff, v28
	v_cmp_ne_u16_e32 vcc, 0, v2
	v_mov_b32_e32 v14, 0
	v_mov_b32_e32 v15, 0
	s_and_saveexec_b64 s[18:19], vcc
	s_cbranch_execz .LBB6_6145
; %bb.6140:                             ;   in Loop: Header=BB6_5851 Depth=2
	v_cmp_ne_u16_e32 vcc, s49, v2
	v_bfrev_b32_e32 v15, 1
	s_and_saveexec_b64 s[78:79], vcc
	s_cbranch_execz .LBB6_6144
; %bb.6141:                             ;   in Loop: Header=BB6_5851 Depth=2
	v_and_b32_e32 v16, 0x7f, v28
	v_cmp_ne_u32_e32 vcc, s50, v16
	v_mov_b32_e32 v15, 0x7f800001
	s_and_saveexec_b64 s[88:89], vcc
	s_cbranch_execz .LBB6_6143
; %bb.6142:                             ;   in Loop: Header=BB6_5851 Depth=2
	v_and_b32_e32 v30, 7, v2
	v_ffbh_u32_e32 v15, v30
	v_min_u32_e32 v33, 32, v15
	v_subrev_u32_e32 v15, 28, v33
	v_lshrrev_b32_e32 v31, 3, v16
	v_cmp_gt_u32_e32 vcc, 8, v16
	v_lshlrev_b64 v[15:16], v15, v[2:3]
	v_sub_u32_e32 v2, 29, v33
	v_and_b32_e32 v15, 7, v15
	v_cndmask_b32_e32 v2, v31, v2, vcc
	v_cndmask_b32_e32 v15, v30, v15, vcc
	v_lshlrev_b32_e32 v16, 24, v28
	v_lshlrev_b32_e32 v15, 20, v15
	v_and_b32_e32 v16, 0x80000000, v16
	v_lshl_add_u32 v2, v2, 23, v57
	v_or3_b32 v15, v16, v2, v15
.LBB6_6143:                             ;   in Loop: Header=BB6_5851 Depth=2
	s_or_b64 exec, exec, s[88:89]
.LBB6_6144:                             ;   in Loop: Header=BB6_5851 Depth=2
	s_or_b64 exec, exec, s[78:79]
.LBB6_6145:                             ;   in Loop: Header=BB6_5851 Depth=2
	s_or_b64 exec, exec, s[18:19]
	v_and_b32_e32 v2, 0xff, v43
	v_cmp_ne_u16_e32 vcc, 0, v2
	s_and_saveexec_b64 s[18:19], vcc
	s_cbranch_execz .LBB6_6151
; %bb.6146:                             ;   in Loop: Header=BB6_5851 Depth=2
	v_cmp_ne_u16_e32 vcc, s49, v2
	v_bfrev_b32_e32 v14, 1
	s_and_saveexec_b64 s[78:79], vcc
	s_cbranch_execz .LBB6_6150
; %bb.6147:                             ;   in Loop: Header=BB6_5851 Depth=2
	v_and_b32_e32 v16, 0x7f, v43
	v_cmp_ne_u32_e32 vcc, s50, v16
	v_mov_b32_e32 v14, 0x7f800001
	s_and_saveexec_b64 s[88:89], vcc
	s_cbranch_execz .LBB6_6149
; %bb.6148:                             ;   in Loop: Header=BB6_5851 Depth=2
	v_and_b32_e32 v14, 7, v2
	v_lshrrev_b32_e32 v28, 3, v16
	v_cmp_gt_u32_e32 vcc, 8, v16
	v_ffbh_u32_e32 v16, v14
	v_min_u32_e32 v16, 32, v16
	v_subrev_u32_e32 v30, 28, v16
	v_lshlrev_b64 v[30:31], v30, v[2:3]
	v_sub_u32_e32 v2, 29, v16
	v_and_b32_e32 v16, 7, v30
	v_cndmask_b32_e32 v2, v28, v2, vcc
	v_cndmask_b32_e32 v14, v14, v16, vcc
	v_lshlrev_b32_e32 v16, 24, v43
	v_lshlrev_b32_e32 v14, 20, v14
	v_and_b32_e32 v16, 0x80000000, v16
	v_lshl_add_u32 v2, v2, 23, v57
	v_or3_b32 v14, v16, v2, v14
.LBB6_6149:                             ;   in Loop: Header=BB6_5851 Depth=2
	s_or_b64 exec, exec, s[88:89]
.LBB6_6150:                             ;   in Loop: Header=BB6_5851 Depth=2
	s_or_b64 exec, exec, s[78:79]
.LBB6_6151:                             ;   in Loop: Header=BB6_5851 Depth=2
	s_or_b64 exec, exec, s[18:19]
	v_add_f32_e32 v14, v15, v14
	v_and_b32_e32 v2, 0x7f800000, v14
	v_cmp_ne_u64_e32 vcc, s[46:47], v[2:3]
                                        ; implicit-def: $vgpr43
	s_and_saveexec_b64 s[18:19], vcc
	s_xor_b64 s[78:79], exec, s[18:19]
	s_cbranch_execz .LBB6_6169
; %bb.6152:                             ;   in Loop: Header=BB6_5851 Depth=2
	v_and_b32_e32 v2, 0x7fffffff, v14
	v_cmp_gt_u64_e32 vcc, s[56:57], v[2:3]
	v_and_b32_sdwa v28, v14, s49 dst_sel:DWORD dst_unused:UNUSED_PAD src0_sel:BYTE_3 src1_sel:DWORD
                                        ; implicit-def: $vgpr43
	s_and_saveexec_b64 s[18:19], vcc
	s_xor_b64 s[88:89], exec, s[18:19]
	s_cbranch_execz .LBB6_6166
; %bb.6153:                             ;   in Loop: Header=BB6_5851 Depth=2
	v_cmp_ne_u32_e32 vcc, 0, v14
	v_mov_b32_e32 v43, 0
	s_and_saveexec_b64 s[90:91], vcc
	s_cbranch_execz .LBB6_6165
; %bb.6154:                             ;   in Loop: Header=BB6_5851 Depth=2
	v_bfe_u32 v30, v14, 23, 8
	v_and_b32_e32 v2, 0x7fffff, v14
	v_cmp_gt_u32_e64 s[18:19], s51, v30
	v_sub_u32_e32 v14, 0x79, v30
	v_cmp_eq_u32_e32 vcc, 0, v30
	v_cndmask_b32_e64 v14, 0, v14, s[18:19]
	v_mov_b32_e32 v16, 0x78
	v_cndmask_b32_e32 v31, v14, v16, vcc
	v_or_b32_e32 v15, 0x800000, v2
	v_add_u32_e32 v14, 20, v31
	v_cndmask_b32_e32 v2, v15, v2, vcc
	v_lshlrev_b64 v[14:15], v14, -1
	v_add_u32_e32 v16, 19, v31
	v_lshlrev_b64 v[33:34], v16, 1
	v_bfi_b32 v15, v15, 0, 0
	v_bfi_b32 v14, v14, 0, v2
	v_cmp_eq_u64_e64 s[18:19], v[14:15], v[33:34]
	v_lshrrev_b64 v[14:15], v31, v[2:3]
	v_mov_b32_e32 v16, v15
	v_mov_b32_e32 v15, v14
	s_and_saveexec_b64 s[92:93], s[18:19]
; %bb.6155:                             ;   in Loop: Header=BB6_5851 Depth=2
	v_bfe_u32 v2, v14, 20, 1
	v_add_co_u32_e64 v2, s[18:19], v14, v2
	v_add_co_u32_e64 v15, s[18:19], -1, v2
; %bb.6156:                             ;   in Loop: Header=BB6_5851 Depth=2
	s_or_b64 exec, exec, s[92:93]
	v_add_u32_e32 v2, 0xffffff81, v30
	v_mov_b32_e32 v16, 0xffffff82
	v_cndmask_b32_e32 v2, v2, v16, vcc
	v_lshrrev_b32_e32 v16, 23, v14
	v_add3_u32 v31, v31, v2, v16
	v_add_u32_e32 v30, 6, v31
	v_and_b32_e32 v2, 0xfffff, v15
	v_add_u32_e32 v2, v2, v14
	v_cmp_ne_u32_e32 vcc, 0, v30
                                        ; implicit-def: $vgpr14_vgpr15
                                        ; implicit-def: $vgpr16
	s_and_saveexec_b64 s[18:19], vcc
	s_xor_b64 s[18:19], exec, s[18:19]
; %bb.6157:                             ;   in Loop: Header=BB6_5851 Depth=2
	v_cmp_lt_u64_e32 vcc, s[58:59], v[2:3]
	v_add_u32_e32 v14, 7, v31
	v_cndmask_b32_e32 v16, v30, v14, vcc
	v_cndmask_b32_e64 v14, 0, 1, vcc
	v_lshrrev_b64 v[14:15], v14, v[2:3]
; %bb.6158:                             ;   in Loop: Header=BB6_5851 Depth=2
	s_andn2_saveexec_b64 s[18:19], s[18:19]
; %bb.6159:                             ;   in Loop: Header=BB6_5851 Depth=2
	v_mov_b32_e32 v15, v3
	v_bfe_u32 v16, v2, 23, 1
	v_mov_b32_e32 v14, v2
; %bb.6160:                             ;   in Loop: Header=BB6_5851 Depth=2
	s_or_b64 exec, exec, s[18:19]
	v_lshrrev_b64 v[14:15], 20, v[14:15]
	v_cmp_gt_i32_e32 vcc, 16, v16
	v_cndmask_b32_e32 v15, 0, v15, vcc
	v_cndmask_b32_e32 v14, 7, v14, vcc
	v_cmp_ne_u64_e32 vcc, 0, v[14:15]
	v_cmp_ne_u32_e64 s[18:19], 0, v16
	s_or_b64 s[18:19], s[18:19], vcc
                                        ; implicit-def: $vgpr43
	s_and_saveexec_b64 s[92:93], s[18:19]
	s_xor_b64 s[18:19], exec, s[92:93]
; %bb.6161:                             ;   in Loop: Header=BB6_5851 Depth=2
	v_min_i32_e32 v2, 15, v16
	v_lshl_or_b32 v2, v2, 3, v28
	v_and_or_b32 v43, v14, 7, v2
                                        ; implicit-def: $vgpr28
; %bb.6162:                             ;   in Loop: Header=BB6_5851 Depth=2
	s_andn2_saveexec_b64 s[18:19], s[18:19]
; %bb.6163:                             ;   in Loop: Header=BB6_5851 Depth=2
	v_mov_b32_e32 v43, v28
; %bb.6164:                             ;   in Loop: Header=BB6_5851 Depth=2
	s_or_b64 exec, exec, s[18:19]
.LBB6_6165:                             ;   in Loop: Header=BB6_5851 Depth=2
	s_or_b64 exec, exec, s[90:91]
                                        ; implicit-def: $vgpr28
.LBB6_6166:                             ;   in Loop: Header=BB6_5851 Depth=2
	s_andn2_saveexec_b64 s[18:19], s[88:89]
; %bb.6167:                             ;   in Loop: Header=BB6_5851 Depth=2
	v_or_b32_e32 v43, 0x7e, v28
; %bb.6168:                             ;   in Loop: Header=BB6_5851 Depth=2
	s_or_b64 exec, exec, s[18:19]
                                        ; implicit-def: $vgpr14
.LBB6_6169:                             ;   in Loop: Header=BB6_5851 Depth=2
	s_andn2_saveexec_b64 s[18:19], s[78:79]
; %bb.6170:                             ;   in Loop: Header=BB6_5851 Depth=2
	v_or_b32_sdwa v43, v14, s50 dst_sel:DWORD dst_unused:UNUSED_PAD src0_sel:BYTE_3 src1_sel:DWORD
; %bb.6171:                             ;   in Loop: Header=BB6_5851 Depth=2
	s_or_b64 exec, exec, s[18:19]
	v_and_b32_e32 v2, 0xff, v27
	v_cmp_ne_u16_e32 vcc, 0, v2
	v_mov_b32_e32 v14, 0
	v_mov_b32_e32 v15, 0
	s_and_saveexec_b64 s[18:19], vcc
	s_cbranch_execz .LBB6_6177
; %bb.6172:                             ;   in Loop: Header=BB6_5851 Depth=2
	v_cmp_ne_u16_e32 vcc, s49, v2
	v_bfrev_b32_e32 v15, 1
	s_and_saveexec_b64 s[78:79], vcc
	s_cbranch_execz .LBB6_6176
; %bb.6173:                             ;   in Loop: Header=BB6_5851 Depth=2
	v_and_b32_e32 v16, 0x7f, v27
	v_cmp_ne_u32_e32 vcc, s50, v16
	v_mov_b32_e32 v15, 0x7f800001
	s_and_saveexec_b64 s[88:89], vcc
	s_cbranch_execz .LBB6_6175
; %bb.6174:                             ;   in Loop: Header=BB6_5851 Depth=2
	v_and_b32_e32 v28, 7, v2
	v_ffbh_u32_e32 v15, v28
	v_min_u32_e32 v31, 32, v15
	v_subrev_u32_e32 v15, 28, v31
	v_lshrrev_b32_e32 v30, 3, v16
	v_cmp_gt_u32_e32 vcc, 8, v16
	v_lshlrev_b64 v[15:16], v15, v[2:3]
	v_sub_u32_e32 v2, 29, v31
	v_and_b32_e32 v15, 7, v15
	v_cndmask_b32_e32 v2, v30, v2, vcc
	v_cndmask_b32_e32 v15, v28, v15, vcc
	v_lshlrev_b32_e32 v16, 24, v27
	v_lshlrev_b32_e32 v15, 20, v15
	v_and_b32_e32 v16, 0x80000000, v16
	v_lshl_add_u32 v2, v2, 23, v57
	v_or3_b32 v15, v16, v2, v15
.LBB6_6175:                             ;   in Loop: Header=BB6_5851 Depth=2
	s_or_b64 exec, exec, s[88:89]
.LBB6_6176:                             ;   in Loop: Header=BB6_5851 Depth=2
	s_or_b64 exec, exec, s[78:79]
.LBB6_6177:                             ;   in Loop: Header=BB6_5851 Depth=2
	s_or_b64 exec, exec, s[18:19]
	v_and_b32_e32 v2, 0xff, v60
	v_cmp_ne_u16_e32 vcc, 0, v2
	s_and_saveexec_b64 s[18:19], vcc
	s_cbranch_execz .LBB6_6183
; %bb.6178:                             ;   in Loop: Header=BB6_5851 Depth=2
	v_cmp_ne_u16_e32 vcc, s49, v2
	v_bfrev_b32_e32 v14, 1
	s_and_saveexec_b64 s[78:79], vcc
	s_cbranch_execz .LBB6_6182
; %bb.6179:                             ;   in Loop: Header=BB6_5851 Depth=2
	v_and_b32_e32 v16, 0x7f, v60
	v_cmp_ne_u32_e32 vcc, s50, v16
	v_mov_b32_e32 v14, 0x7f800001
	s_and_saveexec_b64 s[88:89], vcc
	s_cbranch_execz .LBB6_6181
; %bb.6180:                             ;   in Loop: Header=BB6_5851 Depth=2
	v_and_b32_e32 v14, 7, v2
	v_lshrrev_b32_e32 v30, 3, v16
	v_cmp_gt_u32_e32 vcc, 8, v16
	v_ffbh_u32_e32 v16, v14
	v_min_u32_e32 v16, 32, v16
	v_subrev_u32_e32 v27, 28, v16
	v_lshlrev_b64 v[27:28], v27, v[2:3]
	v_sub_u32_e32 v2, 29, v16
	v_and_b32_e32 v16, 7, v27
	v_cndmask_b32_e32 v2, v30, v2, vcc
	v_cndmask_b32_e32 v14, v14, v16, vcc
	v_lshlrev_b32_e32 v16, 24, v60
	v_lshlrev_b32_e32 v14, 20, v14
	v_and_b32_e32 v16, 0x80000000, v16
	v_lshl_add_u32 v2, v2, 23, v57
	v_or3_b32 v14, v16, v2, v14
.LBB6_6181:                             ;   in Loop: Header=BB6_5851 Depth=2
	s_or_b64 exec, exec, s[88:89]
.LBB6_6182:                             ;   in Loop: Header=BB6_5851 Depth=2
	s_or_b64 exec, exec, s[78:79]
.LBB6_6183:                             ;   in Loop: Header=BB6_5851 Depth=2
	s_or_b64 exec, exec, s[18:19]
	v_add_f32_e32 v14, v15, v14
	v_and_b32_e32 v2, 0x7f800000, v14
	v_cmp_ne_u64_e32 vcc, s[46:47], v[2:3]
                                        ; implicit-def: $vgpr60
	s_and_saveexec_b64 s[18:19], vcc
	s_xor_b64 s[78:79], exec, s[18:19]
	s_cbranch_execz .LBB6_6201
; %bb.6184:                             ;   in Loop: Header=BB6_5851 Depth=2
	v_and_b32_e32 v2, 0x7fffffff, v14
	v_cmp_gt_u64_e32 vcc, s[56:57], v[2:3]
	v_and_b32_sdwa v27, v14, s49 dst_sel:DWORD dst_unused:UNUSED_PAD src0_sel:BYTE_3 src1_sel:DWORD
                                        ; implicit-def: $vgpr60
	s_and_saveexec_b64 s[18:19], vcc
	s_xor_b64 s[88:89], exec, s[18:19]
	s_cbranch_execz .LBB6_6198
; %bb.6185:                             ;   in Loop: Header=BB6_5851 Depth=2
	v_cmp_ne_u32_e32 vcc, 0, v14
	v_mov_b32_e32 v60, 0
	s_and_saveexec_b64 s[90:91], vcc
	s_cbranch_execz .LBB6_6197
; %bb.6186:                             ;   in Loop: Header=BB6_5851 Depth=2
	v_bfe_u32 v28, v14, 23, 8
	v_and_b32_e32 v2, 0x7fffff, v14
	v_cmp_gt_u32_e64 s[18:19], s51, v28
	v_sub_u32_e32 v14, 0x79, v28
	v_cmp_eq_u32_e32 vcc, 0, v28
	v_cndmask_b32_e64 v14, 0, v14, s[18:19]
	v_mov_b32_e32 v16, 0x78
	v_cndmask_b32_e32 v30, v14, v16, vcc
	v_or_b32_e32 v15, 0x800000, v2
	v_add_u32_e32 v14, 20, v30
	v_cndmask_b32_e32 v2, v15, v2, vcc
	v_lshlrev_b64 v[14:15], v14, -1
	v_add_u32_e32 v16, 19, v30
	v_lshlrev_b64 v[33:34], v16, 1
	v_bfi_b32 v15, v15, 0, 0
	v_bfi_b32 v14, v14, 0, v2
	v_cmp_eq_u64_e64 s[18:19], v[14:15], v[33:34]
	v_lshrrev_b64 v[14:15], v30, v[2:3]
	v_mov_b32_e32 v16, v15
	v_mov_b32_e32 v15, v14
	s_and_saveexec_b64 s[92:93], s[18:19]
; %bb.6187:                             ;   in Loop: Header=BB6_5851 Depth=2
	v_bfe_u32 v2, v14, 20, 1
	v_add_co_u32_e64 v2, s[18:19], v14, v2
	v_add_co_u32_e64 v15, s[18:19], -1, v2
; %bb.6188:                             ;   in Loop: Header=BB6_5851 Depth=2
	s_or_b64 exec, exec, s[92:93]
	v_add_u32_e32 v2, 0xffffff81, v28
	v_mov_b32_e32 v16, 0xffffff82
	v_cndmask_b32_e32 v2, v2, v16, vcc
	v_lshrrev_b32_e32 v16, 23, v14
	v_add3_u32 v30, v30, v2, v16
	v_add_u32_e32 v28, 6, v30
	v_and_b32_e32 v2, 0xfffff, v15
	v_add_u32_e32 v2, v2, v14
	v_cmp_ne_u32_e32 vcc, 0, v28
                                        ; implicit-def: $vgpr14_vgpr15
                                        ; implicit-def: $vgpr16
	s_and_saveexec_b64 s[18:19], vcc
	s_xor_b64 s[18:19], exec, s[18:19]
; %bb.6189:                             ;   in Loop: Header=BB6_5851 Depth=2
	v_cmp_lt_u64_e32 vcc, s[58:59], v[2:3]
	v_add_u32_e32 v14, 7, v30
	v_cndmask_b32_e32 v16, v28, v14, vcc
	v_cndmask_b32_e64 v14, 0, 1, vcc
	v_lshrrev_b64 v[14:15], v14, v[2:3]
; %bb.6190:                             ;   in Loop: Header=BB6_5851 Depth=2
	s_andn2_saveexec_b64 s[18:19], s[18:19]
; %bb.6191:                             ;   in Loop: Header=BB6_5851 Depth=2
	v_mov_b32_e32 v15, v3
	v_bfe_u32 v16, v2, 23, 1
	v_mov_b32_e32 v14, v2
; %bb.6192:                             ;   in Loop: Header=BB6_5851 Depth=2
	s_or_b64 exec, exec, s[18:19]
	v_lshrrev_b64 v[14:15], 20, v[14:15]
	v_cmp_gt_i32_e32 vcc, 16, v16
	v_cndmask_b32_e32 v15, 0, v15, vcc
	v_cndmask_b32_e32 v14, 7, v14, vcc
	v_cmp_ne_u64_e32 vcc, 0, v[14:15]
	v_cmp_ne_u32_e64 s[18:19], 0, v16
	s_or_b64 s[18:19], s[18:19], vcc
                                        ; implicit-def: $vgpr60
	s_and_saveexec_b64 s[92:93], s[18:19]
	s_xor_b64 s[18:19], exec, s[92:93]
; %bb.6193:                             ;   in Loop: Header=BB6_5851 Depth=2
	v_min_i32_e32 v2, 15, v16
	v_lshl_or_b32 v2, v2, 3, v27
	v_and_or_b32 v60, v14, 7, v2
                                        ; implicit-def: $vgpr27
; %bb.6194:                             ;   in Loop: Header=BB6_5851 Depth=2
	s_andn2_saveexec_b64 s[18:19], s[18:19]
; %bb.6195:                             ;   in Loop: Header=BB6_5851 Depth=2
	v_mov_b32_e32 v60, v27
; %bb.6196:                             ;   in Loop: Header=BB6_5851 Depth=2
	s_or_b64 exec, exec, s[18:19]
.LBB6_6197:                             ;   in Loop: Header=BB6_5851 Depth=2
	s_or_b64 exec, exec, s[90:91]
                                        ; implicit-def: $vgpr27
.LBB6_6198:                             ;   in Loop: Header=BB6_5851 Depth=2
	s_andn2_saveexec_b64 s[18:19], s[88:89]
; %bb.6199:                             ;   in Loop: Header=BB6_5851 Depth=2
	v_or_b32_e32 v60, 0x7e, v27
; %bb.6200:                             ;   in Loop: Header=BB6_5851 Depth=2
	s_or_b64 exec, exec, s[18:19]
                                        ; implicit-def: $vgpr14
.LBB6_6201:                             ;   in Loop: Header=BB6_5851 Depth=2
	s_andn2_saveexec_b64 s[18:19], s[78:79]
; %bb.6202:                             ;   in Loop: Header=BB6_5851 Depth=2
	v_or_b32_sdwa v60, v14, s50 dst_sel:DWORD dst_unused:UNUSED_PAD src0_sel:BYTE_3 src1_sel:DWORD
; %bb.6203:                             ;   in Loop: Header=BB6_5851 Depth=2
	s_or_b64 exec, exec, s[18:19]
	v_and_b32_e32 v2, 0xff, v32
	v_cmp_ne_u16_e32 vcc, 0, v2
	v_mov_b32_e32 v14, 0
	v_mov_b32_e32 v15, 0
	s_and_saveexec_b64 s[18:19], vcc
	s_cbranch_execz .LBB6_6209
; %bb.6204:                             ;   in Loop: Header=BB6_5851 Depth=2
	v_cmp_ne_u16_e32 vcc, s49, v2
	v_bfrev_b32_e32 v15, 1
	s_and_saveexec_b64 s[78:79], vcc
	s_cbranch_execz .LBB6_6208
; %bb.6205:                             ;   in Loop: Header=BB6_5851 Depth=2
	v_and_b32_e32 v16, 0x7f, v32
	v_cmp_ne_u32_e32 vcc, s50, v16
	v_mov_b32_e32 v15, 0x7f800001
	s_and_saveexec_b64 s[88:89], vcc
	s_cbranch_execz .LBB6_6207
; %bb.6206:                             ;   in Loop: Header=BB6_5851 Depth=2
	v_and_b32_e32 v27, 7, v2
	v_ffbh_u32_e32 v15, v27
	v_min_u32_e32 v30, 32, v15
	v_subrev_u32_e32 v15, 28, v30
	v_lshrrev_b32_e32 v28, 3, v16
	v_cmp_gt_u32_e32 vcc, 8, v16
	v_lshlrev_b64 v[15:16], v15, v[2:3]
	v_sub_u32_e32 v2, 29, v30
	v_and_b32_e32 v15, 7, v15
	v_cndmask_b32_e32 v2, v28, v2, vcc
	v_cndmask_b32_e32 v15, v27, v15, vcc
	v_lshlrev_b32_e32 v16, 24, v32
	v_lshlrev_b32_e32 v15, 20, v15
	v_and_b32_e32 v16, 0x80000000, v16
	v_lshl_add_u32 v2, v2, 23, v57
	v_or3_b32 v15, v16, v2, v15
.LBB6_6207:                             ;   in Loop: Header=BB6_5851 Depth=2
	s_or_b64 exec, exec, s[88:89]
.LBB6_6208:                             ;   in Loop: Header=BB6_5851 Depth=2
	s_or_b64 exec, exec, s[78:79]
.LBB6_6209:                             ;   in Loop: Header=BB6_5851 Depth=2
	s_or_b64 exec, exec, s[18:19]
	v_and_b32_e32 v2, 0xff, v19
	v_cmp_ne_u16_e32 vcc, 0, v2
	s_and_saveexec_b64 s[18:19], vcc
	s_cbranch_execz .LBB6_6215
; %bb.6210:                             ;   in Loop: Header=BB6_5851 Depth=2
	v_cmp_ne_u16_e32 vcc, s49, v2
	v_bfrev_b32_e32 v14, 1
	s_and_saveexec_b64 s[78:79], vcc
	s_cbranch_execz .LBB6_6214
; %bb.6211:                             ;   in Loop: Header=BB6_5851 Depth=2
	v_and_b32_e32 v16, 0x7f, v19
	v_cmp_ne_u32_e32 vcc, s50, v16
	v_mov_b32_e32 v14, 0x7f800001
	s_and_saveexec_b64 s[88:89], vcc
	s_cbranch_execz .LBB6_6213
; %bb.6212:                             ;   in Loop: Header=BB6_5851 Depth=2
	v_and_b32_e32 v14, 7, v2
	v_lshrrev_b32_e32 v30, 3, v16
	v_cmp_gt_u32_e32 vcc, 8, v16
	v_ffbh_u32_e32 v16, v14
	v_min_u32_e32 v16, 32, v16
	v_subrev_u32_e32 v27, 28, v16
	v_lshlrev_b64 v[27:28], v27, v[2:3]
	v_sub_u32_e32 v2, 29, v16
	v_and_b32_e32 v16, 7, v27
	v_cndmask_b32_e32 v2, v30, v2, vcc
	v_cndmask_b32_e32 v14, v14, v16, vcc
	v_lshlrev_b32_e32 v16, 24, v19
	v_lshlrev_b32_e32 v14, 20, v14
	v_and_b32_e32 v16, 0x80000000, v16
	v_lshl_add_u32 v2, v2, 23, v57
	v_or3_b32 v14, v16, v2, v14
.LBB6_6213:                             ;   in Loop: Header=BB6_5851 Depth=2
	s_or_b64 exec, exec, s[88:89]
.LBB6_6214:                             ;   in Loop: Header=BB6_5851 Depth=2
	s_or_b64 exec, exec, s[78:79]
.LBB6_6215:                             ;   in Loop: Header=BB6_5851 Depth=2
	s_or_b64 exec, exec, s[18:19]
	v_add_f32_e32 v14, v15, v14
	v_and_b32_e32 v2, 0x7f800000, v14
	v_cmp_ne_u64_e32 vcc, s[46:47], v[2:3]
                                        ; implicit-def: $vgpr19
	s_and_saveexec_b64 s[18:19], vcc
	s_xor_b64 s[78:79], exec, s[18:19]
	s_cbranch_execz .LBB6_6233
; %bb.6216:                             ;   in Loop: Header=BB6_5851 Depth=2
	v_and_b32_e32 v2, 0x7fffffff, v14
	v_cmp_gt_u64_e32 vcc, s[56:57], v[2:3]
	v_and_b32_sdwa v27, v14, s49 dst_sel:DWORD dst_unused:UNUSED_PAD src0_sel:BYTE_3 src1_sel:DWORD
                                        ; implicit-def: $vgpr19
	s_and_saveexec_b64 s[18:19], vcc
	s_xor_b64 s[88:89], exec, s[18:19]
	s_cbranch_execz .LBB6_6230
; %bb.6217:                             ;   in Loop: Header=BB6_5851 Depth=2
	v_cmp_ne_u32_e32 vcc, 0, v14
	v_mov_b32_e32 v19, 0
	s_and_saveexec_b64 s[90:91], vcc
	s_cbranch_execz .LBB6_6229
; %bb.6218:                             ;   in Loop: Header=BB6_5851 Depth=2
	v_bfe_u32 v19, v14, 23, 8
	v_and_b32_e32 v2, 0x7fffff, v14
	v_cmp_gt_u32_e64 s[18:19], s51, v19
	v_sub_u32_e32 v14, 0x79, v19
	v_cmp_eq_u32_e32 vcc, 0, v19
	v_cndmask_b32_e64 v14, 0, v14, s[18:19]
	v_mov_b32_e32 v16, 0x78
	v_cndmask_b32_e32 v28, v14, v16, vcc
	v_or_b32_e32 v15, 0x800000, v2
	v_add_u32_e32 v14, 20, v28
	v_cndmask_b32_e32 v2, v15, v2, vcc
	v_lshlrev_b64 v[14:15], v14, -1
	v_add_u32_e32 v16, 19, v28
	v_lshlrev_b64 v[30:31], v16, 1
	v_bfi_b32 v15, v15, 0, 0
	v_bfi_b32 v14, v14, 0, v2
	v_cmp_eq_u64_e64 s[18:19], v[14:15], v[30:31]
	v_lshrrev_b64 v[14:15], v28, v[2:3]
	v_mov_b32_e32 v16, v15
	v_mov_b32_e32 v15, v14
	s_and_saveexec_b64 s[92:93], s[18:19]
; %bb.6219:                             ;   in Loop: Header=BB6_5851 Depth=2
	v_bfe_u32 v2, v14, 20, 1
	v_add_co_u32_e64 v2, s[18:19], v14, v2
	v_add_co_u32_e64 v15, s[18:19], -1, v2
; %bb.6220:                             ;   in Loop: Header=BB6_5851 Depth=2
	s_or_b64 exec, exec, s[92:93]
	v_add_u32_e32 v2, 0xffffff81, v19
	v_mov_b32_e32 v16, 0xffffff82
	v_cndmask_b32_e32 v2, v2, v16, vcc
	v_lshrrev_b32_e32 v16, 23, v14
	v_add3_u32 v28, v28, v2, v16
	v_add_u32_e32 v19, 6, v28
	v_and_b32_e32 v2, 0xfffff, v15
	v_add_u32_e32 v2, v2, v14
	v_cmp_ne_u32_e32 vcc, 0, v19
                                        ; implicit-def: $vgpr14_vgpr15
                                        ; implicit-def: $vgpr16
	s_and_saveexec_b64 s[18:19], vcc
	s_xor_b64 s[18:19], exec, s[18:19]
; %bb.6221:                             ;   in Loop: Header=BB6_5851 Depth=2
	v_cmp_lt_u64_e32 vcc, s[58:59], v[2:3]
	v_add_u32_e32 v14, 7, v28
	v_cndmask_b32_e32 v16, v19, v14, vcc
	v_cndmask_b32_e64 v14, 0, 1, vcc
	v_lshrrev_b64 v[14:15], v14, v[2:3]
; %bb.6222:                             ;   in Loop: Header=BB6_5851 Depth=2
	s_andn2_saveexec_b64 s[18:19], s[18:19]
; %bb.6223:                             ;   in Loop: Header=BB6_5851 Depth=2
	v_mov_b32_e32 v15, v3
	v_bfe_u32 v16, v2, 23, 1
	v_mov_b32_e32 v14, v2
; %bb.6224:                             ;   in Loop: Header=BB6_5851 Depth=2
	s_or_b64 exec, exec, s[18:19]
	v_lshrrev_b64 v[14:15], 20, v[14:15]
	v_cmp_gt_i32_e32 vcc, 16, v16
	v_cndmask_b32_e32 v15, 0, v15, vcc
	v_cndmask_b32_e32 v14, 7, v14, vcc
	v_cmp_ne_u64_e32 vcc, 0, v[14:15]
	v_cmp_ne_u32_e64 s[18:19], 0, v16
	s_or_b64 s[18:19], s[18:19], vcc
                                        ; implicit-def: $vgpr19
	s_and_saveexec_b64 s[92:93], s[18:19]
	s_xor_b64 s[18:19], exec, s[92:93]
; %bb.6225:                             ;   in Loop: Header=BB6_5851 Depth=2
	v_min_i32_e32 v2, 15, v16
	v_lshl_or_b32 v2, v2, 3, v27
	v_and_or_b32 v19, v14, 7, v2
                                        ; implicit-def: $vgpr27
; %bb.6226:                             ;   in Loop: Header=BB6_5851 Depth=2
	s_andn2_saveexec_b64 s[18:19], s[18:19]
; %bb.6227:                             ;   in Loop: Header=BB6_5851 Depth=2
	v_mov_b32_e32 v19, v27
; %bb.6228:                             ;   in Loop: Header=BB6_5851 Depth=2
	s_or_b64 exec, exec, s[18:19]
.LBB6_6229:                             ;   in Loop: Header=BB6_5851 Depth=2
	s_or_b64 exec, exec, s[90:91]
                                        ; implicit-def: $vgpr27
.LBB6_6230:                             ;   in Loop: Header=BB6_5851 Depth=2
	s_andn2_saveexec_b64 s[18:19], s[88:89]
; %bb.6231:                             ;   in Loop: Header=BB6_5851 Depth=2
	v_or_b32_e32 v19, 0x7e, v27
; %bb.6232:                             ;   in Loop: Header=BB6_5851 Depth=2
	s_or_b64 exec, exec, s[18:19]
                                        ; implicit-def: $vgpr14
.LBB6_6233:                             ;   in Loop: Header=BB6_5851 Depth=2
	s_andn2_saveexec_b64 s[18:19], s[78:79]
; %bb.6234:                             ;   in Loop: Header=BB6_5851 Depth=2
	v_or_b32_sdwa v19, v14, s50 dst_sel:DWORD dst_unused:UNUSED_PAD src0_sel:BYTE_3 src1_sel:DWORD
; %bb.6235:                             ;   in Loop: Header=BB6_5851 Depth=2
	s_or_b64 exec, exec, s[18:19]
	v_and_b32_e32 v2, 0xff, v24
	v_cmp_ne_u16_e32 vcc, 0, v2
	v_mov_b32_e32 v14, 0
	v_mov_b32_e32 v15, 0
	s_and_saveexec_b64 s[18:19], vcc
	s_cbranch_execz .LBB6_6241
; %bb.6236:                             ;   in Loop: Header=BB6_5851 Depth=2
	v_cmp_ne_u16_e32 vcc, s49, v2
	v_bfrev_b32_e32 v15, 1
	s_and_saveexec_b64 s[78:79], vcc
	s_cbranch_execz .LBB6_6240
; %bb.6237:                             ;   in Loop: Header=BB6_5851 Depth=2
	v_and_b32_e32 v16, 0x7f, v24
	v_cmp_ne_u32_e32 vcc, s50, v16
	v_mov_b32_e32 v15, 0x7f800001
	s_and_saveexec_b64 s[88:89], vcc
	s_cbranch_execz .LBB6_6239
; %bb.6238:                             ;   in Loop: Header=BB6_5851 Depth=2
	v_and_b32_e32 v27, 7, v2
	v_ffbh_u32_e32 v15, v27
	v_min_u32_e32 v30, 32, v15
	v_subrev_u32_e32 v15, 28, v30
	v_lshrrev_b32_e32 v28, 3, v16
	v_cmp_gt_u32_e32 vcc, 8, v16
	v_lshlrev_b64 v[15:16], v15, v[2:3]
	v_sub_u32_e32 v2, 29, v30
	v_and_b32_e32 v15, 7, v15
	v_cndmask_b32_e32 v2, v28, v2, vcc
	v_cndmask_b32_e32 v15, v27, v15, vcc
	v_lshlrev_b32_e32 v16, 24, v24
	v_lshlrev_b32_e32 v15, 20, v15
	v_and_b32_e32 v16, 0x80000000, v16
	v_lshl_add_u32 v2, v2, 23, v57
	v_or3_b32 v15, v16, v2, v15
.LBB6_6239:                             ;   in Loop: Header=BB6_5851 Depth=2
	s_or_b64 exec, exec, s[88:89]
.LBB6_6240:                             ;   in Loop: Header=BB6_5851 Depth=2
	s_or_b64 exec, exec, s[78:79]
.LBB6_6241:                             ;   in Loop: Header=BB6_5851 Depth=2
	s_or_b64 exec, exec, s[18:19]
	v_and_b32_e32 v2, 0xff, v5
	v_cmp_ne_u16_e32 vcc, 0, v2
	s_and_saveexec_b64 s[18:19], vcc
	s_cbranch_execz .LBB6_6247
; %bb.6242:                             ;   in Loop: Header=BB6_5851 Depth=2
	v_cmp_ne_u16_e32 vcc, s49, v2
	v_bfrev_b32_e32 v14, 1
	s_and_saveexec_b64 s[78:79], vcc
	s_cbranch_execz .LBB6_6246
; %bb.6243:                             ;   in Loop: Header=BB6_5851 Depth=2
	v_and_b32_e32 v16, 0x7f, v5
	v_cmp_ne_u32_e32 vcc, s50, v16
	v_mov_b32_e32 v14, 0x7f800001
	s_and_saveexec_b64 s[88:89], vcc
	s_cbranch_execz .LBB6_6245
; %bb.6244:                             ;   in Loop: Header=BB6_5851 Depth=2
	v_and_b32_e32 v14, 7, v2
	v_lshrrev_b32_e32 v24, 3, v16
	v_cmp_gt_u32_e32 vcc, 8, v16
	v_ffbh_u32_e32 v16, v14
	v_min_u32_e32 v16, 32, v16
	v_subrev_u32_e32 v27, 28, v16
	v_lshlrev_b64 v[27:28], v27, v[2:3]
	v_sub_u32_e32 v2, 29, v16
	v_and_b32_e32 v16, 7, v27
	v_cndmask_b32_e32 v2, v24, v2, vcc
	v_cndmask_b32_e32 v14, v14, v16, vcc
	v_lshlrev_b32_e32 v5, 24, v5
	v_lshlrev_b32_e32 v14, 20, v14
	v_and_b32_e32 v5, 0x80000000, v5
	v_lshl_add_u32 v2, v2, 23, v57
	v_or3_b32 v14, v5, v2, v14
.LBB6_6245:                             ;   in Loop: Header=BB6_5851 Depth=2
	s_or_b64 exec, exec, s[88:89]
.LBB6_6246:                             ;   in Loop: Header=BB6_5851 Depth=2
	s_or_b64 exec, exec, s[78:79]
.LBB6_6247:                             ;   in Loop: Header=BB6_5851 Depth=2
	s_or_b64 exec, exec, s[18:19]
	v_add_f32_e32 v14, v15, v14
	v_and_b32_e32 v2, 0x7f800000, v14
	v_cmp_ne_u64_e32 vcc, s[46:47], v[2:3]
                                        ; implicit-def: $vgpr5
	s_and_saveexec_b64 s[18:19], vcc
	s_xor_b64 s[78:79], exec, s[18:19]
	s_cbranch_execz .LBB6_6265
; %bb.6248:                             ;   in Loop: Header=BB6_5851 Depth=2
	v_and_b32_e32 v2, 0x7fffffff, v14
	v_cmp_gt_u64_e32 vcc, s[56:57], v[2:3]
	v_and_b32_sdwa v24, v14, s49 dst_sel:DWORD dst_unused:UNUSED_PAD src0_sel:BYTE_3 src1_sel:DWORD
                                        ; implicit-def: $vgpr5
	s_and_saveexec_b64 s[18:19], vcc
	s_xor_b64 s[88:89], exec, s[18:19]
	s_cbranch_execz .LBB6_6262
; %bb.6249:                             ;   in Loop: Header=BB6_5851 Depth=2
	v_cmp_ne_u32_e32 vcc, 0, v14
	v_mov_b32_e32 v5, 0
	s_and_saveexec_b64 s[90:91], vcc
	s_cbranch_execz .LBB6_6261
; %bb.6250:                             ;   in Loop: Header=BB6_5851 Depth=2
	v_bfe_u32 v5, v14, 23, 8
	v_and_b32_e32 v2, 0x7fffff, v14
	v_cmp_gt_u32_e64 s[18:19], s51, v5
	v_sub_u32_e32 v14, 0x79, v5
	v_cmp_eq_u32_e32 vcc, 0, v5
	v_cndmask_b32_e64 v14, 0, v14, s[18:19]
	v_mov_b32_e32 v16, 0x78
	v_cndmask_b32_e32 v27, v14, v16, vcc
	v_or_b32_e32 v15, 0x800000, v2
	v_add_u32_e32 v14, 20, v27
	v_cndmask_b32_e32 v2, v15, v2, vcc
	v_lshlrev_b64 v[14:15], v14, -1
	v_add_u32_e32 v16, 19, v27
	v_lshlrev_b64 v[30:31], v16, 1
	v_bfi_b32 v15, v15, 0, 0
	v_bfi_b32 v14, v14, 0, v2
	v_cmp_eq_u64_e64 s[18:19], v[14:15], v[30:31]
	v_lshrrev_b64 v[14:15], v27, v[2:3]
	v_mov_b32_e32 v16, v15
	v_mov_b32_e32 v15, v14
	s_and_saveexec_b64 s[92:93], s[18:19]
; %bb.6251:                             ;   in Loop: Header=BB6_5851 Depth=2
	v_bfe_u32 v2, v14, 20, 1
	v_add_co_u32_e64 v2, s[18:19], v14, v2
	v_add_co_u32_e64 v15, s[18:19], -1, v2
; %bb.6252:                             ;   in Loop: Header=BB6_5851 Depth=2
	s_or_b64 exec, exec, s[92:93]
	v_add_u32_e32 v2, 0xffffff81, v5
	v_mov_b32_e32 v5, 0xffffff82
	v_cndmask_b32_e32 v2, v2, v5, vcc
	v_lshrrev_b32_e32 v5, 23, v14
	v_add3_u32 v27, v27, v2, v5
	v_add_u32_e32 v5, 6, v27
	v_and_b32_e32 v2, 0xfffff, v15
	v_add_u32_e32 v2, v2, v14
	v_cmp_ne_u32_e32 vcc, 0, v5
                                        ; implicit-def: $vgpr14_vgpr15
                                        ; implicit-def: $vgpr16
	s_and_saveexec_b64 s[18:19], vcc
	s_xor_b64 s[18:19], exec, s[18:19]
; %bb.6253:                             ;   in Loop: Header=BB6_5851 Depth=2
	v_cmp_lt_u64_e32 vcc, s[58:59], v[2:3]
	v_add_u32_e32 v14, 7, v27
	v_cndmask_b32_e32 v16, v5, v14, vcc
	v_cndmask_b32_e64 v5, 0, 1, vcc
	v_lshrrev_b64 v[14:15], v5, v[2:3]
; %bb.6254:                             ;   in Loop: Header=BB6_5851 Depth=2
	s_andn2_saveexec_b64 s[18:19], s[18:19]
; %bb.6255:                             ;   in Loop: Header=BB6_5851 Depth=2
	v_mov_b32_e32 v15, v3
	v_bfe_u32 v16, v2, 23, 1
	v_mov_b32_e32 v14, v2
; %bb.6256:                             ;   in Loop: Header=BB6_5851 Depth=2
	s_or_b64 exec, exec, s[18:19]
	v_lshrrev_b64 v[14:15], 20, v[14:15]
	v_cmp_gt_i32_e32 vcc, 16, v16
	v_cndmask_b32_e32 v15, 0, v15, vcc
	v_cndmask_b32_e32 v14, 7, v14, vcc
	v_cmp_ne_u64_e32 vcc, 0, v[14:15]
	v_cmp_ne_u32_e64 s[18:19], 0, v16
	s_or_b64 s[18:19], s[18:19], vcc
                                        ; implicit-def: $vgpr5
	s_and_saveexec_b64 s[92:93], s[18:19]
	s_xor_b64 s[18:19], exec, s[92:93]
; %bb.6257:                             ;   in Loop: Header=BB6_5851 Depth=2
	v_min_i32_e32 v2, 15, v16
	v_lshl_or_b32 v2, v2, 3, v24
	v_and_or_b32 v5, v14, 7, v2
                                        ; implicit-def: $vgpr24
; %bb.6258:                             ;   in Loop: Header=BB6_5851 Depth=2
	s_andn2_saveexec_b64 s[18:19], s[18:19]
; %bb.6259:                             ;   in Loop: Header=BB6_5851 Depth=2
	v_mov_b32_e32 v5, v24
; %bb.6260:                             ;   in Loop: Header=BB6_5851 Depth=2
	s_or_b64 exec, exec, s[18:19]
.LBB6_6261:                             ;   in Loop: Header=BB6_5851 Depth=2
	s_or_b64 exec, exec, s[90:91]
                                        ; implicit-def: $vgpr24
.LBB6_6262:                             ;   in Loop: Header=BB6_5851 Depth=2
	s_andn2_saveexec_b64 s[18:19], s[88:89]
; %bb.6263:                             ;   in Loop: Header=BB6_5851 Depth=2
	v_or_b32_e32 v5, 0x7e, v24
; %bb.6264:                             ;   in Loop: Header=BB6_5851 Depth=2
	s_or_b64 exec, exec, s[18:19]
                                        ; implicit-def: $vgpr14
.LBB6_6265:                             ;   in Loop: Header=BB6_5851 Depth=2
	s_andn2_saveexec_b64 s[18:19], s[78:79]
; %bb.6266:                             ;   in Loop: Header=BB6_5851 Depth=2
	v_or_b32_sdwa v5, v14, s50 dst_sel:DWORD dst_unused:UNUSED_PAD src0_sel:BYTE_3 src1_sel:DWORD
; %bb.6267:                             ;   in Loop: Header=BB6_5851 Depth=2
	s_or_b64 exec, exec, s[18:19]
	v_and_b32_e32 v2, 0xff, v23
	v_cmp_ne_u16_e32 vcc, 0, v2
	v_mov_b32_e32 v14, 0
	v_mov_b32_e32 v15, 0
	s_and_saveexec_b64 s[18:19], vcc
	s_cbranch_execz .LBB6_6273
; %bb.6268:                             ;   in Loop: Header=BB6_5851 Depth=2
	v_cmp_ne_u16_e32 vcc, s49, v2
	v_bfrev_b32_e32 v15, 1
	s_and_saveexec_b64 s[78:79], vcc
	s_cbranch_execz .LBB6_6272
; %bb.6269:                             ;   in Loop: Header=BB6_5851 Depth=2
	v_and_b32_e32 v16, 0x7f, v23
	v_cmp_ne_u32_e32 vcc, s50, v16
	v_mov_b32_e32 v15, 0x7f800001
	s_and_saveexec_b64 s[88:89], vcc
	s_cbranch_execz .LBB6_6271
; %bb.6270:                             ;   in Loop: Header=BB6_5851 Depth=2
	v_and_b32_e32 v24, 7, v2
	v_ffbh_u32_e32 v15, v24
	v_min_u32_e32 v28, 32, v15
	v_subrev_u32_e32 v15, 28, v28
	v_lshrrev_b32_e32 v27, 3, v16
	v_cmp_gt_u32_e32 vcc, 8, v16
	v_lshlrev_b64 v[15:16], v15, v[2:3]
	v_sub_u32_e32 v2, 29, v28
	v_and_b32_e32 v15, 7, v15
	v_cndmask_b32_e32 v2, v27, v2, vcc
	v_cndmask_b32_e32 v15, v24, v15, vcc
	v_lshlrev_b32_e32 v16, 24, v23
	v_lshlrev_b32_e32 v15, 20, v15
	v_and_b32_e32 v16, 0x80000000, v16
	v_lshl_add_u32 v2, v2, 23, v57
	v_or3_b32 v15, v16, v2, v15
.LBB6_6271:                             ;   in Loop: Header=BB6_5851 Depth=2
	s_or_b64 exec, exec, s[88:89]
.LBB6_6272:                             ;   in Loop: Header=BB6_5851 Depth=2
	s_or_b64 exec, exec, s[78:79]
.LBB6_6273:                             ;   in Loop: Header=BB6_5851 Depth=2
	s_or_b64 exec, exec, s[18:19]
	v_and_b32_e32 v2, 0xff, v54
	v_cmp_ne_u16_e32 vcc, 0, v2
	s_and_saveexec_b64 s[18:19], vcc
	s_cbranch_execz .LBB6_6279
; %bb.6274:                             ;   in Loop: Header=BB6_5851 Depth=2
	v_cmp_ne_u16_e32 vcc, s49, v2
	v_bfrev_b32_e32 v14, 1
	s_and_saveexec_b64 s[78:79], vcc
	s_cbranch_execz .LBB6_6278
; %bb.6275:                             ;   in Loop: Header=BB6_5851 Depth=2
	v_and_b32_e32 v16, 0x7f, v54
	v_cmp_ne_u32_e32 vcc, s50, v16
	v_mov_b32_e32 v14, 0x7f800001
	s_and_saveexec_b64 s[88:89], vcc
	s_cbranch_execz .LBB6_6277
; %bb.6276:                             ;   in Loop: Header=BB6_5851 Depth=2
	v_and_b32_e32 v14, 7, v2
	v_lshrrev_b32_e32 v27, 3, v16
	v_cmp_gt_u32_e32 vcc, 8, v16
	v_ffbh_u32_e32 v16, v14
	v_min_u32_e32 v16, 32, v16
	v_subrev_u32_e32 v23, 28, v16
	v_lshlrev_b64 v[23:24], v23, v[2:3]
	v_sub_u32_e32 v2, 29, v16
	v_and_b32_e32 v16, 7, v23
	v_cndmask_b32_e32 v2, v27, v2, vcc
	v_cndmask_b32_e32 v14, v14, v16, vcc
	v_lshlrev_b32_e32 v16, 24, v54
	v_lshlrev_b32_e32 v14, 20, v14
	v_and_b32_e32 v16, 0x80000000, v16
	v_lshl_add_u32 v2, v2, 23, v57
	v_or3_b32 v14, v16, v2, v14
.LBB6_6277:                             ;   in Loop: Header=BB6_5851 Depth=2
	s_or_b64 exec, exec, s[88:89]
.LBB6_6278:                             ;   in Loop: Header=BB6_5851 Depth=2
	s_or_b64 exec, exec, s[78:79]
.LBB6_6279:                             ;   in Loop: Header=BB6_5851 Depth=2
	s_or_b64 exec, exec, s[18:19]
	v_add_f32_e32 v14, v15, v14
	v_and_b32_e32 v2, 0x7f800000, v14
	v_cmp_ne_u64_e32 vcc, s[46:47], v[2:3]
                                        ; implicit-def: $vgpr54
	s_and_saveexec_b64 s[18:19], vcc
	s_xor_b64 s[78:79], exec, s[18:19]
	s_cbranch_execz .LBB6_6297
; %bb.6280:                             ;   in Loop: Header=BB6_5851 Depth=2
	v_and_b32_e32 v2, 0x7fffffff, v14
	v_cmp_gt_u64_e32 vcc, s[56:57], v[2:3]
	v_and_b32_sdwa v23, v14, s49 dst_sel:DWORD dst_unused:UNUSED_PAD src0_sel:BYTE_3 src1_sel:DWORD
                                        ; implicit-def: $vgpr54
	s_and_saveexec_b64 s[18:19], vcc
	s_xor_b64 s[88:89], exec, s[18:19]
	s_cbranch_execz .LBB6_6294
; %bb.6281:                             ;   in Loop: Header=BB6_5851 Depth=2
	v_cmp_ne_u32_e32 vcc, 0, v14
	v_mov_b32_e32 v54, 0
	s_and_saveexec_b64 s[90:91], vcc
	s_cbranch_execz .LBB6_6293
; %bb.6282:                             ;   in Loop: Header=BB6_5851 Depth=2
	v_bfe_u32 v24, v14, 23, 8
	v_and_b32_e32 v2, 0x7fffff, v14
	v_cmp_gt_u32_e64 s[18:19], s51, v24
	v_sub_u32_e32 v14, 0x79, v24
	v_cmp_eq_u32_e32 vcc, 0, v24
	v_cndmask_b32_e64 v14, 0, v14, s[18:19]
	v_mov_b32_e32 v16, 0x78
	v_cndmask_b32_e32 v27, v14, v16, vcc
	v_or_b32_e32 v15, 0x800000, v2
	v_add_u32_e32 v14, 20, v27
	v_cndmask_b32_e32 v2, v15, v2, vcc
	v_lshlrev_b64 v[14:15], v14, -1
	v_add_u32_e32 v16, 19, v27
	v_lshlrev_b64 v[30:31], v16, 1
	v_bfi_b32 v15, v15, 0, 0
	v_bfi_b32 v14, v14, 0, v2
	v_cmp_eq_u64_e64 s[18:19], v[14:15], v[30:31]
	v_lshrrev_b64 v[14:15], v27, v[2:3]
	v_mov_b32_e32 v16, v15
	v_mov_b32_e32 v15, v14
	s_and_saveexec_b64 s[92:93], s[18:19]
; %bb.6283:                             ;   in Loop: Header=BB6_5851 Depth=2
	v_bfe_u32 v2, v14, 20, 1
	v_add_co_u32_e64 v2, s[18:19], v14, v2
	v_add_co_u32_e64 v15, s[18:19], -1, v2
; %bb.6284:                             ;   in Loop: Header=BB6_5851 Depth=2
	s_or_b64 exec, exec, s[92:93]
	v_add_u32_e32 v2, 0xffffff81, v24
	v_mov_b32_e32 v16, 0xffffff82
	v_cndmask_b32_e32 v2, v2, v16, vcc
	v_lshrrev_b32_e32 v16, 23, v14
	v_add3_u32 v27, v27, v2, v16
	v_add_u32_e32 v24, 6, v27
	v_and_b32_e32 v2, 0xfffff, v15
	v_add_u32_e32 v2, v2, v14
	v_cmp_ne_u32_e32 vcc, 0, v24
                                        ; implicit-def: $vgpr14_vgpr15
                                        ; implicit-def: $vgpr16
	s_and_saveexec_b64 s[18:19], vcc
	s_xor_b64 s[18:19], exec, s[18:19]
; %bb.6285:                             ;   in Loop: Header=BB6_5851 Depth=2
	v_cmp_lt_u64_e32 vcc, s[58:59], v[2:3]
	v_add_u32_e32 v14, 7, v27
	v_cndmask_b32_e32 v16, v24, v14, vcc
	v_cndmask_b32_e64 v14, 0, 1, vcc
	v_lshrrev_b64 v[14:15], v14, v[2:3]
; %bb.6286:                             ;   in Loop: Header=BB6_5851 Depth=2
	s_andn2_saveexec_b64 s[18:19], s[18:19]
; %bb.6287:                             ;   in Loop: Header=BB6_5851 Depth=2
	v_mov_b32_e32 v15, v3
	v_bfe_u32 v16, v2, 23, 1
	v_mov_b32_e32 v14, v2
; %bb.6288:                             ;   in Loop: Header=BB6_5851 Depth=2
	s_or_b64 exec, exec, s[18:19]
	v_lshrrev_b64 v[14:15], 20, v[14:15]
	v_cmp_gt_i32_e32 vcc, 16, v16
	v_cndmask_b32_e32 v15, 0, v15, vcc
	v_cndmask_b32_e32 v14, 7, v14, vcc
	v_cmp_ne_u64_e32 vcc, 0, v[14:15]
	v_cmp_ne_u32_e64 s[18:19], 0, v16
	s_or_b64 s[18:19], s[18:19], vcc
                                        ; implicit-def: $vgpr54
	s_and_saveexec_b64 s[92:93], s[18:19]
	s_xor_b64 s[18:19], exec, s[92:93]
; %bb.6289:                             ;   in Loop: Header=BB6_5851 Depth=2
	v_min_i32_e32 v2, 15, v16
	v_lshl_or_b32 v2, v2, 3, v23
	v_and_or_b32 v54, v14, 7, v2
                                        ; implicit-def: $vgpr23
; %bb.6290:                             ;   in Loop: Header=BB6_5851 Depth=2
	s_andn2_saveexec_b64 s[18:19], s[18:19]
; %bb.6291:                             ;   in Loop: Header=BB6_5851 Depth=2
	v_mov_b32_e32 v54, v23
; %bb.6292:                             ;   in Loop: Header=BB6_5851 Depth=2
	s_or_b64 exec, exec, s[18:19]
.LBB6_6293:                             ;   in Loop: Header=BB6_5851 Depth=2
	s_or_b64 exec, exec, s[90:91]
                                        ; implicit-def: $vgpr23
.LBB6_6294:                             ;   in Loop: Header=BB6_5851 Depth=2
	s_andn2_saveexec_b64 s[18:19], s[88:89]
; %bb.6295:                             ;   in Loop: Header=BB6_5851 Depth=2
	v_or_b32_e32 v54, 0x7e, v23
; %bb.6296:                             ;   in Loop: Header=BB6_5851 Depth=2
	s_or_b64 exec, exec, s[18:19]
                                        ; implicit-def: $vgpr14
.LBB6_6297:                             ;   in Loop: Header=BB6_5851 Depth=2
	s_andn2_saveexec_b64 s[18:19], s[78:79]
; %bb.6298:                             ;   in Loop: Header=BB6_5851 Depth=2
	v_or_b32_sdwa v54, v14, s50 dst_sel:DWORD dst_unused:UNUSED_PAD src0_sel:BYTE_3 src1_sel:DWORD
; %bb.6299:                             ;   in Loop: Header=BB6_5851 Depth=2
	s_or_b64 exec, exec, s[18:19]
	v_and_b32_e32 v2, 0xff, v21
	v_cmp_ne_u16_e32 vcc, 0, v2
	v_mov_b32_e32 v14, 0
	v_mov_b32_e32 v15, 0
	s_and_saveexec_b64 s[18:19], vcc
	s_cbranch_execz .LBB6_6305
; %bb.6300:                             ;   in Loop: Header=BB6_5851 Depth=2
	v_cmp_ne_u16_e32 vcc, s49, v2
	v_bfrev_b32_e32 v15, 1
	s_and_saveexec_b64 s[78:79], vcc
	s_cbranch_execz .LBB6_6304
; %bb.6301:                             ;   in Loop: Header=BB6_5851 Depth=2
	v_and_b32_e32 v16, 0x7f, v21
	v_cmp_ne_u32_e32 vcc, s50, v16
	v_mov_b32_e32 v15, 0x7f800001
	s_and_saveexec_b64 s[88:89], vcc
	s_cbranch_execz .LBB6_6303
; %bb.6302:                             ;   in Loop: Header=BB6_5851 Depth=2
	v_and_b32_e32 v23, 7, v2
	v_ffbh_u32_e32 v15, v23
	v_min_u32_e32 v27, 32, v15
	v_subrev_u32_e32 v15, 28, v27
	v_lshrrev_b32_e32 v24, 3, v16
	v_cmp_gt_u32_e32 vcc, 8, v16
	v_lshlrev_b64 v[15:16], v15, v[2:3]
	v_sub_u32_e32 v2, 29, v27
	v_and_b32_e32 v15, 7, v15
	v_cndmask_b32_e32 v2, v24, v2, vcc
	v_cndmask_b32_e32 v15, v23, v15, vcc
	v_lshlrev_b32_e32 v16, 24, v21
	v_lshlrev_b32_e32 v15, 20, v15
	v_and_b32_e32 v16, 0x80000000, v16
	v_lshl_add_u32 v2, v2, 23, v57
	v_or3_b32 v15, v16, v2, v15
.LBB6_6303:                             ;   in Loop: Header=BB6_5851 Depth=2
	s_or_b64 exec, exec, s[88:89]
.LBB6_6304:                             ;   in Loop: Header=BB6_5851 Depth=2
	s_or_b64 exec, exec, s[78:79]
.LBB6_6305:                             ;   in Loop: Header=BB6_5851 Depth=2
	s_or_b64 exec, exec, s[18:19]
	v_and_b32_e32 v2, 0xff, v8
	v_cmp_ne_u16_e32 vcc, 0, v2
	s_and_saveexec_b64 s[18:19], vcc
	s_cbranch_execz .LBB6_6311
; %bb.6306:                             ;   in Loop: Header=BB6_5851 Depth=2
	v_cmp_ne_u16_e32 vcc, s49, v2
	v_bfrev_b32_e32 v14, 1
	s_and_saveexec_b64 s[78:79], vcc
	s_cbranch_execz .LBB6_6310
; %bb.6307:                             ;   in Loop: Header=BB6_5851 Depth=2
	v_and_b32_e32 v16, 0x7f, v8
	v_cmp_ne_u32_e32 vcc, s50, v16
	v_mov_b32_e32 v14, 0x7f800001
	s_and_saveexec_b64 s[88:89], vcc
	s_cbranch_execz .LBB6_6309
; %bb.6308:                             ;   in Loop: Header=BB6_5851 Depth=2
	v_and_b32_e32 v14, 7, v2
	v_lshrrev_b32_e32 v21, 3, v16
	v_cmp_gt_u32_e32 vcc, 8, v16
	v_ffbh_u32_e32 v16, v14
	v_min_u32_e32 v16, 32, v16
	v_subrev_u32_e32 v23, 28, v16
	v_lshlrev_b64 v[23:24], v23, v[2:3]
	v_sub_u32_e32 v2, 29, v16
	v_and_b32_e32 v16, 7, v23
	v_cndmask_b32_e32 v2, v21, v2, vcc
	v_cndmask_b32_e32 v14, v14, v16, vcc
	v_lshlrev_b32_e32 v8, 24, v8
	v_lshlrev_b32_e32 v14, 20, v14
	v_and_b32_e32 v8, 0x80000000, v8
	v_lshl_add_u32 v2, v2, 23, v57
	v_or3_b32 v14, v8, v2, v14
.LBB6_6309:                             ;   in Loop: Header=BB6_5851 Depth=2
	s_or_b64 exec, exec, s[88:89]
.LBB6_6310:                             ;   in Loop: Header=BB6_5851 Depth=2
	s_or_b64 exec, exec, s[78:79]
.LBB6_6311:                             ;   in Loop: Header=BB6_5851 Depth=2
	s_or_b64 exec, exec, s[18:19]
	v_add_f32_e32 v14, v15, v14
	v_and_b32_e32 v2, 0x7f800000, v14
	v_cmp_ne_u64_e32 vcc, s[46:47], v[2:3]
                                        ; implicit-def: $vgpr8
	s_and_saveexec_b64 s[18:19], vcc
	s_xor_b64 s[78:79], exec, s[18:19]
	s_cbranch_execz .LBB6_6329
; %bb.6312:                             ;   in Loop: Header=BB6_5851 Depth=2
	v_and_b32_e32 v2, 0x7fffffff, v14
	v_cmp_gt_u64_e32 vcc, s[56:57], v[2:3]
	v_and_b32_sdwa v21, v14, s49 dst_sel:DWORD dst_unused:UNUSED_PAD src0_sel:BYTE_3 src1_sel:DWORD
                                        ; implicit-def: $vgpr8
	s_and_saveexec_b64 s[18:19], vcc
	s_xor_b64 s[88:89], exec, s[18:19]
	s_cbranch_execz .LBB6_6326
; %bb.6313:                             ;   in Loop: Header=BB6_5851 Depth=2
	v_cmp_ne_u32_e32 vcc, 0, v14
	v_mov_b32_e32 v8, 0
	s_and_saveexec_b64 s[90:91], vcc
	s_cbranch_execz .LBB6_6325
; %bb.6314:                             ;   in Loop: Header=BB6_5851 Depth=2
	v_bfe_u32 v8, v14, 23, 8
	v_and_b32_e32 v2, 0x7fffff, v14
	v_cmp_gt_u32_e64 s[18:19], s51, v8
	v_sub_u32_e32 v14, 0x79, v8
	v_cmp_eq_u32_e32 vcc, 0, v8
	v_cndmask_b32_e64 v14, 0, v14, s[18:19]
	v_mov_b32_e32 v16, 0x78
	v_cndmask_b32_e32 v23, v14, v16, vcc
	v_or_b32_e32 v15, 0x800000, v2
	v_add_u32_e32 v14, 20, v23
	v_cndmask_b32_e32 v2, v15, v2, vcc
	v_lshlrev_b64 v[14:15], v14, -1
	v_add_u32_e32 v16, 19, v23
	v_lshlrev_b64 v[27:28], v16, 1
	v_bfi_b32 v15, v15, 0, 0
	v_bfi_b32 v14, v14, 0, v2
	v_cmp_eq_u64_e64 s[18:19], v[14:15], v[27:28]
	v_lshrrev_b64 v[14:15], v23, v[2:3]
	v_mov_b32_e32 v16, v15
	v_mov_b32_e32 v15, v14
	s_and_saveexec_b64 s[92:93], s[18:19]
; %bb.6315:                             ;   in Loop: Header=BB6_5851 Depth=2
	v_bfe_u32 v2, v14, 20, 1
	v_add_co_u32_e64 v2, s[18:19], v14, v2
	v_add_co_u32_e64 v15, s[18:19], -1, v2
; %bb.6316:                             ;   in Loop: Header=BB6_5851 Depth=2
	s_or_b64 exec, exec, s[92:93]
	v_add_u32_e32 v2, 0xffffff81, v8
	v_mov_b32_e32 v8, 0xffffff82
	v_cndmask_b32_e32 v2, v2, v8, vcc
	v_lshrrev_b32_e32 v8, 23, v14
	v_add3_u32 v23, v23, v2, v8
	v_add_u32_e32 v8, 6, v23
	v_and_b32_e32 v2, 0xfffff, v15
	v_add_u32_e32 v2, v2, v14
	v_cmp_ne_u32_e32 vcc, 0, v8
                                        ; implicit-def: $vgpr14_vgpr15
                                        ; implicit-def: $vgpr16
	s_and_saveexec_b64 s[18:19], vcc
	s_xor_b64 s[18:19], exec, s[18:19]
; %bb.6317:                             ;   in Loop: Header=BB6_5851 Depth=2
	v_cmp_lt_u64_e32 vcc, s[58:59], v[2:3]
	v_add_u32_e32 v14, 7, v23
	v_cndmask_b32_e32 v16, v8, v14, vcc
	v_cndmask_b32_e64 v8, 0, 1, vcc
	v_lshrrev_b64 v[14:15], v8, v[2:3]
; %bb.6318:                             ;   in Loop: Header=BB6_5851 Depth=2
	s_andn2_saveexec_b64 s[18:19], s[18:19]
; %bb.6319:                             ;   in Loop: Header=BB6_5851 Depth=2
	v_mov_b32_e32 v15, v3
	v_bfe_u32 v16, v2, 23, 1
	v_mov_b32_e32 v14, v2
; %bb.6320:                             ;   in Loop: Header=BB6_5851 Depth=2
	s_or_b64 exec, exec, s[18:19]
	v_lshrrev_b64 v[14:15], 20, v[14:15]
	v_cmp_gt_i32_e32 vcc, 16, v16
	v_cndmask_b32_e32 v15, 0, v15, vcc
	v_cndmask_b32_e32 v14, 7, v14, vcc
	v_cmp_ne_u64_e32 vcc, 0, v[14:15]
	v_cmp_ne_u32_e64 s[18:19], 0, v16
	s_or_b64 s[18:19], s[18:19], vcc
                                        ; implicit-def: $vgpr8
	s_and_saveexec_b64 s[92:93], s[18:19]
	s_xor_b64 s[18:19], exec, s[92:93]
; %bb.6321:                             ;   in Loop: Header=BB6_5851 Depth=2
	v_min_i32_e32 v2, 15, v16
	v_lshl_or_b32 v2, v2, 3, v21
	v_and_or_b32 v8, v14, 7, v2
                                        ; implicit-def: $vgpr21
; %bb.6322:                             ;   in Loop: Header=BB6_5851 Depth=2
	s_andn2_saveexec_b64 s[18:19], s[18:19]
; %bb.6323:                             ;   in Loop: Header=BB6_5851 Depth=2
	v_mov_b32_e32 v8, v21
; %bb.6324:                             ;   in Loop: Header=BB6_5851 Depth=2
	s_or_b64 exec, exec, s[18:19]
.LBB6_6325:                             ;   in Loop: Header=BB6_5851 Depth=2
	s_or_b64 exec, exec, s[90:91]
                                        ; implicit-def: $vgpr21
.LBB6_6326:                             ;   in Loop: Header=BB6_5851 Depth=2
	s_andn2_saveexec_b64 s[18:19], s[88:89]
; %bb.6327:                             ;   in Loop: Header=BB6_5851 Depth=2
	v_or_b32_e32 v8, 0x7e, v21
; %bb.6328:                             ;   in Loop: Header=BB6_5851 Depth=2
	s_or_b64 exec, exec, s[18:19]
                                        ; implicit-def: $vgpr14
.LBB6_6329:                             ;   in Loop: Header=BB6_5851 Depth=2
	s_andn2_saveexec_b64 s[18:19], s[78:79]
; %bb.6330:                             ;   in Loop: Header=BB6_5851 Depth=2
	v_or_b32_sdwa v8, v14, s50 dst_sel:DWORD dst_unused:UNUSED_PAD src0_sel:BYTE_3 src1_sel:DWORD
; %bb.6331:                             ;   in Loop: Header=BB6_5851 Depth=2
	s_or_b64 exec, exec, s[18:19]
	v_and_b32_e32 v2, 0xff, v20
	v_cmp_ne_u16_e32 vcc, 0, v2
	v_mov_b32_e32 v14, 0
	v_mov_b32_e32 v15, 0
	s_and_saveexec_b64 s[18:19], vcc
	s_cbranch_execz .LBB6_6337
; %bb.6332:                             ;   in Loop: Header=BB6_5851 Depth=2
	v_cmp_ne_u16_e32 vcc, s49, v2
	v_bfrev_b32_e32 v15, 1
	s_and_saveexec_b64 s[78:79], vcc
	s_cbranch_execz .LBB6_6336
; %bb.6333:                             ;   in Loop: Header=BB6_5851 Depth=2
	v_and_b32_e32 v16, 0x7f, v20
	v_cmp_ne_u32_e32 vcc, s50, v16
	v_mov_b32_e32 v15, 0x7f800001
	s_and_saveexec_b64 s[88:89], vcc
	s_cbranch_execz .LBB6_6335
; %bb.6334:                             ;   in Loop: Header=BB6_5851 Depth=2
	v_and_b32_e32 v21, 7, v2
	v_ffbh_u32_e32 v15, v21
	v_min_u32_e32 v24, 32, v15
	v_subrev_u32_e32 v15, 28, v24
	v_lshrrev_b32_e32 v23, 3, v16
	v_cmp_gt_u32_e32 vcc, 8, v16
	v_lshlrev_b64 v[15:16], v15, v[2:3]
	v_sub_u32_e32 v2, 29, v24
	v_and_b32_e32 v15, 7, v15
	v_cndmask_b32_e32 v2, v23, v2, vcc
	v_cndmask_b32_e32 v15, v21, v15, vcc
	v_lshlrev_b32_e32 v16, 24, v20
	v_lshlrev_b32_e32 v15, 20, v15
	v_and_b32_e32 v16, 0x80000000, v16
	v_lshl_add_u32 v2, v2, 23, v57
	v_or3_b32 v15, v16, v2, v15
.LBB6_6335:                             ;   in Loop: Header=BB6_5851 Depth=2
	s_or_b64 exec, exec, s[88:89]
.LBB6_6336:                             ;   in Loop: Header=BB6_5851 Depth=2
	s_or_b64 exec, exec, s[78:79]
.LBB6_6337:                             ;   in Loop: Header=BB6_5851 Depth=2
	s_or_b64 exec, exec, s[18:19]
	v_and_b32_e32 v2, 0xff, v25
	v_cmp_ne_u16_e32 vcc, 0, v2
	s_and_saveexec_b64 s[18:19], vcc
	s_cbranch_execz .LBB6_6343
; %bb.6338:                             ;   in Loop: Header=BB6_5851 Depth=2
	v_cmp_ne_u16_e32 vcc, s49, v2
	v_bfrev_b32_e32 v14, 1
	s_and_saveexec_b64 s[78:79], vcc
	s_cbranch_execz .LBB6_6342
; %bb.6339:                             ;   in Loop: Header=BB6_5851 Depth=2
	v_and_b32_e32 v16, 0x7f, v25
	v_cmp_ne_u32_e32 vcc, s50, v16
	v_mov_b32_e32 v14, 0x7f800001
	s_and_saveexec_b64 s[88:89], vcc
	s_cbranch_execz .LBB6_6341
; %bb.6340:                             ;   in Loop: Header=BB6_5851 Depth=2
	v_and_b32_e32 v14, 7, v2
	v_lshrrev_b32_e32 v23, 3, v16
	v_cmp_gt_u32_e32 vcc, 8, v16
	v_ffbh_u32_e32 v16, v14
	v_min_u32_e32 v16, 32, v16
	v_subrev_u32_e32 v20, 28, v16
	v_lshlrev_b64 v[20:21], v20, v[2:3]
	v_sub_u32_e32 v2, 29, v16
	v_and_b32_e32 v16, 7, v20
	v_cndmask_b32_e32 v2, v23, v2, vcc
	v_cndmask_b32_e32 v14, v14, v16, vcc
	v_lshlrev_b32_e32 v16, 24, v25
	v_lshlrev_b32_e32 v14, 20, v14
	v_and_b32_e32 v16, 0x80000000, v16
	v_lshl_add_u32 v2, v2, 23, v57
	v_or3_b32 v14, v16, v2, v14
.LBB6_6341:                             ;   in Loop: Header=BB6_5851 Depth=2
	s_or_b64 exec, exec, s[88:89]
.LBB6_6342:                             ;   in Loop: Header=BB6_5851 Depth=2
	s_or_b64 exec, exec, s[78:79]
.LBB6_6343:                             ;   in Loop: Header=BB6_5851 Depth=2
	s_or_b64 exec, exec, s[18:19]
	v_add_f32_e32 v14, v15, v14
	v_and_b32_e32 v2, 0x7f800000, v14
	v_cmp_ne_u64_e32 vcc, s[46:47], v[2:3]
                                        ; implicit-def: $vgpr25
	s_and_saveexec_b64 s[18:19], vcc
	s_xor_b64 s[78:79], exec, s[18:19]
	s_cbranch_execz .LBB6_6361
; %bb.6344:                             ;   in Loop: Header=BB6_5851 Depth=2
	v_and_b32_e32 v2, 0x7fffffff, v14
	v_cmp_gt_u64_e32 vcc, s[56:57], v[2:3]
	v_and_b32_sdwa v20, v14, s49 dst_sel:DWORD dst_unused:UNUSED_PAD src0_sel:BYTE_3 src1_sel:DWORD
                                        ; implicit-def: $vgpr25
	s_and_saveexec_b64 s[18:19], vcc
	s_xor_b64 s[88:89], exec, s[18:19]
	s_cbranch_execz .LBB6_6358
; %bb.6345:                             ;   in Loop: Header=BB6_5851 Depth=2
	v_cmp_ne_u32_e32 vcc, 0, v14
	v_mov_b32_e32 v25, 0
	s_and_saveexec_b64 s[90:91], vcc
	s_cbranch_execz .LBB6_6357
; %bb.6346:                             ;   in Loop: Header=BB6_5851 Depth=2
	v_bfe_u32 v21, v14, 23, 8
	v_and_b32_e32 v2, 0x7fffff, v14
	v_cmp_gt_u32_e64 s[18:19], s51, v21
	v_sub_u32_e32 v14, 0x79, v21
	v_cmp_eq_u32_e32 vcc, 0, v21
	v_cndmask_b32_e64 v14, 0, v14, s[18:19]
	v_mov_b32_e32 v16, 0x78
	v_cndmask_b32_e32 v23, v14, v16, vcc
	v_or_b32_e32 v15, 0x800000, v2
	v_add_u32_e32 v14, 20, v23
	v_cndmask_b32_e32 v2, v15, v2, vcc
	v_lshlrev_b64 v[14:15], v14, -1
	v_add_u32_e32 v16, 19, v23
	v_lshlrev_b64 v[24:25], v16, 1
	v_bfi_b32 v15, v15, 0, 0
	v_bfi_b32 v14, v14, 0, v2
	v_cmp_eq_u64_e64 s[18:19], v[14:15], v[24:25]
	v_lshrrev_b64 v[14:15], v23, v[2:3]
	v_mov_b32_e32 v16, v15
	v_mov_b32_e32 v15, v14
	s_and_saveexec_b64 s[92:93], s[18:19]
; %bb.6347:                             ;   in Loop: Header=BB6_5851 Depth=2
	v_bfe_u32 v2, v14, 20, 1
	v_add_co_u32_e64 v2, s[18:19], v14, v2
	v_add_co_u32_e64 v15, s[18:19], -1, v2
; %bb.6348:                             ;   in Loop: Header=BB6_5851 Depth=2
	s_or_b64 exec, exec, s[92:93]
	v_add_u32_e32 v2, 0xffffff81, v21
	v_mov_b32_e32 v16, 0xffffff82
	v_cndmask_b32_e32 v2, v2, v16, vcc
	v_lshrrev_b32_e32 v16, 23, v14
	v_add3_u32 v23, v23, v2, v16
	v_add_u32_e32 v21, 6, v23
	v_and_b32_e32 v2, 0xfffff, v15
	v_add_u32_e32 v2, v2, v14
	v_cmp_ne_u32_e32 vcc, 0, v21
                                        ; implicit-def: $vgpr14_vgpr15
                                        ; implicit-def: $vgpr16
	s_and_saveexec_b64 s[18:19], vcc
	s_xor_b64 s[18:19], exec, s[18:19]
; %bb.6349:                             ;   in Loop: Header=BB6_5851 Depth=2
	v_cmp_lt_u64_e32 vcc, s[58:59], v[2:3]
	v_add_u32_e32 v14, 7, v23
	v_cndmask_b32_e32 v16, v21, v14, vcc
	v_cndmask_b32_e64 v14, 0, 1, vcc
	v_lshrrev_b64 v[14:15], v14, v[2:3]
; %bb.6350:                             ;   in Loop: Header=BB6_5851 Depth=2
	s_andn2_saveexec_b64 s[18:19], s[18:19]
; %bb.6351:                             ;   in Loop: Header=BB6_5851 Depth=2
	v_mov_b32_e32 v15, v3
	v_bfe_u32 v16, v2, 23, 1
	v_mov_b32_e32 v14, v2
; %bb.6352:                             ;   in Loop: Header=BB6_5851 Depth=2
	s_or_b64 exec, exec, s[18:19]
	v_lshrrev_b64 v[14:15], 20, v[14:15]
	v_cmp_gt_i32_e32 vcc, 16, v16
	v_cndmask_b32_e32 v15, 0, v15, vcc
	v_cndmask_b32_e32 v14, 7, v14, vcc
	v_cmp_ne_u64_e32 vcc, 0, v[14:15]
	v_cmp_ne_u32_e64 s[18:19], 0, v16
	s_or_b64 s[18:19], s[18:19], vcc
                                        ; implicit-def: $vgpr25
	s_and_saveexec_b64 s[92:93], s[18:19]
	s_xor_b64 s[18:19], exec, s[92:93]
; %bb.6353:                             ;   in Loop: Header=BB6_5851 Depth=2
	v_min_i32_e32 v2, 15, v16
	v_lshl_or_b32 v2, v2, 3, v20
	v_and_or_b32 v25, v14, 7, v2
                                        ; implicit-def: $vgpr20
; %bb.6354:                             ;   in Loop: Header=BB6_5851 Depth=2
	s_andn2_saveexec_b64 s[18:19], s[18:19]
; %bb.6355:                             ;   in Loop: Header=BB6_5851 Depth=2
	v_mov_b32_e32 v25, v20
; %bb.6356:                             ;   in Loop: Header=BB6_5851 Depth=2
	s_or_b64 exec, exec, s[18:19]
.LBB6_6357:                             ;   in Loop: Header=BB6_5851 Depth=2
	s_or_b64 exec, exec, s[90:91]
                                        ; implicit-def: $vgpr20
.LBB6_6358:                             ;   in Loop: Header=BB6_5851 Depth=2
	s_andn2_saveexec_b64 s[18:19], s[88:89]
; %bb.6359:                             ;   in Loop: Header=BB6_5851 Depth=2
	v_or_b32_e32 v25, 0x7e, v20
; %bb.6360:                             ;   in Loop: Header=BB6_5851 Depth=2
	s_or_b64 exec, exec, s[18:19]
                                        ; implicit-def: $vgpr14
.LBB6_6361:                             ;   in Loop: Header=BB6_5851 Depth=2
	s_andn2_saveexec_b64 s[18:19], s[78:79]
; %bb.6362:                             ;   in Loop: Header=BB6_5851 Depth=2
	v_or_b32_sdwa v25, v14, s50 dst_sel:DWORD dst_unused:UNUSED_PAD src0_sel:BYTE_3 src1_sel:DWORD
; %bb.6363:                             ;   in Loop: Header=BB6_5851 Depth=2
	s_or_b64 exec, exec, s[18:19]
	v_and_b32_e32 v2, 0xff, v29
	v_cmp_ne_u16_e32 vcc, 0, v2
	v_mov_b32_e32 v14, 0
	v_mov_b32_e32 v15, 0
	s_and_saveexec_b64 s[18:19], vcc
	s_cbranch_execz .LBB6_6369
; %bb.6364:                             ;   in Loop: Header=BB6_5851 Depth=2
	v_cmp_ne_u16_e32 vcc, s49, v2
	v_bfrev_b32_e32 v15, 1
	s_and_saveexec_b64 s[78:79], vcc
	s_cbranch_execz .LBB6_6368
; %bb.6365:                             ;   in Loop: Header=BB6_5851 Depth=2
	v_and_b32_e32 v16, 0x7f, v29
	v_cmp_ne_u32_e32 vcc, s50, v16
	v_mov_b32_e32 v15, 0x7f800001
	s_and_saveexec_b64 s[88:89], vcc
	s_cbranch_execz .LBB6_6367
; %bb.6366:                             ;   in Loop: Header=BB6_5851 Depth=2
	v_and_b32_e32 v20, 7, v2
	v_ffbh_u32_e32 v15, v20
	v_min_u32_e32 v23, 32, v15
	v_subrev_u32_e32 v15, 28, v23
	v_lshrrev_b32_e32 v21, 3, v16
	v_cmp_gt_u32_e32 vcc, 8, v16
	v_lshlrev_b64 v[15:16], v15, v[2:3]
	v_sub_u32_e32 v2, 29, v23
	v_and_b32_e32 v15, 7, v15
	v_cndmask_b32_e32 v2, v21, v2, vcc
	v_cndmask_b32_e32 v15, v20, v15, vcc
	v_lshlrev_b32_e32 v16, 24, v29
	v_lshlrev_b32_e32 v15, 20, v15
	v_and_b32_e32 v16, 0x80000000, v16
	v_lshl_add_u32 v2, v2, 23, v57
	v_or3_b32 v15, v16, v2, v15
.LBB6_6367:                             ;   in Loop: Header=BB6_5851 Depth=2
	s_or_b64 exec, exec, s[88:89]
.LBB6_6368:                             ;   in Loop: Header=BB6_5851 Depth=2
	s_or_b64 exec, exec, s[78:79]
.LBB6_6369:                             ;   in Loop: Header=BB6_5851 Depth=2
	s_or_b64 exec, exec, s[18:19]
	v_and_b32_e32 v2, 0xff, v26
	v_cmp_ne_u16_e32 vcc, 0, v2
	s_and_saveexec_b64 s[18:19], vcc
	s_cbranch_execz .LBB6_6375
; %bb.6370:                             ;   in Loop: Header=BB6_5851 Depth=2
	v_cmp_ne_u16_e32 vcc, s49, v2
	v_bfrev_b32_e32 v14, 1
	s_and_saveexec_b64 s[78:79], vcc
	s_cbranch_execz .LBB6_6374
; %bb.6371:                             ;   in Loop: Header=BB6_5851 Depth=2
	v_and_b32_e32 v16, 0x7f, v26
	v_cmp_ne_u32_e32 vcc, s50, v16
	v_mov_b32_e32 v14, 0x7f800001
	s_and_saveexec_b64 s[88:89], vcc
	s_cbranch_execz .LBB6_6373
; %bb.6372:                             ;   in Loop: Header=BB6_5851 Depth=2
	v_and_b32_e32 v14, 7, v2
	v_lshrrev_b32_e32 v23, 3, v16
	v_cmp_gt_u32_e32 vcc, 8, v16
	v_ffbh_u32_e32 v16, v14
	v_min_u32_e32 v16, 32, v16
	v_subrev_u32_e32 v20, 28, v16
	v_lshlrev_b64 v[20:21], v20, v[2:3]
	v_sub_u32_e32 v2, 29, v16
	v_and_b32_e32 v16, 7, v20
	v_cndmask_b32_e32 v2, v23, v2, vcc
	v_cndmask_b32_e32 v14, v14, v16, vcc
	v_lshlrev_b32_e32 v16, 24, v26
	v_lshlrev_b32_e32 v14, 20, v14
	v_and_b32_e32 v16, 0x80000000, v16
	v_lshl_add_u32 v2, v2, 23, v57
	v_or3_b32 v14, v16, v2, v14
.LBB6_6373:                             ;   in Loop: Header=BB6_5851 Depth=2
	s_or_b64 exec, exec, s[88:89]
.LBB6_6374:                             ;   in Loop: Header=BB6_5851 Depth=2
	s_or_b64 exec, exec, s[78:79]
.LBB6_6375:                             ;   in Loop: Header=BB6_5851 Depth=2
	s_or_b64 exec, exec, s[18:19]
	v_add_f32_e32 v14, v15, v14
	v_and_b32_e32 v2, 0x7f800000, v14
	v_cmp_ne_u64_e32 vcc, s[46:47], v[2:3]
                                        ; implicit-def: $vgpr26
	s_and_saveexec_b64 s[18:19], vcc
	s_xor_b64 s[78:79], exec, s[18:19]
	s_cbranch_execz .LBB6_6393
; %bb.6376:                             ;   in Loop: Header=BB6_5851 Depth=2
	v_and_b32_e32 v2, 0x7fffffff, v14
	v_cmp_gt_u64_e32 vcc, s[56:57], v[2:3]
	v_and_b32_sdwa v20, v14, s49 dst_sel:DWORD dst_unused:UNUSED_PAD src0_sel:BYTE_3 src1_sel:DWORD
                                        ; implicit-def: $vgpr26
	s_and_saveexec_b64 s[18:19], vcc
	s_xor_b64 s[88:89], exec, s[18:19]
	s_cbranch_execz .LBB6_6390
; %bb.6377:                             ;   in Loop: Header=BB6_5851 Depth=2
	v_cmp_ne_u32_e32 vcc, 0, v14
	v_mov_b32_e32 v26, 0
	s_and_saveexec_b64 s[90:91], vcc
	s_cbranch_execz .LBB6_6389
; %bb.6378:                             ;   in Loop: Header=BB6_5851 Depth=2
	v_bfe_u32 v21, v14, 23, 8
	v_and_b32_e32 v2, 0x7fffff, v14
	v_cmp_gt_u32_e64 s[18:19], s51, v21
	v_sub_u32_e32 v14, 0x79, v21
	v_cmp_eq_u32_e32 vcc, 0, v21
	v_cndmask_b32_e64 v14, 0, v14, s[18:19]
	v_mov_b32_e32 v16, 0x78
	v_cndmask_b32_e32 v23, v14, v16, vcc
	v_or_b32_e32 v15, 0x800000, v2
	v_add_u32_e32 v14, 20, v23
	v_cndmask_b32_e32 v2, v15, v2, vcc
	v_lshlrev_b64 v[14:15], v14, -1
	v_add_u32_e32 v16, 19, v23
	v_lshlrev_b64 v[26:27], v16, 1
	v_bfi_b32 v15, v15, 0, 0
	v_bfi_b32 v14, v14, 0, v2
	v_cmp_eq_u64_e64 s[18:19], v[14:15], v[26:27]
	v_lshrrev_b64 v[14:15], v23, v[2:3]
	v_mov_b32_e32 v16, v15
	v_mov_b32_e32 v15, v14
	s_and_saveexec_b64 s[92:93], s[18:19]
; %bb.6379:                             ;   in Loop: Header=BB6_5851 Depth=2
	v_bfe_u32 v2, v14, 20, 1
	v_add_co_u32_e64 v2, s[18:19], v14, v2
	v_add_co_u32_e64 v15, s[18:19], -1, v2
; %bb.6380:                             ;   in Loop: Header=BB6_5851 Depth=2
	s_or_b64 exec, exec, s[92:93]
	v_add_u32_e32 v2, 0xffffff81, v21
	v_mov_b32_e32 v16, 0xffffff82
	v_cndmask_b32_e32 v2, v2, v16, vcc
	v_lshrrev_b32_e32 v16, 23, v14
	v_add3_u32 v23, v23, v2, v16
	v_add_u32_e32 v21, 6, v23
	v_and_b32_e32 v2, 0xfffff, v15
	v_add_u32_e32 v2, v2, v14
	v_cmp_ne_u32_e32 vcc, 0, v21
                                        ; implicit-def: $vgpr14_vgpr15
                                        ; implicit-def: $vgpr16
	s_and_saveexec_b64 s[18:19], vcc
	s_xor_b64 s[18:19], exec, s[18:19]
; %bb.6381:                             ;   in Loop: Header=BB6_5851 Depth=2
	v_cmp_lt_u64_e32 vcc, s[58:59], v[2:3]
	v_add_u32_e32 v14, 7, v23
	v_cndmask_b32_e32 v16, v21, v14, vcc
	v_cndmask_b32_e64 v14, 0, 1, vcc
	v_lshrrev_b64 v[14:15], v14, v[2:3]
; %bb.6382:                             ;   in Loop: Header=BB6_5851 Depth=2
	s_andn2_saveexec_b64 s[18:19], s[18:19]
; %bb.6383:                             ;   in Loop: Header=BB6_5851 Depth=2
	v_mov_b32_e32 v15, v3
	v_bfe_u32 v16, v2, 23, 1
	v_mov_b32_e32 v14, v2
; %bb.6384:                             ;   in Loop: Header=BB6_5851 Depth=2
	s_or_b64 exec, exec, s[18:19]
	v_lshrrev_b64 v[14:15], 20, v[14:15]
	v_cmp_gt_i32_e32 vcc, 16, v16
	v_cndmask_b32_e32 v15, 0, v15, vcc
	v_cndmask_b32_e32 v14, 7, v14, vcc
	v_cmp_ne_u64_e32 vcc, 0, v[14:15]
	v_cmp_ne_u32_e64 s[18:19], 0, v16
	s_or_b64 s[18:19], s[18:19], vcc
                                        ; implicit-def: $vgpr26
	s_and_saveexec_b64 s[92:93], s[18:19]
	s_xor_b64 s[18:19], exec, s[92:93]
; %bb.6385:                             ;   in Loop: Header=BB6_5851 Depth=2
	v_min_i32_e32 v2, 15, v16
	v_lshl_or_b32 v2, v2, 3, v20
	v_and_or_b32 v26, v14, 7, v2
                                        ; implicit-def: $vgpr20
; %bb.6386:                             ;   in Loop: Header=BB6_5851 Depth=2
	s_andn2_saveexec_b64 s[18:19], s[18:19]
; %bb.6387:                             ;   in Loop: Header=BB6_5851 Depth=2
	v_mov_b32_e32 v26, v20
; %bb.6388:                             ;   in Loop: Header=BB6_5851 Depth=2
	s_or_b64 exec, exec, s[18:19]
.LBB6_6389:                             ;   in Loop: Header=BB6_5851 Depth=2
	s_or_b64 exec, exec, s[90:91]
                                        ; implicit-def: $vgpr20
.LBB6_6390:                             ;   in Loop: Header=BB6_5851 Depth=2
	s_andn2_saveexec_b64 s[18:19], s[88:89]
; %bb.6391:                             ;   in Loop: Header=BB6_5851 Depth=2
	v_or_b32_e32 v26, 0x7e, v20
; %bb.6392:                             ;   in Loop: Header=BB6_5851 Depth=2
	s_or_b64 exec, exec, s[18:19]
                                        ; implicit-def: $vgpr14
.LBB6_6393:                             ;   in Loop: Header=BB6_5851 Depth=2
	s_andn2_saveexec_b64 s[18:19], s[78:79]
; %bb.6394:                             ;   in Loop: Header=BB6_5851 Depth=2
	v_or_b32_sdwa v26, v14, s50 dst_sel:DWORD dst_unused:UNUSED_PAD src0_sel:BYTE_3 src1_sel:DWORD
; %bb.6395:                             ;   in Loop: Header=BB6_5851 Depth=2
	s_or_b64 exec, exec, s[18:19]
	v_and_b32_e32 v2, 0xff, v22
	v_cmp_ne_u16_e32 vcc, 0, v2
	v_mov_b32_e32 v14, 0
	v_mov_b32_e32 v15, 0
	s_and_saveexec_b64 s[18:19], vcc
	s_cbranch_execz .LBB6_6401
; %bb.6396:                             ;   in Loop: Header=BB6_5851 Depth=2
	v_cmp_ne_u16_e32 vcc, s49, v2
	v_bfrev_b32_e32 v15, 1
	s_and_saveexec_b64 s[78:79], vcc
	s_cbranch_execz .LBB6_6400
; %bb.6397:                             ;   in Loop: Header=BB6_5851 Depth=2
	v_and_b32_e32 v16, 0x7f, v22
	v_cmp_ne_u32_e32 vcc, s50, v16
	v_mov_b32_e32 v15, 0x7f800001
	s_and_saveexec_b64 s[88:89], vcc
	s_cbranch_execz .LBB6_6399
; %bb.6398:                             ;   in Loop: Header=BB6_5851 Depth=2
	v_and_b32_e32 v20, 7, v2
	v_ffbh_u32_e32 v15, v20
	v_min_u32_e32 v23, 32, v15
	v_subrev_u32_e32 v15, 28, v23
	v_lshrrev_b32_e32 v21, 3, v16
	v_cmp_gt_u32_e32 vcc, 8, v16
	v_lshlrev_b64 v[15:16], v15, v[2:3]
	v_sub_u32_e32 v2, 29, v23
	v_and_b32_e32 v15, 7, v15
	v_cndmask_b32_e32 v2, v21, v2, vcc
	v_cndmask_b32_e32 v15, v20, v15, vcc
	v_lshlrev_b32_e32 v16, 24, v22
	v_lshlrev_b32_e32 v15, 20, v15
	v_and_b32_e32 v16, 0x80000000, v16
	v_lshl_add_u32 v2, v2, 23, v57
	v_or3_b32 v15, v16, v2, v15
.LBB6_6399:                             ;   in Loop: Header=BB6_5851 Depth=2
	s_or_b64 exec, exec, s[88:89]
.LBB6_6400:                             ;   in Loop: Header=BB6_5851 Depth=2
	s_or_b64 exec, exec, s[78:79]
.LBB6_6401:                             ;   in Loop: Header=BB6_5851 Depth=2
	s_or_b64 exec, exec, s[18:19]
	v_and_b32_e32 v2, 0xff, v9
	v_cmp_ne_u16_e32 vcc, 0, v2
	s_and_saveexec_b64 s[18:19], vcc
	s_cbranch_execz .LBB6_6407
; %bb.6402:                             ;   in Loop: Header=BB6_5851 Depth=2
	v_cmp_ne_u16_e32 vcc, s49, v2
	v_bfrev_b32_e32 v14, 1
	s_and_saveexec_b64 s[78:79], vcc
	s_cbranch_execz .LBB6_6406
; %bb.6403:                             ;   in Loop: Header=BB6_5851 Depth=2
	v_and_b32_e32 v16, 0x7f, v9
	v_cmp_ne_u32_e32 vcc, s50, v16
	v_mov_b32_e32 v14, 0x7f800001
	s_and_saveexec_b64 s[88:89], vcc
	s_cbranch_execz .LBB6_6405
; %bb.6404:                             ;   in Loop: Header=BB6_5851 Depth=2
	v_and_b32_e32 v14, 7, v2
	v_lshrrev_b32_e32 v22, 3, v16
	v_cmp_gt_u32_e32 vcc, 8, v16
	v_ffbh_u32_e32 v16, v14
	v_min_u32_e32 v16, 32, v16
	v_subrev_u32_e32 v20, 28, v16
	v_lshlrev_b64 v[20:21], v20, v[2:3]
	v_sub_u32_e32 v2, 29, v16
	v_and_b32_e32 v16, 7, v20
	v_cndmask_b32_e32 v2, v22, v2, vcc
	v_cndmask_b32_e32 v14, v14, v16, vcc
	v_lshlrev_b32_e32 v9, 24, v9
	v_lshlrev_b32_e32 v14, 20, v14
	v_and_b32_e32 v9, 0x80000000, v9
	v_lshl_add_u32 v2, v2, 23, v57
	v_or3_b32 v14, v9, v2, v14
.LBB6_6405:                             ;   in Loop: Header=BB6_5851 Depth=2
	s_or_b64 exec, exec, s[88:89]
.LBB6_6406:                             ;   in Loop: Header=BB6_5851 Depth=2
	s_or_b64 exec, exec, s[78:79]
.LBB6_6407:                             ;   in Loop: Header=BB6_5851 Depth=2
	s_or_b64 exec, exec, s[18:19]
	v_add_f32_e32 v14, v15, v14
	v_and_b32_e32 v2, 0x7f800000, v14
	v_cmp_ne_u64_e32 vcc, s[46:47], v[2:3]
                                        ; implicit-def: $vgpr9
	s_and_saveexec_b64 s[18:19], vcc
	s_xor_b64 s[78:79], exec, s[18:19]
	s_cbranch_execz .LBB6_6425
; %bb.6408:                             ;   in Loop: Header=BB6_5851 Depth=2
	v_and_b32_e32 v2, 0x7fffffff, v14
	v_cmp_gt_u64_e32 vcc, s[56:57], v[2:3]
	v_and_b32_sdwa v20, v14, s49 dst_sel:DWORD dst_unused:UNUSED_PAD src0_sel:BYTE_3 src1_sel:DWORD
                                        ; implicit-def: $vgpr9
	s_and_saveexec_b64 s[18:19], vcc
	s_xor_b64 s[88:89], exec, s[18:19]
	s_cbranch_execz .LBB6_6422
; %bb.6409:                             ;   in Loop: Header=BB6_5851 Depth=2
	v_cmp_ne_u32_e32 vcc, 0, v14
	v_mov_b32_e32 v9, 0
	s_and_saveexec_b64 s[90:91], vcc
	s_cbranch_execz .LBB6_6421
; %bb.6410:                             ;   in Loop: Header=BB6_5851 Depth=2
	v_bfe_u32 v9, v14, 23, 8
	v_and_b32_e32 v2, 0x7fffff, v14
	v_cmp_gt_u32_e64 s[18:19], s51, v9
	v_sub_u32_e32 v14, 0x79, v9
	v_cmp_eq_u32_e32 vcc, 0, v9
	v_cndmask_b32_e64 v14, 0, v14, s[18:19]
	v_mov_b32_e32 v16, 0x78
	v_cndmask_b32_e32 v21, v14, v16, vcc
	v_or_b32_e32 v15, 0x800000, v2
	v_add_u32_e32 v14, 20, v21
	v_cndmask_b32_e32 v2, v15, v2, vcc
	v_lshlrev_b64 v[14:15], v14, -1
	v_add_u32_e32 v16, 19, v21
	v_lshlrev_b64 v[22:23], v16, 1
	v_bfi_b32 v15, v15, 0, 0
	v_bfi_b32 v14, v14, 0, v2
	v_cmp_eq_u64_e64 s[18:19], v[14:15], v[22:23]
	v_lshrrev_b64 v[14:15], v21, v[2:3]
	v_mov_b32_e32 v16, v15
	v_mov_b32_e32 v15, v14
	s_and_saveexec_b64 s[92:93], s[18:19]
; %bb.6411:                             ;   in Loop: Header=BB6_5851 Depth=2
	v_bfe_u32 v2, v14, 20, 1
	v_add_co_u32_e64 v2, s[18:19], v14, v2
	v_add_co_u32_e64 v15, s[18:19], -1, v2
; %bb.6412:                             ;   in Loop: Header=BB6_5851 Depth=2
	s_or_b64 exec, exec, s[92:93]
	v_add_u32_e32 v2, 0xffffff81, v9
	v_mov_b32_e32 v9, 0xffffff82
	v_cndmask_b32_e32 v2, v2, v9, vcc
	v_lshrrev_b32_e32 v9, 23, v14
	v_add3_u32 v21, v21, v2, v9
	v_add_u32_e32 v9, 6, v21
	v_and_b32_e32 v2, 0xfffff, v15
	v_add_u32_e32 v2, v2, v14
	v_cmp_ne_u32_e32 vcc, 0, v9
                                        ; implicit-def: $vgpr14_vgpr15
                                        ; implicit-def: $vgpr16
	s_and_saveexec_b64 s[18:19], vcc
	s_xor_b64 s[18:19], exec, s[18:19]
; %bb.6413:                             ;   in Loop: Header=BB6_5851 Depth=2
	v_cmp_lt_u64_e32 vcc, s[58:59], v[2:3]
	v_add_u32_e32 v14, 7, v21
	v_cndmask_b32_e32 v16, v9, v14, vcc
	v_cndmask_b32_e64 v9, 0, 1, vcc
	v_lshrrev_b64 v[14:15], v9, v[2:3]
; %bb.6414:                             ;   in Loop: Header=BB6_5851 Depth=2
	s_andn2_saveexec_b64 s[18:19], s[18:19]
; %bb.6415:                             ;   in Loop: Header=BB6_5851 Depth=2
	v_mov_b32_e32 v15, v3
	v_bfe_u32 v16, v2, 23, 1
	v_mov_b32_e32 v14, v2
; %bb.6416:                             ;   in Loop: Header=BB6_5851 Depth=2
	s_or_b64 exec, exec, s[18:19]
	v_lshrrev_b64 v[14:15], 20, v[14:15]
	v_cmp_gt_i32_e32 vcc, 16, v16
	v_cndmask_b32_e32 v15, 0, v15, vcc
	v_cndmask_b32_e32 v14, 7, v14, vcc
	v_cmp_ne_u64_e32 vcc, 0, v[14:15]
	v_cmp_ne_u32_e64 s[18:19], 0, v16
	s_or_b64 s[18:19], s[18:19], vcc
                                        ; implicit-def: $vgpr9
	s_and_saveexec_b64 s[92:93], s[18:19]
	s_xor_b64 s[18:19], exec, s[92:93]
; %bb.6417:                             ;   in Loop: Header=BB6_5851 Depth=2
	v_min_i32_e32 v2, 15, v16
	v_lshl_or_b32 v2, v2, 3, v20
	v_and_or_b32 v9, v14, 7, v2
                                        ; implicit-def: $vgpr20
; %bb.6418:                             ;   in Loop: Header=BB6_5851 Depth=2
	s_andn2_saveexec_b64 s[18:19], s[18:19]
; %bb.6419:                             ;   in Loop: Header=BB6_5851 Depth=2
	v_mov_b32_e32 v9, v20
; %bb.6420:                             ;   in Loop: Header=BB6_5851 Depth=2
	s_or_b64 exec, exec, s[18:19]
.LBB6_6421:                             ;   in Loop: Header=BB6_5851 Depth=2
	s_or_b64 exec, exec, s[90:91]
                                        ; implicit-def: $vgpr20
.LBB6_6422:                             ;   in Loop: Header=BB6_5851 Depth=2
	s_andn2_saveexec_b64 s[18:19], s[88:89]
; %bb.6423:                             ;   in Loop: Header=BB6_5851 Depth=2
	v_or_b32_e32 v9, 0x7e, v20
; %bb.6424:                             ;   in Loop: Header=BB6_5851 Depth=2
	s_or_b64 exec, exec, s[18:19]
                                        ; implicit-def: $vgpr14
.LBB6_6425:                             ;   in Loop: Header=BB6_5851 Depth=2
	s_andn2_saveexec_b64 s[18:19], s[78:79]
; %bb.6426:                             ;   in Loop: Header=BB6_5851 Depth=2
	v_or_b32_sdwa v9, v14, s50 dst_sel:DWORD dst_unused:UNUSED_PAD src0_sel:BYTE_3 src1_sel:DWORD
; %bb.6427:                             ;   in Loop: Header=BB6_5851 Depth=2
	s_or_b64 exec, exec, s[18:19]
	v_and_b32_e32 v2, 0xff, v7
	v_cmp_ne_u16_e32 vcc, 0, v2
	v_mov_b32_e32 v14, 0
	v_mov_b32_e32 v15, 0
	s_and_saveexec_b64 s[18:19], vcc
	s_cbranch_execz .LBB6_6433
; %bb.6428:                             ;   in Loop: Header=BB6_5851 Depth=2
	v_cmp_ne_u16_e32 vcc, s49, v2
	v_bfrev_b32_e32 v15, 1
	s_and_saveexec_b64 s[78:79], vcc
	s_cbranch_execz .LBB6_6432
; %bb.6429:                             ;   in Loop: Header=BB6_5851 Depth=2
	v_and_b32_e32 v16, 0x7f, v7
	v_cmp_ne_u32_e32 vcc, s50, v16
	v_mov_b32_e32 v15, 0x7f800001
	s_and_saveexec_b64 s[88:89], vcc
	s_cbranch_execz .LBB6_6431
; %bb.6430:                             ;   in Loop: Header=BB6_5851 Depth=2
	v_and_b32_e32 v20, 7, v2
	v_ffbh_u32_e32 v15, v20
	v_min_u32_e32 v22, 32, v15
	v_subrev_u32_e32 v15, 28, v22
	v_lshrrev_b32_e32 v21, 3, v16
	v_cmp_gt_u32_e32 vcc, 8, v16
	v_lshlrev_b64 v[15:16], v15, v[2:3]
	v_sub_u32_e32 v2, 29, v22
	v_and_b32_e32 v15, 7, v15
	v_cndmask_b32_e32 v2, v21, v2, vcc
	v_cndmask_b32_e32 v15, v20, v15, vcc
	v_lshlrev_b32_e32 v7, 24, v7
	v_lshlrev_b32_e32 v15, 20, v15
	v_and_b32_e32 v7, 0x80000000, v7
	v_lshl_add_u32 v2, v2, 23, v57
	v_or3_b32 v15, v7, v2, v15
.LBB6_6431:                             ;   in Loop: Header=BB6_5851 Depth=2
	s_or_b64 exec, exec, s[88:89]
.LBB6_6432:                             ;   in Loop: Header=BB6_5851 Depth=2
	s_or_b64 exec, exec, s[78:79]
.LBB6_6433:                             ;   in Loop: Header=BB6_5851 Depth=2
	s_or_b64 exec, exec, s[18:19]
	v_and_b32_e32 v2, 0xff, v6
	v_cmp_ne_u16_e32 vcc, 0, v2
	s_and_saveexec_b64 s[18:19], vcc
	s_cbranch_execz .LBB6_6439
; %bb.6434:                             ;   in Loop: Header=BB6_5851 Depth=2
	v_cmp_ne_u16_e32 vcc, s49, v2
	v_bfrev_b32_e32 v14, 1
	s_and_saveexec_b64 s[78:79], vcc
	s_cbranch_execz .LBB6_6438
; %bb.6435:                             ;   in Loop: Header=BB6_5851 Depth=2
	v_and_b32_e32 v7, 0x7f, v6
	v_cmp_ne_u32_e32 vcc, s50, v7
	v_mov_b32_e32 v14, 0x7f800001
	s_and_saveexec_b64 s[88:89], vcc
	s_cbranch_execz .LBB6_6437
; %bb.6436:                             ;   in Loop: Header=BB6_5851 Depth=2
	v_and_b32_e32 v14, 7, v2
	v_lshrrev_b32_e32 v16, 3, v7
	v_cmp_gt_u32_e32 vcc, 8, v7
	v_ffbh_u32_e32 v7, v14
	v_min_u32_e32 v7, 32, v7
	v_subrev_u32_e32 v20, 28, v7
	v_lshlrev_b64 v[20:21], v20, v[2:3]
	v_sub_u32_e32 v2, 29, v7
	v_and_b32_e32 v7, 7, v20
	v_cndmask_b32_e32 v2, v16, v2, vcc
	v_cndmask_b32_e32 v7, v14, v7, vcc
	v_lshlrev_b32_e32 v6, 24, v6
	v_lshlrev_b32_e32 v7, 20, v7
	v_and_b32_e32 v6, 0x80000000, v6
	v_lshl_add_u32 v2, v2, 23, v57
	v_or3_b32 v14, v6, v2, v7
.LBB6_6437:                             ;   in Loop: Header=BB6_5851 Depth=2
	s_or_b64 exec, exec, s[88:89]
.LBB6_6438:                             ;   in Loop: Header=BB6_5851 Depth=2
	s_or_b64 exec, exec, s[78:79]
.LBB6_6439:                             ;   in Loop: Header=BB6_5851 Depth=2
	s_or_b64 exec, exec, s[18:19]
	v_add_f32_e32 v14, v15, v14
	v_and_b32_e32 v2, 0x7f800000, v14
	v_cmp_ne_u64_e32 vcc, s[46:47], v[2:3]
                                        ; implicit-def: $vgpr6
	s_and_saveexec_b64 s[18:19], vcc
	s_xor_b64 s[78:79], exec, s[18:19]
	s_cbranch_execz .LBB6_6457
; %bb.6440:                             ;   in Loop: Header=BB6_5851 Depth=2
	v_and_b32_e32 v2, 0x7fffffff, v14
	v_cmp_gt_u64_e32 vcc, s[56:57], v[2:3]
	v_and_b32_sdwa v7, v14, s49 dst_sel:DWORD dst_unused:UNUSED_PAD src0_sel:BYTE_3 src1_sel:DWORD
                                        ; implicit-def: $vgpr6
	s_and_saveexec_b64 s[18:19], vcc
	s_xor_b64 s[88:89], exec, s[18:19]
	s_cbranch_execz .LBB6_6454
; %bb.6441:                             ;   in Loop: Header=BB6_5851 Depth=2
	v_cmp_ne_u32_e32 vcc, 0, v14
	v_mov_b32_e32 v6, 0
	s_and_saveexec_b64 s[90:91], vcc
	s_cbranch_execz .LBB6_6453
; %bb.6442:                             ;   in Loop: Header=BB6_5851 Depth=2
	v_bfe_u32 v6, v14, 23, 8
	v_and_b32_e32 v2, 0x7fffff, v14
	v_cmp_gt_u32_e64 s[18:19], s51, v6
	v_sub_u32_e32 v14, 0x79, v6
	v_cmp_eq_u32_e32 vcc, 0, v6
	v_cndmask_b32_e64 v14, 0, v14, s[18:19]
	v_mov_b32_e32 v16, 0x78
	v_cndmask_b32_e32 v20, v14, v16, vcc
	v_or_b32_e32 v15, 0x800000, v2
	v_add_u32_e32 v14, 20, v20
	v_cndmask_b32_e32 v2, v15, v2, vcc
	v_lshlrev_b64 v[14:15], v14, -1
	v_add_u32_e32 v16, 19, v20
	v_lshlrev_b64 v[21:22], v16, 1
	v_bfi_b32 v15, v15, 0, 0
	v_bfi_b32 v14, v14, 0, v2
	v_cmp_eq_u64_e64 s[18:19], v[14:15], v[21:22]
	v_lshrrev_b64 v[14:15], v20, v[2:3]
	v_mov_b32_e32 v16, v15
	v_mov_b32_e32 v15, v14
	s_and_saveexec_b64 s[92:93], s[18:19]
; %bb.6443:                             ;   in Loop: Header=BB6_5851 Depth=2
	v_bfe_u32 v2, v14, 20, 1
	v_add_co_u32_e64 v2, s[18:19], v14, v2
	v_add_co_u32_e64 v15, s[18:19], -1, v2
; %bb.6444:                             ;   in Loop: Header=BB6_5851 Depth=2
	s_or_b64 exec, exec, s[92:93]
	v_add_u32_e32 v2, 0xffffff81, v6
	v_mov_b32_e32 v6, 0xffffff82
	v_cndmask_b32_e32 v2, v2, v6, vcc
	v_lshrrev_b32_e32 v6, 23, v14
	v_add3_u32 v20, v20, v2, v6
	v_add_u32_e32 v6, 6, v20
	v_and_b32_e32 v2, 0xfffff, v15
	v_add_u32_e32 v2, v2, v14
	v_cmp_ne_u32_e32 vcc, 0, v6
                                        ; implicit-def: $vgpr14_vgpr15
                                        ; implicit-def: $vgpr16
	s_and_saveexec_b64 s[18:19], vcc
	s_xor_b64 s[18:19], exec, s[18:19]
; %bb.6445:                             ;   in Loop: Header=BB6_5851 Depth=2
	v_cmp_lt_u64_e32 vcc, s[58:59], v[2:3]
	v_add_u32_e32 v14, 7, v20
	v_cndmask_b32_e32 v16, v6, v14, vcc
	v_cndmask_b32_e64 v6, 0, 1, vcc
	v_lshrrev_b64 v[14:15], v6, v[2:3]
; %bb.6446:                             ;   in Loop: Header=BB6_5851 Depth=2
	s_andn2_saveexec_b64 s[18:19], s[18:19]
; %bb.6447:                             ;   in Loop: Header=BB6_5851 Depth=2
	v_mov_b32_e32 v15, v3
	v_bfe_u32 v16, v2, 23, 1
	v_mov_b32_e32 v14, v2
; %bb.6448:                             ;   in Loop: Header=BB6_5851 Depth=2
	s_or_b64 exec, exec, s[18:19]
	v_lshrrev_b64 v[14:15], 20, v[14:15]
	v_cmp_gt_i32_e32 vcc, 16, v16
	v_cndmask_b32_e32 v15, 0, v15, vcc
	v_cndmask_b32_e32 v14, 7, v14, vcc
	v_cmp_ne_u64_e32 vcc, 0, v[14:15]
	v_cmp_ne_u32_e64 s[18:19], 0, v16
	s_or_b64 s[18:19], s[18:19], vcc
                                        ; implicit-def: $vgpr6
	s_and_saveexec_b64 s[92:93], s[18:19]
	s_xor_b64 s[18:19], exec, s[92:93]
; %bb.6449:                             ;   in Loop: Header=BB6_5851 Depth=2
	v_min_i32_e32 v2, 15, v16
	v_lshl_or_b32 v2, v2, 3, v7
	v_and_or_b32 v6, v14, 7, v2
                                        ; implicit-def: $vgpr7
; %bb.6450:                             ;   in Loop: Header=BB6_5851 Depth=2
	s_andn2_saveexec_b64 s[18:19], s[18:19]
; %bb.6451:                             ;   in Loop: Header=BB6_5851 Depth=2
	v_mov_b32_e32 v6, v7
; %bb.6452:                             ;   in Loop: Header=BB6_5851 Depth=2
	s_or_b64 exec, exec, s[18:19]
.LBB6_6453:                             ;   in Loop: Header=BB6_5851 Depth=2
	s_or_b64 exec, exec, s[90:91]
                                        ; implicit-def: $vgpr7
.LBB6_6454:                             ;   in Loop: Header=BB6_5851 Depth=2
	s_andn2_saveexec_b64 s[18:19], s[88:89]
; %bb.6455:                             ;   in Loop: Header=BB6_5851 Depth=2
	v_or_b32_e32 v6, 0x7e, v7
; %bb.6456:                             ;   in Loop: Header=BB6_5851 Depth=2
	s_or_b64 exec, exec, s[18:19]
                                        ; implicit-def: $vgpr14
.LBB6_6457:                             ;   in Loop: Header=BB6_5851 Depth=2
	s_andn2_saveexec_b64 s[18:19], s[78:79]
; %bb.6458:                             ;   in Loop: Header=BB6_5851 Depth=2
	v_or_b32_sdwa v6, v14, s50 dst_sel:DWORD dst_unused:UNUSED_PAD src0_sel:BYTE_3 src1_sel:DWORD
; %bb.6459:                             ;   in Loop: Header=BB6_5851 Depth=2
	s_or_b64 exec, exec, s[18:19]
	v_and_b32_e32 v2, 0xff, v56
	v_cmp_ne_u16_e32 vcc, 0, v2
	v_mov_b32_e32 v7, 0
	v_mov_b32_e32 v14, 0
	s_and_saveexec_b64 s[18:19], vcc
	s_cbranch_execz .LBB6_6465
; %bb.6460:                             ;   in Loop: Header=BB6_5851 Depth=2
	v_cmp_ne_u16_e32 vcc, s49, v2
	v_bfrev_b32_e32 v14, 1
	s_and_saveexec_b64 s[78:79], vcc
	s_cbranch_execz .LBB6_6464
; %bb.6461:                             ;   in Loop: Header=BB6_5851 Depth=2
	v_and_b32_e32 v15, 0x7f, v56
	v_cmp_ne_u32_e32 vcc, s50, v15
	v_mov_b32_e32 v14, 0x7f800001
	s_and_saveexec_b64 s[88:89], vcc
	s_cbranch_execz .LBB6_6463
; %bb.6462:                             ;   in Loop: Header=BB6_5851 Depth=2
	v_and_b32_e32 v16, 7, v2
	v_ffbh_u32_e32 v14, v16
	v_min_u32_e32 v21, 32, v14
	v_subrev_u32_e32 v14, 28, v21
	v_lshrrev_b32_e32 v20, 3, v15
	v_cmp_gt_u32_e32 vcc, 8, v15
	v_lshlrev_b64 v[14:15], v14, v[2:3]
	v_sub_u32_e32 v2, 29, v21
	v_and_b32_e32 v14, 7, v14
	v_cndmask_b32_e32 v2, v20, v2, vcc
	v_cndmask_b32_e32 v14, v16, v14, vcc
	v_lshlrev_b32_e32 v15, 24, v56
	v_lshlrev_b32_e32 v14, 20, v14
	v_and_b32_e32 v15, 0x80000000, v15
	v_lshl_add_u32 v2, v2, 23, v57
	v_or3_b32 v14, v15, v2, v14
.LBB6_6463:                             ;   in Loop: Header=BB6_5851 Depth=2
	s_or_b64 exec, exec, s[88:89]
.LBB6_6464:                             ;   in Loop: Header=BB6_5851 Depth=2
	s_or_b64 exec, exec, s[78:79]
.LBB6_6465:                             ;   in Loop: Header=BB6_5851 Depth=2
	s_or_b64 exec, exec, s[18:19]
	v_and_b32_e32 v2, 0xff, v55
	v_cmp_ne_u16_e32 vcc, 0, v2
	s_and_saveexec_b64 s[18:19], vcc
	s_cbranch_execz .LBB6_6471
; %bb.6466:                             ;   in Loop: Header=BB6_5851 Depth=2
	v_cmp_ne_u16_e32 vcc, s49, v2
	v_bfrev_b32_e32 v7, 1
	s_and_saveexec_b64 s[78:79], vcc
	s_cbranch_execz .LBB6_6470
; %bb.6467:                             ;   in Loop: Header=BB6_5851 Depth=2
	v_and_b32_e32 v15, 0x7f, v55
	v_cmp_ne_u32_e32 vcc, s50, v15
	v_mov_b32_e32 v7, 0x7f800001
	s_and_saveexec_b64 s[88:89], vcc
	s_cbranch_execz .LBB6_6469
; %bb.6468:                             ;   in Loop: Header=BB6_5851 Depth=2
	v_and_b32_e32 v7, 7, v2
	v_lshrrev_b32_e32 v20, 3, v15
	v_cmp_gt_u32_e32 vcc, 8, v15
	v_ffbh_u32_e32 v15, v7
	v_min_u32_e32 v21, 32, v15
	v_subrev_u32_e32 v15, 28, v21
	v_lshlrev_b64 v[15:16], v15, v[2:3]
	v_sub_u32_e32 v2, 29, v21
	v_and_b32_e32 v15, 7, v15
	v_cndmask_b32_e32 v2, v20, v2, vcc
	v_cndmask_b32_e32 v7, v7, v15, vcc
	v_lshlrev_b32_e32 v15, 24, v55
	v_lshlrev_b32_e32 v7, 20, v7
	v_and_b32_e32 v15, 0x80000000, v15
	v_lshl_add_u32 v2, v2, 23, v57
	v_or3_b32 v7, v15, v2, v7
.LBB6_6469:                             ;   in Loop: Header=BB6_5851 Depth=2
	s_or_b64 exec, exec, s[88:89]
.LBB6_6470:                             ;   in Loop: Header=BB6_5851 Depth=2
	s_or_b64 exec, exec, s[78:79]
.LBB6_6471:                             ;   in Loop: Header=BB6_5851 Depth=2
	s_or_b64 exec, exec, s[18:19]
	v_add_f32_e32 v14, v14, v7
	v_and_b32_e32 v2, 0x7f800000, v14
	v_cmp_ne_u64_e32 vcc, s[46:47], v[2:3]
                                        ; implicit-def: $vgpr7
	s_and_saveexec_b64 s[18:19], vcc
	s_xor_b64 s[78:79], exec, s[18:19]
	s_cbranch_execz .LBB6_6489
; %bb.6472:                             ;   in Loop: Header=BB6_5851 Depth=2
	v_and_b32_e32 v2, 0x7fffffff, v14
	v_cmp_gt_u64_e32 vcc, s[56:57], v[2:3]
	v_and_b32_sdwa v20, v14, s49 dst_sel:DWORD dst_unused:UNUSED_PAD src0_sel:BYTE_3 src1_sel:DWORD
                                        ; implicit-def: $vgpr7
	s_and_saveexec_b64 s[18:19], vcc
	s_xor_b64 s[88:89], exec, s[18:19]
	s_cbranch_execz .LBB6_6486
; %bb.6473:                             ;   in Loop: Header=BB6_5851 Depth=2
	v_cmp_ne_u32_e32 vcc, 0, v14
	v_mov_b32_e32 v7, 0
	s_and_saveexec_b64 s[90:91], vcc
	s_cbranch_execz .LBB6_6485
; %bb.6474:                             ;   in Loop: Header=BB6_5851 Depth=2
	v_bfe_u32 v7, v14, 23, 8
	v_and_b32_e32 v2, 0x7fffff, v14
	v_cmp_gt_u32_e64 s[18:19], s51, v7
	v_sub_u32_e32 v14, 0x79, v7
	v_cmp_eq_u32_e32 vcc, 0, v7
	v_cndmask_b32_e64 v14, 0, v14, s[18:19]
	v_mov_b32_e32 v16, 0x78
	v_cndmask_b32_e32 v21, v14, v16, vcc
	v_or_b32_e32 v15, 0x800000, v2
	v_add_u32_e32 v14, 20, v21
	v_cndmask_b32_e32 v2, v15, v2, vcc
	v_lshlrev_b64 v[14:15], v14, -1
	v_add_u32_e32 v16, 19, v21
	v_lshlrev_b64 v[22:23], v16, 1
	v_bfi_b32 v15, v15, 0, 0
	v_bfi_b32 v14, v14, 0, v2
	v_cmp_eq_u64_e64 s[18:19], v[14:15], v[22:23]
	v_lshrrev_b64 v[14:15], v21, v[2:3]
	v_mov_b32_e32 v16, v15
	v_mov_b32_e32 v15, v14
	s_and_saveexec_b64 s[92:93], s[18:19]
; %bb.6475:                             ;   in Loop: Header=BB6_5851 Depth=2
	v_bfe_u32 v2, v14, 20, 1
	v_add_co_u32_e64 v2, s[18:19], v14, v2
	v_add_co_u32_e64 v15, s[18:19], -1, v2
; %bb.6476:                             ;   in Loop: Header=BB6_5851 Depth=2
	s_or_b64 exec, exec, s[92:93]
	v_add_u32_e32 v2, 0xffffff81, v7
	v_mov_b32_e32 v7, 0xffffff82
	v_cndmask_b32_e32 v2, v2, v7, vcc
	v_lshrrev_b32_e32 v7, 23, v14
	v_add3_u32 v21, v21, v2, v7
	v_add_u32_e32 v7, 6, v21
	v_and_b32_e32 v2, 0xfffff, v15
	v_add_u32_e32 v2, v2, v14
	v_cmp_ne_u32_e32 vcc, 0, v7
                                        ; implicit-def: $vgpr14_vgpr15
                                        ; implicit-def: $vgpr16
	s_and_saveexec_b64 s[18:19], vcc
	s_xor_b64 s[18:19], exec, s[18:19]
; %bb.6477:                             ;   in Loop: Header=BB6_5851 Depth=2
	v_cmp_lt_u64_e32 vcc, s[58:59], v[2:3]
	v_add_u32_e32 v14, 7, v21
	v_cndmask_b32_e32 v16, v7, v14, vcc
	v_cndmask_b32_e64 v7, 0, 1, vcc
	v_lshrrev_b64 v[14:15], v7, v[2:3]
; %bb.6478:                             ;   in Loop: Header=BB6_5851 Depth=2
	s_andn2_saveexec_b64 s[18:19], s[18:19]
; %bb.6479:                             ;   in Loop: Header=BB6_5851 Depth=2
	v_mov_b32_e32 v15, v3
	v_bfe_u32 v16, v2, 23, 1
	v_mov_b32_e32 v14, v2
; %bb.6480:                             ;   in Loop: Header=BB6_5851 Depth=2
	s_or_b64 exec, exec, s[18:19]
	v_lshrrev_b64 v[14:15], 20, v[14:15]
	v_cmp_gt_i32_e32 vcc, 16, v16
	v_cndmask_b32_e32 v15, 0, v15, vcc
	v_cndmask_b32_e32 v14, 7, v14, vcc
	v_cmp_ne_u64_e32 vcc, 0, v[14:15]
	v_cmp_ne_u32_e64 s[18:19], 0, v16
	s_or_b64 s[18:19], s[18:19], vcc
                                        ; implicit-def: $vgpr7
	s_and_saveexec_b64 s[92:93], s[18:19]
	s_xor_b64 s[18:19], exec, s[92:93]
; %bb.6481:                             ;   in Loop: Header=BB6_5851 Depth=2
	v_min_i32_e32 v2, 15, v16
	v_lshl_or_b32 v2, v2, 3, v20
	v_and_or_b32 v7, v14, 7, v2
                                        ; implicit-def: $vgpr20
; %bb.6482:                             ;   in Loop: Header=BB6_5851 Depth=2
	s_andn2_saveexec_b64 s[18:19], s[18:19]
; %bb.6483:                             ;   in Loop: Header=BB6_5851 Depth=2
	v_mov_b32_e32 v7, v20
; %bb.6484:                             ;   in Loop: Header=BB6_5851 Depth=2
	s_or_b64 exec, exec, s[18:19]
.LBB6_6485:                             ;   in Loop: Header=BB6_5851 Depth=2
	s_or_b64 exec, exec, s[90:91]
                                        ; implicit-def: $vgpr20
.LBB6_6486:                             ;   in Loop: Header=BB6_5851 Depth=2
	s_andn2_saveexec_b64 s[18:19], s[88:89]
; %bb.6487:                             ;   in Loop: Header=BB6_5851 Depth=2
	v_or_b32_e32 v7, 0x7e, v20
; %bb.6488:                             ;   in Loop: Header=BB6_5851 Depth=2
	s_or_b64 exec, exec, s[18:19]
                                        ; implicit-def: $vgpr14
.LBB6_6489:                             ;   in Loop: Header=BB6_5851 Depth=2
	s_andn2_saveexec_b64 s[18:19], s[78:79]
; %bb.6490:                             ;   in Loop: Header=BB6_5851 Depth=2
	v_or_b32_sdwa v7, v14, s50 dst_sel:DWORD dst_unused:UNUSED_PAD src0_sel:BYTE_3 src1_sel:DWORD
; %bb.6491:                             ;   in Loop: Header=BB6_5851 Depth=2
	s_or_b64 exec, exec, s[18:19]
	v_and_b32_e32 v2, 0xff, v17
	v_cmp_ne_u16_e32 vcc, 0, v2
	v_mov_b32_e32 v14, 0
	v_mov_b32_e32 v15, 0
	s_and_saveexec_b64 s[18:19], vcc
	s_cbranch_execz .LBB6_6497
; %bb.6492:                             ;   in Loop: Header=BB6_5851 Depth=2
	v_cmp_ne_u16_e32 vcc, s49, v2
	v_bfrev_b32_e32 v15, 1
	s_and_saveexec_b64 s[78:79], vcc
	s_cbranch_execz .LBB6_6496
; %bb.6493:                             ;   in Loop: Header=BB6_5851 Depth=2
	v_and_b32_e32 v16, 0x7f, v17
	v_cmp_ne_u32_e32 vcc, s50, v16
	v_mov_b32_e32 v15, 0x7f800001
	s_and_saveexec_b64 s[88:89], vcc
	s_cbranch_execz .LBB6_6495
; %bb.6494:                             ;   in Loop: Header=BB6_5851 Depth=2
	v_and_b32_e32 v20, 7, v2
	v_ffbh_u32_e32 v15, v20
	v_min_u32_e32 v22, 32, v15
	v_subrev_u32_e32 v15, 28, v22
	v_lshrrev_b32_e32 v21, 3, v16
	v_cmp_gt_u32_e32 vcc, 8, v16
	v_lshlrev_b64 v[15:16], v15, v[2:3]
	v_sub_u32_e32 v2, 29, v22
	v_and_b32_e32 v15, 7, v15
	v_cndmask_b32_e32 v2, v21, v2, vcc
	v_cndmask_b32_e32 v15, v20, v15, vcc
	v_lshlrev_b32_e32 v16, 24, v17
	v_lshlrev_b32_e32 v15, 20, v15
	v_and_b32_e32 v16, 0x80000000, v16
	v_lshl_add_u32 v2, v2, 23, v57
	v_or3_b32 v15, v16, v2, v15
.LBB6_6495:                             ;   in Loop: Header=BB6_5851 Depth=2
	s_or_b64 exec, exec, s[88:89]
.LBB6_6496:                             ;   in Loop: Header=BB6_5851 Depth=2
	s_or_b64 exec, exec, s[78:79]
.LBB6_6497:                             ;   in Loop: Header=BB6_5851 Depth=2
	s_or_b64 exec, exec, s[18:19]
	v_and_b32_e32 v2, 0xff, v4
	v_cmp_ne_u16_e32 vcc, 0, v2
	s_and_saveexec_b64 s[18:19], vcc
	s_cbranch_execz .LBB6_6503
; %bb.6498:                             ;   in Loop: Header=BB6_5851 Depth=2
	v_cmp_ne_u16_e32 vcc, s49, v2
	v_bfrev_b32_e32 v14, 1
	s_and_saveexec_b64 s[78:79], vcc
	s_cbranch_execz .LBB6_6502
; %bb.6499:                             ;   in Loop: Header=BB6_5851 Depth=2
	v_and_b32_e32 v16, 0x7f, v4
	v_cmp_ne_u32_e32 vcc, s50, v16
	v_mov_b32_e32 v14, 0x7f800001
	s_and_saveexec_b64 s[88:89], vcc
	s_cbranch_execz .LBB6_6501
; %bb.6500:                             ;   in Loop: Header=BB6_5851 Depth=2
	v_and_b32_e32 v14, 7, v2
	v_lshrrev_b32_e32 v20, 3, v16
	v_cmp_gt_u32_e32 vcc, 8, v16
	v_ffbh_u32_e32 v16, v14
	v_min_u32_e32 v21, 32, v16
	v_subrev_u32_e32 v16, 28, v21
	v_lshlrev_b64 v[16:17], v16, v[2:3]
	v_sub_u32_e32 v2, 29, v21
	v_and_b32_e32 v16, 7, v16
	v_cndmask_b32_e32 v2, v20, v2, vcc
	v_cndmask_b32_e32 v14, v14, v16, vcc
	v_lshlrev_b32_e32 v4, 24, v4
	v_lshlrev_b32_e32 v14, 20, v14
	v_and_b32_e32 v4, 0x80000000, v4
	v_lshl_add_u32 v2, v2, 23, v57
	v_or3_b32 v14, v4, v2, v14
.LBB6_6501:                             ;   in Loop: Header=BB6_5851 Depth=2
	s_or_b64 exec, exec, s[88:89]
.LBB6_6502:                             ;   in Loop: Header=BB6_5851 Depth=2
	s_or_b64 exec, exec, s[78:79]
.LBB6_6503:                             ;   in Loop: Header=BB6_5851 Depth=2
	s_or_b64 exec, exec, s[18:19]
	v_add_f32_e32 v14, v15, v14
	v_and_b32_e32 v2, 0x7f800000, v14
	v_cmp_ne_u64_e32 vcc, s[46:47], v[2:3]
                                        ; implicit-def: $vgpr4
	s_and_saveexec_b64 s[18:19], vcc
	s_xor_b64 s[78:79], exec, s[18:19]
	s_cbranch_execz .LBB6_6521
; %bb.6504:                             ;   in Loop: Header=BB6_5851 Depth=2
	v_and_b32_e32 v2, 0x7fffffff, v14
	v_cmp_gt_u64_e32 vcc, s[56:57], v[2:3]
	v_and_b32_sdwa v17, v14, s49 dst_sel:DWORD dst_unused:UNUSED_PAD src0_sel:BYTE_3 src1_sel:DWORD
                                        ; implicit-def: $vgpr4
	s_and_saveexec_b64 s[18:19], vcc
	s_xor_b64 s[88:89], exec, s[18:19]
	s_cbranch_execz .LBB6_6518
; %bb.6505:                             ;   in Loop: Header=BB6_5851 Depth=2
	v_cmp_ne_u32_e32 vcc, 0, v14
	v_mov_b32_e32 v4, 0
	s_and_saveexec_b64 s[90:91], vcc
	s_cbranch_execz .LBB6_6517
; %bb.6506:                             ;   in Loop: Header=BB6_5851 Depth=2
	v_bfe_u32 v4, v14, 23, 8
	v_and_b32_e32 v2, 0x7fffff, v14
	v_cmp_gt_u32_e64 s[18:19], s51, v4
	v_sub_u32_e32 v14, 0x79, v4
	v_cmp_eq_u32_e32 vcc, 0, v4
	v_cndmask_b32_e64 v14, 0, v14, s[18:19]
	v_mov_b32_e32 v16, 0x78
	v_cndmask_b32_e32 v20, v14, v16, vcc
	v_or_b32_e32 v15, 0x800000, v2
	v_add_u32_e32 v14, 20, v20
	v_cndmask_b32_e32 v2, v15, v2, vcc
	v_lshlrev_b64 v[14:15], v14, -1
	v_add_u32_e32 v16, 19, v20
	v_lshlrev_b64 v[21:22], v16, 1
	v_bfi_b32 v15, v15, 0, 0
	v_bfi_b32 v14, v14, 0, v2
	v_cmp_eq_u64_e64 s[18:19], v[14:15], v[21:22]
	v_lshrrev_b64 v[14:15], v20, v[2:3]
	v_mov_b32_e32 v16, v15
	v_mov_b32_e32 v15, v14
	s_and_saveexec_b64 s[92:93], s[18:19]
; %bb.6507:                             ;   in Loop: Header=BB6_5851 Depth=2
	v_bfe_u32 v2, v14, 20, 1
	v_add_co_u32_e64 v2, s[18:19], v14, v2
	v_add_co_u32_e64 v15, s[18:19], -1, v2
; %bb.6508:                             ;   in Loop: Header=BB6_5851 Depth=2
	s_or_b64 exec, exec, s[92:93]
	v_add_u32_e32 v2, 0xffffff81, v4
	v_mov_b32_e32 v4, 0xffffff82
	v_cndmask_b32_e32 v2, v2, v4, vcc
	v_lshrrev_b32_e32 v4, 23, v14
	v_add3_u32 v20, v20, v2, v4
	v_add_u32_e32 v4, 6, v20
	v_and_b32_e32 v2, 0xfffff, v15
	v_add_u32_e32 v2, v2, v14
	v_cmp_ne_u32_e32 vcc, 0, v4
                                        ; implicit-def: $vgpr14_vgpr15
                                        ; implicit-def: $vgpr16
	s_and_saveexec_b64 s[18:19], vcc
	s_xor_b64 s[18:19], exec, s[18:19]
; %bb.6509:                             ;   in Loop: Header=BB6_5851 Depth=2
	v_cmp_lt_u64_e32 vcc, s[58:59], v[2:3]
	v_add_u32_e32 v14, 7, v20
	v_cndmask_b32_e32 v16, v4, v14, vcc
	v_cndmask_b32_e64 v4, 0, 1, vcc
	v_lshrrev_b64 v[14:15], v4, v[2:3]
; %bb.6510:                             ;   in Loop: Header=BB6_5851 Depth=2
	s_andn2_saveexec_b64 s[18:19], s[18:19]
; %bb.6511:                             ;   in Loop: Header=BB6_5851 Depth=2
	v_mov_b32_e32 v15, v3
	v_bfe_u32 v16, v2, 23, 1
	v_mov_b32_e32 v14, v2
; %bb.6512:                             ;   in Loop: Header=BB6_5851 Depth=2
	s_or_b64 exec, exec, s[18:19]
	v_lshrrev_b64 v[14:15], 20, v[14:15]
	v_cmp_gt_i32_e32 vcc, 16, v16
	v_cndmask_b32_e32 v15, 0, v15, vcc
	v_cndmask_b32_e32 v14, 7, v14, vcc
	v_cmp_ne_u64_e32 vcc, 0, v[14:15]
	v_cmp_ne_u32_e64 s[18:19], 0, v16
	s_or_b64 s[18:19], s[18:19], vcc
                                        ; implicit-def: $vgpr4
	s_and_saveexec_b64 s[92:93], s[18:19]
	s_xor_b64 s[18:19], exec, s[92:93]
; %bb.6513:                             ;   in Loop: Header=BB6_5851 Depth=2
	v_min_i32_e32 v2, 15, v16
	v_lshl_or_b32 v2, v2, 3, v17
	v_and_or_b32 v4, v14, 7, v2
                                        ; implicit-def: $vgpr17
; %bb.6514:                             ;   in Loop: Header=BB6_5851 Depth=2
	s_andn2_saveexec_b64 s[18:19], s[18:19]
; %bb.6515:                             ;   in Loop: Header=BB6_5851 Depth=2
	v_mov_b32_e32 v4, v17
; %bb.6516:                             ;   in Loop: Header=BB6_5851 Depth=2
	s_or_b64 exec, exec, s[18:19]
.LBB6_6517:                             ;   in Loop: Header=BB6_5851 Depth=2
	s_or_b64 exec, exec, s[90:91]
                                        ; implicit-def: $vgpr17
.LBB6_6518:                             ;   in Loop: Header=BB6_5851 Depth=2
	s_andn2_saveexec_b64 s[18:19], s[88:89]
; %bb.6519:                             ;   in Loop: Header=BB6_5851 Depth=2
	v_or_b32_e32 v4, 0x7e, v17
; %bb.6520:                             ;   in Loop: Header=BB6_5851 Depth=2
	s_or_b64 exec, exec, s[18:19]
                                        ; implicit-def: $vgpr14
.LBB6_6521:                             ;   in Loop: Header=BB6_5851 Depth=2
	s_andn2_saveexec_b64 s[18:19], s[78:79]
; %bb.6522:                             ;   in Loop: Header=BB6_5851 Depth=2
	v_or_b32_sdwa v4, v14, s50 dst_sel:DWORD dst_unused:UNUSED_PAD src0_sel:BYTE_3 src1_sel:DWORD
; %bb.6523:                             ;   in Loop: Header=BB6_5851 Depth=2
	s_or_b64 exec, exec, s[18:19]
	v_and_b32_e32 v2, 0xff, v62
	v_cmp_ne_u16_e32 vcc, 0, v2
	v_mov_b32_e32 v14, 0
	v_mov_b32_e32 v15, 0
	s_and_saveexec_b64 s[18:19], vcc
	s_cbranch_execz .LBB6_6529
; %bb.6524:                             ;   in Loop: Header=BB6_5851 Depth=2
	v_cmp_ne_u16_e32 vcc, s49, v2
	v_bfrev_b32_e32 v15, 1
	s_and_saveexec_b64 s[78:79], vcc
	s_cbranch_execz .LBB6_6528
; %bb.6525:                             ;   in Loop: Header=BB6_5851 Depth=2
	v_and_b32_e32 v16, 0x7f, v62
	v_cmp_ne_u32_e32 vcc, s50, v16
	v_mov_b32_e32 v15, 0x7f800001
	s_and_saveexec_b64 s[88:89], vcc
	s_cbranch_execz .LBB6_6527
; %bb.6526:                             ;   in Loop: Header=BB6_5851 Depth=2
	v_and_b32_e32 v17, 7, v2
	v_ffbh_u32_e32 v15, v17
	v_min_u32_e32 v21, 32, v15
	v_subrev_u32_e32 v15, 28, v21
	v_lshrrev_b32_e32 v20, 3, v16
	v_cmp_gt_u32_e32 vcc, 8, v16
	v_lshlrev_b64 v[15:16], v15, v[2:3]
	v_sub_u32_e32 v2, 29, v21
	v_and_b32_e32 v15, 7, v15
	v_cndmask_b32_e32 v2, v20, v2, vcc
	v_cndmask_b32_e32 v15, v17, v15, vcc
	v_lshlrev_b32_e32 v16, 24, v62
	v_lshlrev_b32_e32 v15, 20, v15
	v_and_b32_e32 v16, 0x80000000, v16
	v_lshl_add_u32 v2, v2, 23, v57
	v_or3_b32 v15, v16, v2, v15
.LBB6_6527:                             ;   in Loop: Header=BB6_5851 Depth=2
	s_or_b64 exec, exec, s[88:89]
.LBB6_6528:                             ;   in Loop: Header=BB6_5851 Depth=2
	s_or_b64 exec, exec, s[78:79]
.LBB6_6529:                             ;   in Loop: Header=BB6_5851 Depth=2
	s_or_b64 exec, exec, s[18:19]
	v_and_b32_e32 v2, 0xff, v61
	v_cmp_ne_u16_e32 vcc, 0, v2
	s_and_saveexec_b64 s[18:19], vcc
	s_cbranch_execz .LBB6_6535
; %bb.6530:                             ;   in Loop: Header=BB6_5851 Depth=2
	v_cmp_ne_u16_e32 vcc, s49, v2
	v_bfrev_b32_e32 v14, 1
	s_and_saveexec_b64 s[78:79], vcc
	s_cbranch_execz .LBB6_6534
; %bb.6531:                             ;   in Loop: Header=BB6_5851 Depth=2
	v_and_b32_e32 v16, 0x7f, v61
	v_cmp_ne_u32_e32 vcc, s50, v16
	v_mov_b32_e32 v14, 0x7f800001
	s_and_saveexec_b64 s[88:89], vcc
	s_cbranch_execz .LBB6_6533
; %bb.6532:                             ;   in Loop: Header=BB6_5851 Depth=2
	v_and_b32_e32 v14, 7, v2
	v_lshrrev_b32_e32 v20, 3, v16
	v_cmp_gt_u32_e32 vcc, 8, v16
	v_ffbh_u32_e32 v16, v14
	v_min_u32_e32 v21, 32, v16
	v_subrev_u32_e32 v16, 28, v21
	v_lshlrev_b64 v[16:17], v16, v[2:3]
	v_sub_u32_e32 v2, 29, v21
	v_and_b32_e32 v16, 7, v16
	v_cndmask_b32_e32 v2, v20, v2, vcc
	v_cndmask_b32_e32 v14, v14, v16, vcc
	v_lshlrev_b32_e32 v16, 24, v61
	v_lshlrev_b32_e32 v14, 20, v14
	v_and_b32_e32 v16, 0x80000000, v16
	v_lshl_add_u32 v2, v2, 23, v57
	v_or3_b32 v14, v16, v2, v14
.LBB6_6533:                             ;   in Loop: Header=BB6_5851 Depth=2
	s_or_b64 exec, exec, s[88:89]
.LBB6_6534:                             ;   in Loop: Header=BB6_5851 Depth=2
	s_or_b64 exec, exec, s[78:79]
.LBB6_6535:                             ;   in Loop: Header=BB6_5851 Depth=2
	s_or_b64 exec, exec, s[18:19]
	v_add_f32_e32 v14, v15, v14
	v_and_b32_e32 v2, 0x7f800000, v14
	v_cmp_ne_u64_e32 vcc, s[46:47], v[2:3]
                                        ; implicit-def: $vgpr17
	s_and_saveexec_b64 s[18:19], vcc
	s_xor_b64 s[78:79], exec, s[18:19]
	s_cbranch_execz .LBB6_6553
; %bb.6536:                             ;   in Loop: Header=BB6_5851 Depth=2
	v_and_b32_e32 v2, 0x7fffffff, v14
	v_cmp_gt_u64_e32 vcc, s[56:57], v[2:3]
	v_and_b32_sdwa v20, v14, s49 dst_sel:DWORD dst_unused:UNUSED_PAD src0_sel:BYTE_3 src1_sel:DWORD
                                        ; implicit-def: $vgpr17
	s_and_saveexec_b64 s[18:19], vcc
	s_xor_b64 s[88:89], exec, s[18:19]
	s_cbranch_execz .LBB6_6550
; %bb.6537:                             ;   in Loop: Header=BB6_5851 Depth=2
	v_cmp_ne_u32_e32 vcc, 0, v14
	v_mov_b32_e32 v17, 0
	s_and_saveexec_b64 s[90:91], vcc
	s_cbranch_execz .LBB6_6549
; %bb.6538:                             ;   in Loop: Header=BB6_5851 Depth=2
	v_bfe_u32 v17, v14, 23, 8
	v_and_b32_e32 v2, 0x7fffff, v14
	v_cmp_gt_u32_e64 s[18:19], s51, v17
	v_sub_u32_e32 v14, 0x79, v17
	v_cmp_eq_u32_e32 vcc, 0, v17
	v_cndmask_b32_e64 v14, 0, v14, s[18:19]
	v_mov_b32_e32 v16, 0x78
	v_cndmask_b32_e32 v21, v14, v16, vcc
	v_or_b32_e32 v15, 0x800000, v2
	v_add_u32_e32 v14, 20, v21
	v_cndmask_b32_e32 v2, v15, v2, vcc
	v_lshlrev_b64 v[14:15], v14, -1
	v_add_u32_e32 v16, 19, v21
	v_lshlrev_b64 v[22:23], v16, 1
	v_bfi_b32 v15, v15, 0, 0
	v_bfi_b32 v14, v14, 0, v2
	v_cmp_eq_u64_e64 s[18:19], v[14:15], v[22:23]
	v_lshrrev_b64 v[14:15], v21, v[2:3]
	v_mov_b32_e32 v16, v15
	v_mov_b32_e32 v15, v14
	s_and_saveexec_b64 s[92:93], s[18:19]
; %bb.6539:                             ;   in Loop: Header=BB6_5851 Depth=2
	v_bfe_u32 v2, v14, 20, 1
	v_add_co_u32_e64 v2, s[18:19], v14, v2
	v_add_co_u32_e64 v15, s[18:19], -1, v2
; %bb.6540:                             ;   in Loop: Header=BB6_5851 Depth=2
	s_or_b64 exec, exec, s[92:93]
	v_add_u32_e32 v2, 0xffffff81, v17
	v_mov_b32_e32 v16, 0xffffff82
	v_cndmask_b32_e32 v2, v2, v16, vcc
	v_lshrrev_b32_e32 v16, 23, v14
	v_add3_u32 v21, v21, v2, v16
	v_add_u32_e32 v17, 6, v21
	v_and_b32_e32 v2, 0xfffff, v15
	v_add_u32_e32 v2, v2, v14
	v_cmp_ne_u32_e32 vcc, 0, v17
                                        ; implicit-def: $vgpr14_vgpr15
                                        ; implicit-def: $vgpr16
	s_and_saveexec_b64 s[18:19], vcc
	s_xor_b64 s[18:19], exec, s[18:19]
; %bb.6541:                             ;   in Loop: Header=BB6_5851 Depth=2
	v_cmp_lt_u64_e32 vcc, s[58:59], v[2:3]
	v_add_u32_e32 v14, 7, v21
	v_cndmask_b32_e32 v16, v17, v14, vcc
	v_cndmask_b32_e64 v14, 0, 1, vcc
	v_lshrrev_b64 v[14:15], v14, v[2:3]
; %bb.6542:                             ;   in Loop: Header=BB6_5851 Depth=2
	s_andn2_saveexec_b64 s[18:19], s[18:19]
; %bb.6543:                             ;   in Loop: Header=BB6_5851 Depth=2
	v_mov_b32_e32 v15, v3
	v_bfe_u32 v16, v2, 23, 1
	v_mov_b32_e32 v14, v2
; %bb.6544:                             ;   in Loop: Header=BB6_5851 Depth=2
	s_or_b64 exec, exec, s[18:19]
	v_lshrrev_b64 v[14:15], 20, v[14:15]
	v_cmp_gt_i32_e32 vcc, 16, v16
	v_cndmask_b32_e32 v15, 0, v15, vcc
	v_cndmask_b32_e32 v14, 7, v14, vcc
	v_cmp_ne_u64_e32 vcc, 0, v[14:15]
	v_cmp_ne_u32_e64 s[18:19], 0, v16
	s_or_b64 s[18:19], s[18:19], vcc
                                        ; implicit-def: $vgpr17
	s_and_saveexec_b64 s[92:93], s[18:19]
	s_xor_b64 s[18:19], exec, s[92:93]
; %bb.6545:                             ;   in Loop: Header=BB6_5851 Depth=2
	v_min_i32_e32 v2, 15, v16
	v_lshl_or_b32 v2, v2, 3, v20
	v_and_or_b32 v17, v14, 7, v2
                                        ; implicit-def: $vgpr20
; %bb.6546:                             ;   in Loop: Header=BB6_5851 Depth=2
	s_andn2_saveexec_b64 s[18:19], s[18:19]
; %bb.6547:                             ;   in Loop: Header=BB6_5851 Depth=2
	v_mov_b32_e32 v17, v20
; %bb.6548:                             ;   in Loop: Header=BB6_5851 Depth=2
	s_or_b64 exec, exec, s[18:19]
.LBB6_6549:                             ;   in Loop: Header=BB6_5851 Depth=2
	s_or_b64 exec, exec, s[90:91]
                                        ; implicit-def: $vgpr20
.LBB6_6550:                             ;   in Loop: Header=BB6_5851 Depth=2
	s_andn2_saveexec_b64 s[18:19], s[88:89]
; %bb.6551:                             ;   in Loop: Header=BB6_5851 Depth=2
	v_or_b32_e32 v17, 0x7e, v20
; %bb.6552:                             ;   in Loop: Header=BB6_5851 Depth=2
	s_or_b64 exec, exec, s[18:19]
                                        ; implicit-def: $vgpr14
.LBB6_6553:                             ;   in Loop: Header=BB6_5851 Depth=2
	s_andn2_saveexec_b64 s[18:19], s[78:79]
; %bb.6554:                             ;   in Loop: Header=BB6_5851 Depth=2
	v_or_b32_sdwa v17, v14, s50 dst_sel:DWORD dst_unused:UNUSED_PAD src0_sel:BYTE_3 src1_sel:DWORD
; %bb.6555:                             ;   in Loop: Header=BB6_5851 Depth=2
	s_or_b64 exec, exec, s[18:19]
	buffer_load_dword v2, off, s[0:3], s33 offset:152 ; 4-byte Folded Reload
	v_mov_b32_e32 v14, 0
	v_mov_b32_e32 v15, 0
	s_waitcnt vmcnt(0)
	v_and_b32_e32 v2, 0xff, v2
	v_cmp_ne_u16_e32 vcc, 0, v2
	s_and_saveexec_b64 s[18:19], vcc
	s_cbranch_execz .LBB6_6561
; %bb.6556:                             ;   in Loop: Header=BB6_5851 Depth=2
	v_cmp_ne_u16_e32 vcc, s49, v2
	v_bfrev_b32_e32 v15, 1
	s_and_saveexec_b64 s[78:79], vcc
	s_cbranch_execz .LBB6_6560
; %bb.6557:                             ;   in Loop: Header=BB6_5851 Depth=2
	buffer_load_dword v23, off, s[0:3], s33 offset:152 ; 4-byte Folded Reload
	v_mov_b32_e32 v15, 0x7f800001
	s_waitcnt vmcnt(0)
	v_and_b32_e32 v16, 0x7f, v23
	v_cmp_ne_u32_e32 vcc, s50, v16
	s_and_saveexec_b64 s[88:89], vcc
	s_cbranch_execz .LBB6_6559
; %bb.6558:                             ;   in Loop: Header=BB6_5851 Depth=2
	v_and_b32_e32 v20, 7, v2
	v_ffbh_u32_e32 v15, v20
	v_min_u32_e32 v22, 32, v15
	v_subrev_u32_e32 v15, 28, v22
	v_lshrrev_b32_e32 v21, 3, v16
	v_cmp_gt_u32_e32 vcc, 8, v16
	v_lshlrev_b64 v[15:16], v15, v[2:3]
	v_sub_u32_e32 v2, 29, v22
	v_and_b32_e32 v15, 7, v15
	v_cndmask_b32_e32 v2, v21, v2, vcc
	v_cndmask_b32_e32 v15, v20, v15, vcc
	v_lshlrev_b32_e32 v16, 24, v23
	v_lshlrev_b32_e32 v15, 20, v15
	v_and_b32_e32 v16, 0x80000000, v16
	v_lshl_add_u32 v2, v2, 23, v57
	v_or3_b32 v15, v16, v2, v15
.LBB6_6559:                             ;   in Loop: Header=BB6_5851 Depth=2
	s_or_b64 exec, exec, s[88:89]
.LBB6_6560:                             ;   in Loop: Header=BB6_5851 Depth=2
	s_or_b64 exec, exec, s[78:79]
.LBB6_6561:                             ;   in Loop: Header=BB6_5851 Depth=2
	s_or_b64 exec, exec, s[18:19]
	v_and_b32_e32 v2, 0xff, v42
	v_cmp_ne_u16_e32 vcc, 0, v2
	s_and_saveexec_b64 s[18:19], vcc
	s_cbranch_execz .LBB6_6567
; %bb.6562:                             ;   in Loop: Header=BB6_5851 Depth=2
	v_cmp_ne_u16_e32 vcc, s49, v2
	v_bfrev_b32_e32 v14, 1
	s_and_saveexec_b64 s[78:79], vcc
	s_cbranch_execz .LBB6_6566
; %bb.6563:                             ;   in Loop: Header=BB6_5851 Depth=2
	v_and_b32_e32 v16, 0x7f, v42
	v_cmp_ne_u32_e32 vcc, s50, v16
	v_mov_b32_e32 v14, 0x7f800001
	s_and_saveexec_b64 s[88:89], vcc
	s_cbranch_execz .LBB6_6565
; %bb.6564:                             ;   in Loop: Header=BB6_5851 Depth=2
	v_and_b32_e32 v14, 7, v2
	v_lshrrev_b32_e32 v22, 3, v16
	v_cmp_gt_u32_e32 vcc, 8, v16
	v_ffbh_u32_e32 v16, v14
	v_min_u32_e32 v16, 32, v16
	v_subrev_u32_e32 v20, 28, v16
	v_lshlrev_b64 v[20:21], v20, v[2:3]
	v_sub_u32_e32 v2, 29, v16
	v_and_b32_e32 v16, 7, v20
	v_cndmask_b32_e32 v2, v22, v2, vcc
	v_cndmask_b32_e32 v14, v14, v16, vcc
	v_lshlrev_b32_e32 v16, 24, v42
	v_lshlrev_b32_e32 v14, 20, v14
	v_and_b32_e32 v16, 0x80000000, v16
	v_lshl_add_u32 v2, v2, 23, v57
	v_or3_b32 v14, v16, v2, v14
.LBB6_6565:                             ;   in Loop: Header=BB6_5851 Depth=2
	s_or_b64 exec, exec, s[88:89]
.LBB6_6566:                             ;   in Loop: Header=BB6_5851 Depth=2
	s_or_b64 exec, exec, s[78:79]
.LBB6_6567:                             ;   in Loop: Header=BB6_5851 Depth=2
	s_or_b64 exec, exec, s[18:19]
	v_add_f32_e32 v14, v15, v14
	v_and_b32_e32 v2, 0x7f800000, v14
	v_cmp_ne_u64_e32 vcc, s[46:47], v[2:3]
                                        ; implicit-def: $vgpr20
	s_and_saveexec_b64 s[18:19], vcc
	s_xor_b64 s[78:79], exec, s[18:19]
	s_cbranch_execz .LBB6_6585
; %bb.6568:                             ;   in Loop: Header=BB6_5851 Depth=2
	v_and_b32_e32 v2, 0x7fffffff, v14
	v_cmp_gt_u64_e32 vcc, s[56:57], v[2:3]
	v_and_b32_sdwa v21, v14, s49 dst_sel:DWORD dst_unused:UNUSED_PAD src0_sel:BYTE_3 src1_sel:DWORD
                                        ; implicit-def: $vgpr20
	s_and_saveexec_b64 s[18:19], vcc
	s_xor_b64 s[88:89], exec, s[18:19]
	s_cbranch_execz .LBB6_6582
; %bb.6569:                             ;   in Loop: Header=BB6_5851 Depth=2
	v_cmp_ne_u32_e32 vcc, 0, v14
	v_mov_b32_e32 v20, 0
	s_and_saveexec_b64 s[90:91], vcc
	s_cbranch_execz .LBB6_6581
; %bb.6570:                             ;   in Loop: Header=BB6_5851 Depth=2
	v_bfe_u32 v20, v14, 23, 8
	v_and_b32_e32 v2, 0x7fffff, v14
	v_cmp_gt_u32_e64 s[18:19], s51, v20
	v_sub_u32_e32 v14, 0x79, v20
	v_cmp_eq_u32_e32 vcc, 0, v20
	v_cndmask_b32_e64 v14, 0, v14, s[18:19]
	v_mov_b32_e32 v16, 0x78
	v_cndmask_b32_e32 v22, v14, v16, vcc
	v_or_b32_e32 v15, 0x800000, v2
	v_add_u32_e32 v14, 20, v22
	v_cndmask_b32_e32 v2, v15, v2, vcc
	v_lshlrev_b64 v[14:15], v14, -1
	v_add_u32_e32 v16, 19, v22
	v_lshlrev_b64 v[23:24], v16, 1
	v_bfi_b32 v15, v15, 0, 0
	v_bfi_b32 v14, v14, 0, v2
	v_cmp_eq_u64_e64 s[18:19], v[14:15], v[23:24]
	v_lshrrev_b64 v[14:15], v22, v[2:3]
	v_mov_b32_e32 v16, v15
	v_mov_b32_e32 v15, v14
	s_and_saveexec_b64 s[92:93], s[18:19]
; %bb.6571:                             ;   in Loop: Header=BB6_5851 Depth=2
	v_bfe_u32 v2, v14, 20, 1
	v_add_co_u32_e64 v2, s[18:19], v14, v2
	v_add_co_u32_e64 v15, s[18:19], -1, v2
; %bb.6572:                             ;   in Loop: Header=BB6_5851 Depth=2
	s_or_b64 exec, exec, s[92:93]
	v_add_u32_e32 v2, 0xffffff81, v20
	v_mov_b32_e32 v16, 0xffffff82
	v_cndmask_b32_e32 v2, v2, v16, vcc
	v_lshrrev_b32_e32 v16, 23, v14
	v_add3_u32 v22, v22, v2, v16
	v_add_u32_e32 v20, 6, v22
	v_and_b32_e32 v2, 0xfffff, v15
	v_add_u32_e32 v2, v2, v14
	v_cmp_ne_u32_e32 vcc, 0, v20
                                        ; implicit-def: $vgpr14_vgpr15
                                        ; implicit-def: $vgpr16
	s_and_saveexec_b64 s[18:19], vcc
	s_xor_b64 s[18:19], exec, s[18:19]
; %bb.6573:                             ;   in Loop: Header=BB6_5851 Depth=2
	v_cmp_lt_u64_e32 vcc, s[58:59], v[2:3]
	v_add_u32_e32 v14, 7, v22
	v_cndmask_b32_e32 v16, v20, v14, vcc
	v_cndmask_b32_e64 v14, 0, 1, vcc
	v_lshrrev_b64 v[14:15], v14, v[2:3]
; %bb.6574:                             ;   in Loop: Header=BB6_5851 Depth=2
	s_andn2_saveexec_b64 s[18:19], s[18:19]
; %bb.6575:                             ;   in Loop: Header=BB6_5851 Depth=2
	v_mov_b32_e32 v15, v3
	v_bfe_u32 v16, v2, 23, 1
	v_mov_b32_e32 v14, v2
; %bb.6576:                             ;   in Loop: Header=BB6_5851 Depth=2
	s_or_b64 exec, exec, s[18:19]
	v_lshrrev_b64 v[14:15], 20, v[14:15]
	v_cmp_gt_i32_e32 vcc, 16, v16
	v_cndmask_b32_e32 v15, 0, v15, vcc
	v_cndmask_b32_e32 v14, 7, v14, vcc
	v_cmp_ne_u64_e32 vcc, 0, v[14:15]
	v_cmp_ne_u32_e64 s[18:19], 0, v16
	s_or_b64 s[18:19], s[18:19], vcc
                                        ; implicit-def: $vgpr20
	s_and_saveexec_b64 s[92:93], s[18:19]
	s_xor_b64 s[18:19], exec, s[92:93]
; %bb.6577:                             ;   in Loop: Header=BB6_5851 Depth=2
	v_min_i32_e32 v2, 15, v16
	v_lshl_or_b32 v2, v2, 3, v21
	v_and_or_b32 v20, v14, 7, v2
                                        ; implicit-def: $vgpr21
; %bb.6578:                             ;   in Loop: Header=BB6_5851 Depth=2
	s_andn2_saveexec_b64 s[18:19], s[18:19]
; %bb.6579:                             ;   in Loop: Header=BB6_5851 Depth=2
	v_mov_b32_e32 v20, v21
; %bb.6580:                             ;   in Loop: Header=BB6_5851 Depth=2
	s_or_b64 exec, exec, s[18:19]
.LBB6_6581:                             ;   in Loop: Header=BB6_5851 Depth=2
	s_or_b64 exec, exec, s[90:91]
                                        ; implicit-def: $vgpr21
.LBB6_6582:                             ;   in Loop: Header=BB6_5851 Depth=2
	s_andn2_saveexec_b64 s[18:19], s[88:89]
; %bb.6583:                             ;   in Loop: Header=BB6_5851 Depth=2
	v_or_b32_e32 v20, 0x7e, v21
; %bb.6584:                             ;   in Loop: Header=BB6_5851 Depth=2
	s_or_b64 exec, exec, s[18:19]
                                        ; implicit-def: $vgpr14
.LBB6_6585:                             ;   in Loop: Header=BB6_5851 Depth=2
	s_andn2_saveexec_b64 s[18:19], s[78:79]
; %bb.6586:                             ;   in Loop: Header=BB6_5851 Depth=2
	v_or_b32_sdwa v20, v14, s50 dst_sel:DWORD dst_unused:UNUSED_PAD src0_sel:BYTE_3 src1_sel:DWORD
; %bb.6587:                             ;   in Loop: Header=BB6_5851 Depth=2
	s_or_b64 exec, exec, s[18:19]
	buffer_load_dword v2, off, s[0:3], s33 offset:148 ; 4-byte Folded Reload
	v_mov_b32_e32 v14, 0
	v_mov_b32_e32 v15, 0
	s_waitcnt vmcnt(0)
	v_and_b32_e32 v2, 0xff, v2
	v_cmp_ne_u16_e32 vcc, 0, v2
	s_and_saveexec_b64 s[18:19], vcc
	s_cbranch_execz .LBB6_6593
; %bb.6588:                             ;   in Loop: Header=BB6_5851 Depth=2
	v_cmp_ne_u16_e32 vcc, s49, v2
	v_bfrev_b32_e32 v15, 1
	s_and_saveexec_b64 s[78:79], vcc
	s_cbranch_execz .LBB6_6592
; %bb.6589:                             ;   in Loop: Header=BB6_5851 Depth=2
	buffer_load_dword v24, off, s[0:3], s33 offset:148 ; 4-byte Folded Reload
	v_mov_b32_e32 v15, 0x7f800001
	s_waitcnt vmcnt(0)
	v_and_b32_e32 v16, 0x7f, v24
	v_cmp_ne_u32_e32 vcc, s50, v16
	s_and_saveexec_b64 s[88:89], vcc
	s_cbranch_execz .LBB6_6591
; %bb.6590:                             ;   in Loop: Header=BB6_5851 Depth=2
	v_and_b32_e32 v21, 7, v2
	v_ffbh_u32_e32 v15, v21
	v_min_u32_e32 v23, 32, v15
	v_subrev_u32_e32 v15, 28, v23
	v_lshrrev_b32_e32 v22, 3, v16
	v_cmp_gt_u32_e32 vcc, 8, v16
	v_lshlrev_b64 v[15:16], v15, v[2:3]
	v_sub_u32_e32 v2, 29, v23
	v_and_b32_e32 v15, 7, v15
	v_cndmask_b32_e32 v2, v22, v2, vcc
	v_cndmask_b32_e32 v15, v21, v15, vcc
	v_lshlrev_b32_e32 v16, 24, v24
	v_lshlrev_b32_e32 v15, 20, v15
	v_and_b32_e32 v16, 0x80000000, v16
	v_lshl_add_u32 v2, v2, 23, v57
	v_or3_b32 v15, v16, v2, v15
.LBB6_6591:                             ;   in Loop: Header=BB6_5851 Depth=2
	s_or_b64 exec, exec, s[88:89]
.LBB6_6592:                             ;   in Loop: Header=BB6_5851 Depth=2
	s_or_b64 exec, exec, s[78:79]
.LBB6_6593:                             ;   in Loop: Header=BB6_5851 Depth=2
	s_or_b64 exec, exec, s[18:19]
	buffer_load_dword v2, off, s[0:3], s33 offset:144 ; 4-byte Folded Reload
	s_waitcnt vmcnt(0)
	v_and_b32_e32 v2, 0xff, v2
	v_cmp_ne_u16_e32 vcc, 0, v2
	s_and_saveexec_b64 s[18:19], vcc
	s_cbranch_execz .LBB6_6599
; %bb.6594:                             ;   in Loop: Header=BB6_5851 Depth=2
	v_cmp_ne_u16_e32 vcc, s49, v2
	v_bfrev_b32_e32 v14, 1
	s_and_saveexec_b64 s[78:79], vcc
	s_cbranch_execz .LBB6_6598
; %bb.6595:                             ;   in Loop: Header=BB6_5851 Depth=2
	buffer_load_dword v24, off, s[0:3], s33 offset:144 ; 4-byte Folded Reload
	v_mov_b32_e32 v14, 0x7f800001
	s_waitcnt vmcnt(0)
	v_and_b32_e32 v16, 0x7f, v24
	v_cmp_ne_u32_e32 vcc, s50, v16
	s_and_saveexec_b64 s[88:89], vcc
	s_cbranch_execz .LBB6_6597
; %bb.6596:                             ;   in Loop: Header=BB6_5851 Depth=2
	v_and_b32_e32 v14, 7, v2
	v_lshrrev_b32_e32 v23, 3, v16
	v_cmp_gt_u32_e32 vcc, 8, v16
	v_ffbh_u32_e32 v16, v14
	v_min_u32_e32 v16, 32, v16
	v_subrev_u32_e32 v21, 28, v16
	v_lshlrev_b64 v[21:22], v21, v[2:3]
	v_sub_u32_e32 v2, 29, v16
	v_and_b32_e32 v16, 7, v21
	v_cndmask_b32_e32 v2, v23, v2, vcc
	v_cndmask_b32_e32 v14, v14, v16, vcc
	v_lshlrev_b32_e32 v16, 24, v24
	v_lshlrev_b32_e32 v14, 20, v14
	v_and_b32_e32 v16, 0x80000000, v16
	v_lshl_add_u32 v2, v2, 23, v57
	v_or3_b32 v14, v16, v2, v14
.LBB6_6597:                             ;   in Loop: Header=BB6_5851 Depth=2
	s_or_b64 exec, exec, s[88:89]
.LBB6_6598:                             ;   in Loop: Header=BB6_5851 Depth=2
	s_or_b64 exec, exec, s[78:79]
.LBB6_6599:                             ;   in Loop: Header=BB6_5851 Depth=2
	s_or_b64 exec, exec, s[18:19]
	v_add_f32_e32 v14, v15, v14
	v_and_b32_e32 v2, 0x7f800000, v14
	v_cmp_ne_u64_e32 vcc, s[46:47], v[2:3]
                                        ; implicit-def: $vgpr21
	s_and_saveexec_b64 s[18:19], vcc
	s_xor_b64 s[78:79], exec, s[18:19]
	s_cbranch_execz .LBB6_6617
; %bb.6600:                             ;   in Loop: Header=BB6_5851 Depth=2
	v_and_b32_e32 v2, 0x7fffffff, v14
	v_cmp_gt_u64_e32 vcc, s[56:57], v[2:3]
	v_and_b32_sdwa v22, v14, s49 dst_sel:DWORD dst_unused:UNUSED_PAD src0_sel:BYTE_3 src1_sel:DWORD
                                        ; implicit-def: $vgpr21
	s_and_saveexec_b64 s[18:19], vcc
	s_xor_b64 s[88:89], exec, s[18:19]
	s_cbranch_execz .LBB6_6614
; %bb.6601:                             ;   in Loop: Header=BB6_5851 Depth=2
	v_cmp_ne_u32_e32 vcc, 0, v14
	v_mov_b32_e32 v21, 0
	s_and_saveexec_b64 s[90:91], vcc
	s_cbranch_execz .LBB6_6613
; %bb.6602:                             ;   in Loop: Header=BB6_5851 Depth=2
	v_bfe_u32 v21, v14, 23, 8
	v_and_b32_e32 v2, 0x7fffff, v14
	v_cmp_gt_u32_e64 s[18:19], s51, v21
	v_sub_u32_e32 v14, 0x79, v21
	v_cmp_eq_u32_e32 vcc, 0, v21
	v_cndmask_b32_e64 v14, 0, v14, s[18:19]
	v_mov_b32_e32 v16, 0x78
	v_cndmask_b32_e32 v23, v14, v16, vcc
	v_or_b32_e32 v15, 0x800000, v2
	v_add_u32_e32 v14, 20, v23
	v_cndmask_b32_e32 v2, v15, v2, vcc
	v_lshlrev_b64 v[14:15], v14, -1
	v_add_u32_e32 v16, 19, v23
	v_lshlrev_b64 v[27:28], v16, 1
	v_bfi_b32 v15, v15, 0, 0
	v_bfi_b32 v14, v14, 0, v2
	v_cmp_eq_u64_e64 s[18:19], v[14:15], v[27:28]
	v_lshrrev_b64 v[14:15], v23, v[2:3]
	v_mov_b32_e32 v16, v15
	v_mov_b32_e32 v15, v14
	s_and_saveexec_b64 s[92:93], s[18:19]
; %bb.6603:                             ;   in Loop: Header=BB6_5851 Depth=2
	v_bfe_u32 v2, v14, 20, 1
	v_add_co_u32_e64 v2, s[18:19], v14, v2
	v_add_co_u32_e64 v15, s[18:19], -1, v2
; %bb.6604:                             ;   in Loop: Header=BB6_5851 Depth=2
	s_or_b64 exec, exec, s[92:93]
	v_add_u32_e32 v2, 0xffffff81, v21
	v_mov_b32_e32 v16, 0xffffff82
	v_cndmask_b32_e32 v2, v2, v16, vcc
	v_lshrrev_b32_e32 v16, 23, v14
	v_add3_u32 v23, v23, v2, v16
	v_add_u32_e32 v21, 6, v23
	v_and_b32_e32 v2, 0xfffff, v15
	v_add_u32_e32 v2, v2, v14
	v_cmp_ne_u32_e32 vcc, 0, v21
                                        ; implicit-def: $vgpr14_vgpr15
                                        ; implicit-def: $vgpr16
	s_and_saveexec_b64 s[18:19], vcc
	s_xor_b64 s[18:19], exec, s[18:19]
; %bb.6605:                             ;   in Loop: Header=BB6_5851 Depth=2
	v_cmp_lt_u64_e32 vcc, s[58:59], v[2:3]
	v_add_u32_e32 v14, 7, v23
	v_cndmask_b32_e32 v16, v21, v14, vcc
	v_cndmask_b32_e64 v14, 0, 1, vcc
	v_lshrrev_b64 v[14:15], v14, v[2:3]
; %bb.6606:                             ;   in Loop: Header=BB6_5851 Depth=2
	s_andn2_saveexec_b64 s[18:19], s[18:19]
; %bb.6607:                             ;   in Loop: Header=BB6_5851 Depth=2
	v_mov_b32_e32 v15, v3
	v_bfe_u32 v16, v2, 23, 1
	v_mov_b32_e32 v14, v2
; %bb.6608:                             ;   in Loop: Header=BB6_5851 Depth=2
	s_or_b64 exec, exec, s[18:19]
	v_lshrrev_b64 v[14:15], 20, v[14:15]
	v_cmp_gt_i32_e32 vcc, 16, v16
	v_cndmask_b32_e32 v15, 0, v15, vcc
	v_cndmask_b32_e32 v14, 7, v14, vcc
	v_cmp_ne_u64_e32 vcc, 0, v[14:15]
	v_cmp_ne_u32_e64 s[18:19], 0, v16
	s_or_b64 s[18:19], s[18:19], vcc
                                        ; implicit-def: $vgpr21
	s_and_saveexec_b64 s[92:93], s[18:19]
	s_xor_b64 s[18:19], exec, s[92:93]
; %bb.6609:                             ;   in Loop: Header=BB6_5851 Depth=2
	v_min_i32_e32 v2, 15, v16
	v_lshl_or_b32 v2, v2, 3, v22
	v_and_or_b32 v21, v14, 7, v2
                                        ; implicit-def: $vgpr22
; %bb.6610:                             ;   in Loop: Header=BB6_5851 Depth=2
	s_andn2_saveexec_b64 s[18:19], s[18:19]
; %bb.6611:                             ;   in Loop: Header=BB6_5851 Depth=2
	v_mov_b32_e32 v21, v22
; %bb.6612:                             ;   in Loop: Header=BB6_5851 Depth=2
	s_or_b64 exec, exec, s[18:19]
.LBB6_6613:                             ;   in Loop: Header=BB6_5851 Depth=2
	s_or_b64 exec, exec, s[90:91]
                                        ; implicit-def: $vgpr22
.LBB6_6614:                             ;   in Loop: Header=BB6_5851 Depth=2
	s_andn2_saveexec_b64 s[18:19], s[88:89]
; %bb.6615:                             ;   in Loop: Header=BB6_5851 Depth=2
	v_or_b32_e32 v21, 0x7e, v22
; %bb.6616:                             ;   in Loop: Header=BB6_5851 Depth=2
	s_or_b64 exec, exec, s[18:19]
                                        ; implicit-def: $vgpr14
.LBB6_6617:                             ;   in Loop: Header=BB6_5851 Depth=2
	s_andn2_saveexec_b64 s[18:19], s[78:79]
; %bb.6618:                             ;   in Loop: Header=BB6_5851 Depth=2
	v_or_b32_sdwa v21, v14, s50 dst_sel:DWORD dst_unused:UNUSED_PAD src0_sel:BYTE_3 src1_sel:DWORD
; %bb.6619:                             ;   in Loop: Header=BB6_5851 Depth=2
	s_or_b64 exec, exec, s[18:19]
	buffer_load_dword v2, off, s[0:3], s33 offset:140 ; 4-byte Folded Reload
	v_mov_b32_e32 v14, 0
	v_mov_b32_e32 v15, 0
	s_waitcnt vmcnt(0)
	v_and_b32_e32 v2, 0xff, v2
	v_cmp_ne_u16_e32 vcc, 0, v2
	s_and_saveexec_b64 s[18:19], vcc
	s_cbranch_execz .LBB6_6625
; %bb.6620:                             ;   in Loop: Header=BB6_5851 Depth=2
	v_cmp_ne_u16_e32 vcc, s49, v2
	v_bfrev_b32_e32 v15, 1
	s_and_saveexec_b64 s[78:79], vcc
	s_cbranch_execz .LBB6_6624
; %bb.6621:                             ;   in Loop: Header=BB6_5851 Depth=2
	buffer_load_dword v27, off, s[0:3], s33 offset:140 ; 4-byte Folded Reload
	v_mov_b32_e32 v15, 0x7f800001
	s_waitcnt vmcnt(0)
	v_and_b32_e32 v16, 0x7f, v27
	v_cmp_ne_u32_e32 vcc, s50, v16
	s_and_saveexec_b64 s[88:89], vcc
	s_cbranch_execz .LBB6_6623
; %bb.6622:                             ;   in Loop: Header=BB6_5851 Depth=2
	v_and_b32_e32 v22, 7, v2
	v_ffbh_u32_e32 v15, v22
	v_min_u32_e32 v24, 32, v15
	v_subrev_u32_e32 v15, 28, v24
	v_lshrrev_b32_e32 v23, 3, v16
	v_cmp_gt_u32_e32 vcc, 8, v16
	v_lshlrev_b64 v[15:16], v15, v[2:3]
	v_sub_u32_e32 v2, 29, v24
	v_and_b32_e32 v15, 7, v15
	v_cndmask_b32_e32 v2, v23, v2, vcc
	v_cndmask_b32_e32 v15, v22, v15, vcc
	v_lshlrev_b32_e32 v16, 24, v27
	v_lshlrev_b32_e32 v15, 20, v15
	v_and_b32_e32 v16, 0x80000000, v16
	v_lshl_add_u32 v2, v2, 23, v57
	v_or3_b32 v15, v16, v2, v15
.LBB6_6623:                             ;   in Loop: Header=BB6_5851 Depth=2
	s_or_b64 exec, exec, s[88:89]
.LBB6_6624:                             ;   in Loop: Header=BB6_5851 Depth=2
	s_or_b64 exec, exec, s[78:79]
.LBB6_6625:                             ;   in Loop: Header=BB6_5851 Depth=2
	s_or_b64 exec, exec, s[18:19]
	buffer_load_dword v2, off, s[0:3], s33 offset:136 ; 4-byte Folded Reload
	s_waitcnt vmcnt(0)
	v_and_b32_e32 v2, 0xff, v2
	v_cmp_ne_u16_e32 vcc, 0, v2
	s_and_saveexec_b64 s[18:19], vcc
	s_cbranch_execz .LBB6_6631
; %bb.6626:                             ;   in Loop: Header=BB6_5851 Depth=2
	v_cmp_ne_u16_e32 vcc, s49, v2
	v_bfrev_b32_e32 v14, 1
	s_and_saveexec_b64 s[78:79], vcc
	s_cbranch_execz .LBB6_6630
; %bb.6627:                             ;   in Loop: Header=BB6_5851 Depth=2
	buffer_load_dword v27, off, s[0:3], s33 offset:136 ; 4-byte Folded Reload
	v_mov_b32_e32 v14, 0x7f800001
	s_waitcnt vmcnt(0)
	v_and_b32_e32 v16, 0x7f, v27
	v_cmp_ne_u32_e32 vcc, s50, v16
	s_and_saveexec_b64 s[88:89], vcc
	s_cbranch_execz .LBB6_6629
; %bb.6628:                             ;   in Loop: Header=BB6_5851 Depth=2
	v_and_b32_e32 v14, 7, v2
	v_lshrrev_b32_e32 v24, 3, v16
	v_cmp_gt_u32_e32 vcc, 8, v16
	v_ffbh_u32_e32 v16, v14
	v_min_u32_e32 v16, 32, v16
	v_subrev_u32_e32 v22, 28, v16
	v_lshlrev_b64 v[22:23], v22, v[2:3]
	v_sub_u32_e32 v2, 29, v16
	v_and_b32_e32 v16, 7, v22
	v_cndmask_b32_e32 v2, v24, v2, vcc
	v_cndmask_b32_e32 v14, v14, v16, vcc
	v_lshlrev_b32_e32 v16, 24, v27
	v_lshlrev_b32_e32 v14, 20, v14
	v_and_b32_e32 v16, 0x80000000, v16
	v_lshl_add_u32 v2, v2, 23, v57
	v_or3_b32 v14, v16, v2, v14
.LBB6_6629:                             ;   in Loop: Header=BB6_5851 Depth=2
	s_or_b64 exec, exec, s[88:89]
.LBB6_6630:                             ;   in Loop: Header=BB6_5851 Depth=2
	s_or_b64 exec, exec, s[78:79]
.LBB6_6631:                             ;   in Loop: Header=BB6_5851 Depth=2
	s_or_b64 exec, exec, s[18:19]
	v_add_f32_e32 v14, v15, v14
	v_and_b32_e32 v2, 0x7f800000, v14
	v_cmp_ne_u64_e32 vcc, s[46:47], v[2:3]
                                        ; implicit-def: $vgpr22
	s_and_saveexec_b64 s[18:19], vcc
	s_xor_b64 s[78:79], exec, s[18:19]
	s_cbranch_execz .LBB6_6649
; %bb.6632:                             ;   in Loop: Header=BB6_5851 Depth=2
	v_and_b32_e32 v2, 0x7fffffff, v14
	v_cmp_gt_u64_e32 vcc, s[56:57], v[2:3]
	v_and_b32_sdwa v23, v14, s49 dst_sel:DWORD dst_unused:UNUSED_PAD src0_sel:BYTE_3 src1_sel:DWORD
                                        ; implicit-def: $vgpr22
	s_and_saveexec_b64 s[18:19], vcc
	s_xor_b64 s[88:89], exec, s[18:19]
	s_cbranch_execz .LBB6_6646
; %bb.6633:                             ;   in Loop: Header=BB6_5851 Depth=2
	v_cmp_ne_u32_e32 vcc, 0, v14
	v_mov_b32_e32 v22, 0
	s_and_saveexec_b64 s[90:91], vcc
	s_cbranch_execz .LBB6_6645
; %bb.6634:                             ;   in Loop: Header=BB6_5851 Depth=2
	v_bfe_u32 v22, v14, 23, 8
	v_and_b32_e32 v2, 0x7fffff, v14
	v_cmp_gt_u32_e64 s[18:19], s51, v22
	v_sub_u32_e32 v14, 0x79, v22
	v_cmp_eq_u32_e32 vcc, 0, v22
	v_cndmask_b32_e64 v14, 0, v14, s[18:19]
	v_mov_b32_e32 v16, 0x78
	v_cndmask_b32_e32 v24, v14, v16, vcc
	v_or_b32_e32 v15, 0x800000, v2
	v_add_u32_e32 v14, 20, v24
	v_cndmask_b32_e32 v2, v15, v2, vcc
	v_lshlrev_b64 v[14:15], v14, -1
	v_add_u32_e32 v16, 19, v24
	v_lshlrev_b64 v[27:28], v16, 1
	v_bfi_b32 v15, v15, 0, 0
	v_bfi_b32 v14, v14, 0, v2
	v_cmp_eq_u64_e64 s[18:19], v[14:15], v[27:28]
	v_lshrrev_b64 v[14:15], v24, v[2:3]
	v_mov_b32_e32 v16, v15
	v_mov_b32_e32 v15, v14
	s_and_saveexec_b64 s[92:93], s[18:19]
; %bb.6635:                             ;   in Loop: Header=BB6_5851 Depth=2
	v_bfe_u32 v2, v14, 20, 1
	v_add_co_u32_e64 v2, s[18:19], v14, v2
	v_add_co_u32_e64 v15, s[18:19], -1, v2
; %bb.6636:                             ;   in Loop: Header=BB6_5851 Depth=2
	s_or_b64 exec, exec, s[92:93]
	v_add_u32_e32 v2, 0xffffff81, v22
	v_mov_b32_e32 v16, 0xffffff82
	v_cndmask_b32_e32 v2, v2, v16, vcc
	v_lshrrev_b32_e32 v16, 23, v14
	v_add3_u32 v24, v24, v2, v16
	v_add_u32_e32 v22, 6, v24
	v_and_b32_e32 v2, 0xfffff, v15
	v_add_u32_e32 v2, v2, v14
	v_cmp_ne_u32_e32 vcc, 0, v22
                                        ; implicit-def: $vgpr14_vgpr15
                                        ; implicit-def: $vgpr16
	s_and_saveexec_b64 s[18:19], vcc
	s_xor_b64 s[18:19], exec, s[18:19]
; %bb.6637:                             ;   in Loop: Header=BB6_5851 Depth=2
	v_cmp_lt_u64_e32 vcc, s[58:59], v[2:3]
	v_add_u32_e32 v14, 7, v24
	v_cndmask_b32_e32 v16, v22, v14, vcc
	v_cndmask_b32_e64 v14, 0, 1, vcc
	v_lshrrev_b64 v[14:15], v14, v[2:3]
; %bb.6638:                             ;   in Loop: Header=BB6_5851 Depth=2
	s_andn2_saveexec_b64 s[18:19], s[18:19]
; %bb.6639:                             ;   in Loop: Header=BB6_5851 Depth=2
	v_mov_b32_e32 v15, v3
	v_bfe_u32 v16, v2, 23, 1
	v_mov_b32_e32 v14, v2
; %bb.6640:                             ;   in Loop: Header=BB6_5851 Depth=2
	s_or_b64 exec, exec, s[18:19]
	v_lshrrev_b64 v[14:15], 20, v[14:15]
	v_cmp_gt_i32_e32 vcc, 16, v16
	v_cndmask_b32_e32 v15, 0, v15, vcc
	v_cndmask_b32_e32 v14, 7, v14, vcc
	v_cmp_ne_u64_e32 vcc, 0, v[14:15]
	v_cmp_ne_u32_e64 s[18:19], 0, v16
	s_or_b64 s[18:19], s[18:19], vcc
                                        ; implicit-def: $vgpr22
	s_and_saveexec_b64 s[92:93], s[18:19]
	s_xor_b64 s[18:19], exec, s[92:93]
; %bb.6641:                             ;   in Loop: Header=BB6_5851 Depth=2
	v_min_i32_e32 v2, 15, v16
	v_lshl_or_b32 v2, v2, 3, v23
	v_and_or_b32 v22, v14, 7, v2
                                        ; implicit-def: $vgpr23
; %bb.6642:                             ;   in Loop: Header=BB6_5851 Depth=2
	s_andn2_saveexec_b64 s[18:19], s[18:19]
; %bb.6643:                             ;   in Loop: Header=BB6_5851 Depth=2
	v_mov_b32_e32 v22, v23
; %bb.6644:                             ;   in Loop: Header=BB6_5851 Depth=2
	s_or_b64 exec, exec, s[18:19]
.LBB6_6645:                             ;   in Loop: Header=BB6_5851 Depth=2
	s_or_b64 exec, exec, s[90:91]
                                        ; implicit-def: $vgpr23
.LBB6_6646:                             ;   in Loop: Header=BB6_5851 Depth=2
	s_andn2_saveexec_b64 s[18:19], s[88:89]
; %bb.6647:                             ;   in Loop: Header=BB6_5851 Depth=2
	v_or_b32_e32 v22, 0x7e, v23
; %bb.6648:                             ;   in Loop: Header=BB6_5851 Depth=2
	s_or_b64 exec, exec, s[18:19]
                                        ; implicit-def: $vgpr14
.LBB6_6649:                             ;   in Loop: Header=BB6_5851 Depth=2
	s_andn2_saveexec_b64 s[18:19], s[78:79]
; %bb.6650:                             ;   in Loop: Header=BB6_5851 Depth=2
	v_or_b32_sdwa v22, v14, s50 dst_sel:DWORD dst_unused:UNUSED_PAD src0_sel:BYTE_3 src1_sel:DWORD
; %bb.6651:                             ;   in Loop: Header=BB6_5851 Depth=2
	s_or_b64 exec, exec, s[18:19]
	buffer_load_dword v2, off, s[0:3], s33 offset:132 ; 4-byte Folded Reload
	v_mov_b32_e32 v14, 0
	v_mov_b32_e32 v15, 0
	s_waitcnt vmcnt(0)
	v_and_b32_e32 v2, 0xff, v2
	v_cmp_ne_u16_e32 vcc, 0, v2
	s_and_saveexec_b64 s[18:19], vcc
	s_cbranch_execz .LBB6_6657
; %bb.6652:                             ;   in Loop: Header=BB6_5851 Depth=2
	v_cmp_ne_u16_e32 vcc, s49, v2
	v_bfrev_b32_e32 v15, 1
	s_and_saveexec_b64 s[78:79], vcc
	s_cbranch_execz .LBB6_6656
; %bb.6653:                             ;   in Loop: Header=BB6_5851 Depth=2
	buffer_load_dword v28, off, s[0:3], s33 offset:132 ; 4-byte Folded Reload
	v_mov_b32_e32 v15, 0x7f800001
	s_waitcnt vmcnt(0)
	v_and_b32_e32 v16, 0x7f, v28
	v_cmp_ne_u32_e32 vcc, s50, v16
	s_and_saveexec_b64 s[88:89], vcc
	s_cbranch_execz .LBB6_6655
; %bb.6654:                             ;   in Loop: Header=BB6_5851 Depth=2
	v_and_b32_e32 v23, 7, v2
	v_ffbh_u32_e32 v15, v23
	v_min_u32_e32 v27, 32, v15
	v_subrev_u32_e32 v15, 28, v27
	v_lshrrev_b32_e32 v24, 3, v16
	v_cmp_gt_u32_e32 vcc, 8, v16
	v_lshlrev_b64 v[15:16], v15, v[2:3]
	v_sub_u32_e32 v2, 29, v27
	v_and_b32_e32 v15, 7, v15
	v_cndmask_b32_e32 v2, v24, v2, vcc
	v_cndmask_b32_e32 v15, v23, v15, vcc
	v_lshlrev_b32_e32 v16, 24, v28
	v_lshlrev_b32_e32 v15, 20, v15
	v_and_b32_e32 v16, 0x80000000, v16
	v_lshl_add_u32 v2, v2, 23, v57
	v_or3_b32 v15, v16, v2, v15
.LBB6_6655:                             ;   in Loop: Header=BB6_5851 Depth=2
	s_or_b64 exec, exec, s[88:89]
.LBB6_6656:                             ;   in Loop: Header=BB6_5851 Depth=2
	s_or_b64 exec, exec, s[78:79]
.LBB6_6657:                             ;   in Loop: Header=BB6_5851 Depth=2
	s_or_b64 exec, exec, s[18:19]
	buffer_load_dword v2, off, s[0:3], s33 offset:128 ; 4-byte Folded Reload
	s_waitcnt vmcnt(0)
	v_and_b32_e32 v2, 0xff, v2
	v_cmp_ne_u16_e32 vcc, 0, v2
	s_and_saveexec_b64 s[18:19], vcc
	s_cbranch_execz .LBB6_6663
; %bb.6658:                             ;   in Loop: Header=BB6_5851 Depth=2
	v_cmp_ne_u16_e32 vcc, s49, v2
	v_bfrev_b32_e32 v14, 1
	s_and_saveexec_b64 s[78:79], vcc
	s_cbranch_execz .LBB6_6662
; %bb.6659:                             ;   in Loop: Header=BB6_5851 Depth=2
	buffer_load_dword v28, off, s[0:3], s33 offset:128 ; 4-byte Folded Reload
	v_mov_b32_e32 v14, 0x7f800001
	s_waitcnt vmcnt(0)
	v_and_b32_e32 v16, 0x7f, v28
	v_cmp_ne_u32_e32 vcc, s50, v16
	s_and_saveexec_b64 s[88:89], vcc
	s_cbranch_execz .LBB6_6661
; %bb.6660:                             ;   in Loop: Header=BB6_5851 Depth=2
	v_and_b32_e32 v14, 7, v2
	v_lshrrev_b32_e32 v27, 3, v16
	v_cmp_gt_u32_e32 vcc, 8, v16
	v_ffbh_u32_e32 v16, v14
	v_min_u32_e32 v16, 32, v16
	v_subrev_u32_e32 v23, 28, v16
	v_lshlrev_b64 v[23:24], v23, v[2:3]
	v_sub_u32_e32 v2, 29, v16
	v_and_b32_e32 v16, 7, v23
	v_cndmask_b32_e32 v2, v27, v2, vcc
	v_cndmask_b32_e32 v14, v14, v16, vcc
	v_lshlrev_b32_e32 v16, 24, v28
	v_lshlrev_b32_e32 v14, 20, v14
	v_and_b32_e32 v16, 0x80000000, v16
	v_lshl_add_u32 v2, v2, 23, v57
	v_or3_b32 v14, v16, v2, v14
.LBB6_6661:                             ;   in Loop: Header=BB6_5851 Depth=2
	s_or_b64 exec, exec, s[88:89]
.LBB6_6662:                             ;   in Loop: Header=BB6_5851 Depth=2
	s_or_b64 exec, exec, s[78:79]
.LBB6_6663:                             ;   in Loop: Header=BB6_5851 Depth=2
	s_or_b64 exec, exec, s[18:19]
	v_add_f32_e32 v14, v15, v14
	v_and_b32_e32 v2, 0x7f800000, v14
	v_cmp_ne_u64_e32 vcc, s[46:47], v[2:3]
                                        ; implicit-def: $vgpr23
	s_and_saveexec_b64 s[18:19], vcc
	s_xor_b64 s[78:79], exec, s[18:19]
	s_cbranch_execz .LBB6_6681
; %bb.6664:                             ;   in Loop: Header=BB6_5851 Depth=2
	v_and_b32_e32 v2, 0x7fffffff, v14
	v_cmp_gt_u64_e32 vcc, s[56:57], v[2:3]
	v_and_b32_sdwa v24, v14, s49 dst_sel:DWORD dst_unused:UNUSED_PAD src0_sel:BYTE_3 src1_sel:DWORD
                                        ; implicit-def: $vgpr23
	s_and_saveexec_b64 s[18:19], vcc
	s_xor_b64 s[88:89], exec, s[18:19]
	s_cbranch_execz .LBB6_6678
; %bb.6665:                             ;   in Loop: Header=BB6_5851 Depth=2
	v_cmp_ne_u32_e32 vcc, 0, v14
	v_mov_b32_e32 v23, 0
	s_and_saveexec_b64 s[90:91], vcc
	s_cbranch_execz .LBB6_6677
; %bb.6666:                             ;   in Loop: Header=BB6_5851 Depth=2
	v_bfe_u32 v23, v14, 23, 8
	v_and_b32_e32 v2, 0x7fffff, v14
	v_cmp_gt_u32_e64 s[18:19], s51, v23
	v_sub_u32_e32 v14, 0x79, v23
	v_cmp_eq_u32_e32 vcc, 0, v23
	v_cndmask_b32_e64 v14, 0, v14, s[18:19]
	v_mov_b32_e32 v16, 0x78
	v_cndmask_b32_e32 v27, v14, v16, vcc
	v_or_b32_e32 v15, 0x800000, v2
	v_add_u32_e32 v14, 20, v27
	v_cndmask_b32_e32 v2, v15, v2, vcc
	v_lshlrev_b64 v[14:15], v14, -1
	v_add_u32_e32 v16, 19, v27
	v_lshlrev_b64 v[28:29], v16, 1
	v_bfi_b32 v15, v15, 0, 0
	v_bfi_b32 v14, v14, 0, v2
	v_cmp_eq_u64_e64 s[18:19], v[14:15], v[28:29]
	v_lshrrev_b64 v[14:15], v27, v[2:3]
	v_mov_b32_e32 v16, v15
	v_mov_b32_e32 v15, v14
	s_and_saveexec_b64 s[92:93], s[18:19]
; %bb.6667:                             ;   in Loop: Header=BB6_5851 Depth=2
	v_bfe_u32 v2, v14, 20, 1
	v_add_co_u32_e64 v2, s[18:19], v14, v2
	v_add_co_u32_e64 v15, s[18:19], -1, v2
; %bb.6668:                             ;   in Loop: Header=BB6_5851 Depth=2
	s_or_b64 exec, exec, s[92:93]
	v_add_u32_e32 v2, 0xffffff81, v23
	v_mov_b32_e32 v16, 0xffffff82
	v_cndmask_b32_e32 v2, v2, v16, vcc
	v_lshrrev_b32_e32 v16, 23, v14
	v_add3_u32 v27, v27, v2, v16
	v_add_u32_e32 v23, 6, v27
	v_and_b32_e32 v2, 0xfffff, v15
	v_add_u32_e32 v2, v2, v14
	v_cmp_ne_u32_e32 vcc, 0, v23
                                        ; implicit-def: $vgpr14_vgpr15
                                        ; implicit-def: $vgpr16
	s_and_saveexec_b64 s[18:19], vcc
	s_xor_b64 s[18:19], exec, s[18:19]
; %bb.6669:                             ;   in Loop: Header=BB6_5851 Depth=2
	v_cmp_lt_u64_e32 vcc, s[58:59], v[2:3]
	v_add_u32_e32 v14, 7, v27
	v_cndmask_b32_e32 v16, v23, v14, vcc
	v_cndmask_b32_e64 v14, 0, 1, vcc
	v_lshrrev_b64 v[14:15], v14, v[2:3]
; %bb.6670:                             ;   in Loop: Header=BB6_5851 Depth=2
	s_andn2_saveexec_b64 s[18:19], s[18:19]
; %bb.6671:                             ;   in Loop: Header=BB6_5851 Depth=2
	v_mov_b32_e32 v15, v3
	v_bfe_u32 v16, v2, 23, 1
	v_mov_b32_e32 v14, v2
; %bb.6672:                             ;   in Loop: Header=BB6_5851 Depth=2
	s_or_b64 exec, exec, s[18:19]
	v_lshrrev_b64 v[14:15], 20, v[14:15]
	v_cmp_gt_i32_e32 vcc, 16, v16
	v_cndmask_b32_e32 v15, 0, v15, vcc
	v_cndmask_b32_e32 v14, 7, v14, vcc
	v_cmp_ne_u64_e32 vcc, 0, v[14:15]
	v_cmp_ne_u32_e64 s[18:19], 0, v16
	s_or_b64 s[18:19], s[18:19], vcc
                                        ; implicit-def: $vgpr23
	s_and_saveexec_b64 s[92:93], s[18:19]
	s_xor_b64 s[18:19], exec, s[92:93]
; %bb.6673:                             ;   in Loop: Header=BB6_5851 Depth=2
	v_min_i32_e32 v2, 15, v16
	v_lshl_or_b32 v2, v2, 3, v24
	v_and_or_b32 v23, v14, 7, v2
                                        ; implicit-def: $vgpr24
; %bb.6674:                             ;   in Loop: Header=BB6_5851 Depth=2
	s_andn2_saveexec_b64 s[18:19], s[18:19]
; %bb.6675:                             ;   in Loop: Header=BB6_5851 Depth=2
	v_mov_b32_e32 v23, v24
; %bb.6676:                             ;   in Loop: Header=BB6_5851 Depth=2
	s_or_b64 exec, exec, s[18:19]
.LBB6_6677:                             ;   in Loop: Header=BB6_5851 Depth=2
	s_or_b64 exec, exec, s[90:91]
                                        ; implicit-def: $vgpr24
.LBB6_6678:                             ;   in Loop: Header=BB6_5851 Depth=2
	s_andn2_saveexec_b64 s[18:19], s[88:89]
; %bb.6679:                             ;   in Loop: Header=BB6_5851 Depth=2
	v_or_b32_e32 v23, 0x7e, v24
; %bb.6680:                             ;   in Loop: Header=BB6_5851 Depth=2
	s_or_b64 exec, exec, s[18:19]
                                        ; implicit-def: $vgpr14
.LBB6_6681:                             ;   in Loop: Header=BB6_5851 Depth=2
	s_andn2_saveexec_b64 s[18:19], s[78:79]
; %bb.6682:                             ;   in Loop: Header=BB6_5851 Depth=2
	v_or_b32_sdwa v23, v14, s50 dst_sel:DWORD dst_unused:UNUSED_PAD src0_sel:BYTE_3 src1_sel:DWORD
; %bb.6683:                             ;   in Loop: Header=BB6_5851 Depth=2
	s_or_b64 exec, exec, s[18:19]
	buffer_load_dword v2, off, s[0:3], s33 offset:124 ; 4-byte Folded Reload
	v_mov_b32_e32 v14, 0
	v_mov_b32_e32 v15, 0
	s_waitcnt vmcnt(0)
	v_and_b32_e32 v2, 0xff, v2
	v_cmp_ne_u16_e32 vcc, 0, v2
	s_and_saveexec_b64 s[18:19], vcc
	s_cbranch_execz .LBB6_6689
; %bb.6684:                             ;   in Loop: Header=BB6_5851 Depth=2
	v_cmp_ne_u16_e32 vcc, s49, v2
	v_bfrev_b32_e32 v15, 1
	s_and_saveexec_b64 s[78:79], vcc
	s_cbranch_execz .LBB6_6688
; %bb.6685:                             ;   in Loop: Header=BB6_5851 Depth=2
	buffer_load_dword v29, off, s[0:3], s33 offset:124 ; 4-byte Folded Reload
	v_mov_b32_e32 v15, 0x7f800001
	s_waitcnt vmcnt(0)
	v_and_b32_e32 v16, 0x7f, v29
	v_cmp_ne_u32_e32 vcc, s50, v16
	s_and_saveexec_b64 s[88:89], vcc
	s_cbranch_execz .LBB6_6687
; %bb.6686:                             ;   in Loop: Header=BB6_5851 Depth=2
	v_and_b32_e32 v24, 7, v2
	v_ffbh_u32_e32 v15, v24
	v_min_u32_e32 v28, 32, v15
	v_subrev_u32_e32 v15, 28, v28
	v_lshrrev_b32_e32 v27, 3, v16
	v_cmp_gt_u32_e32 vcc, 8, v16
	v_lshlrev_b64 v[15:16], v15, v[2:3]
	v_sub_u32_e32 v2, 29, v28
	v_and_b32_e32 v15, 7, v15
	v_cndmask_b32_e32 v2, v27, v2, vcc
	v_cndmask_b32_e32 v15, v24, v15, vcc
	v_lshlrev_b32_e32 v16, 24, v29
	v_lshlrev_b32_e32 v15, 20, v15
	v_and_b32_e32 v16, 0x80000000, v16
	v_lshl_add_u32 v2, v2, 23, v57
	v_or3_b32 v15, v16, v2, v15
.LBB6_6687:                             ;   in Loop: Header=BB6_5851 Depth=2
	s_or_b64 exec, exec, s[88:89]
.LBB6_6688:                             ;   in Loop: Header=BB6_5851 Depth=2
	s_or_b64 exec, exec, s[78:79]
.LBB6_6689:                             ;   in Loop: Header=BB6_5851 Depth=2
	s_or_b64 exec, exec, s[18:19]
	buffer_load_dword v2, off, s[0:3], s33 offset:120 ; 4-byte Folded Reload
	s_waitcnt vmcnt(0)
	v_and_b32_e32 v2, 0xff, v2
	v_cmp_ne_u16_e32 vcc, 0, v2
	s_and_saveexec_b64 s[18:19], vcc
	s_cbranch_execz .LBB6_6695
; %bb.6690:                             ;   in Loop: Header=BB6_5851 Depth=2
	v_cmp_ne_u16_e32 vcc, s49, v2
	v_bfrev_b32_e32 v14, 1
	s_and_saveexec_b64 s[78:79], vcc
	s_cbranch_execz .LBB6_6694
; %bb.6691:                             ;   in Loop: Header=BB6_5851 Depth=2
	buffer_load_dword v29, off, s[0:3], s33 offset:120 ; 4-byte Folded Reload
	v_mov_b32_e32 v14, 0x7f800001
	s_waitcnt vmcnt(0)
	v_and_b32_e32 v16, 0x7f, v29
	v_cmp_ne_u32_e32 vcc, s50, v16
	s_and_saveexec_b64 s[88:89], vcc
	s_cbranch_execz .LBB6_6693
; %bb.6692:                             ;   in Loop: Header=BB6_5851 Depth=2
	v_and_b32_e32 v14, 7, v2
	v_lshrrev_b32_e32 v24, 3, v16
	v_cmp_gt_u32_e32 vcc, 8, v16
	v_ffbh_u32_e32 v16, v14
	v_min_u32_e32 v16, 32, v16
	v_subrev_u32_e32 v27, 28, v16
	v_lshlrev_b64 v[27:28], v27, v[2:3]
	v_sub_u32_e32 v2, 29, v16
	v_and_b32_e32 v16, 7, v27
	v_cndmask_b32_e32 v2, v24, v2, vcc
	v_cndmask_b32_e32 v14, v14, v16, vcc
	v_lshlrev_b32_e32 v16, 24, v29
	v_lshlrev_b32_e32 v14, 20, v14
	v_and_b32_e32 v16, 0x80000000, v16
	v_lshl_add_u32 v2, v2, 23, v57
	v_or3_b32 v14, v16, v2, v14
.LBB6_6693:                             ;   in Loop: Header=BB6_5851 Depth=2
	s_or_b64 exec, exec, s[88:89]
.LBB6_6694:                             ;   in Loop: Header=BB6_5851 Depth=2
	s_or_b64 exec, exec, s[78:79]
.LBB6_6695:                             ;   in Loop: Header=BB6_5851 Depth=2
	s_or_b64 exec, exec, s[18:19]
	v_add_f32_e32 v14, v15, v14
	v_and_b32_e32 v2, 0x7f800000, v14
	v_cmp_ne_u64_e32 vcc, s[46:47], v[2:3]
                                        ; implicit-def: $vgpr24
	s_and_saveexec_b64 s[18:19], vcc
	s_xor_b64 s[78:79], exec, s[18:19]
	s_cbranch_execz .LBB6_6713
; %bb.6696:                             ;   in Loop: Header=BB6_5851 Depth=2
	v_and_b32_e32 v2, 0x7fffffff, v14
	v_cmp_gt_u64_e32 vcc, s[56:57], v[2:3]
	v_and_b32_sdwa v27, v14, s49 dst_sel:DWORD dst_unused:UNUSED_PAD src0_sel:BYTE_3 src1_sel:DWORD
                                        ; implicit-def: $vgpr24
	s_and_saveexec_b64 s[18:19], vcc
	s_xor_b64 s[88:89], exec, s[18:19]
	s_cbranch_execz .LBB6_6710
; %bb.6697:                             ;   in Loop: Header=BB6_5851 Depth=2
	v_cmp_ne_u32_e32 vcc, 0, v14
	v_mov_b32_e32 v24, 0
	s_and_saveexec_b64 s[90:91], vcc
	s_cbranch_execz .LBB6_6709
; %bb.6698:                             ;   in Loop: Header=BB6_5851 Depth=2
	v_bfe_u32 v24, v14, 23, 8
	v_and_b32_e32 v2, 0x7fffff, v14
	v_cmp_gt_u32_e64 s[18:19], s51, v24
	v_sub_u32_e32 v14, 0x79, v24
	v_cmp_eq_u32_e32 vcc, 0, v24
	v_cndmask_b32_e64 v14, 0, v14, s[18:19]
	v_mov_b32_e32 v16, 0x78
	v_cndmask_b32_e32 v28, v14, v16, vcc
	v_or_b32_e32 v15, 0x800000, v2
	v_add_u32_e32 v14, 20, v28
	v_cndmask_b32_e32 v2, v15, v2, vcc
	v_lshlrev_b64 v[14:15], v14, -1
	v_add_u32_e32 v16, 19, v28
	v_lshlrev_b64 v[29:30], v16, 1
	v_bfi_b32 v15, v15, 0, 0
	v_bfi_b32 v14, v14, 0, v2
	v_cmp_eq_u64_e64 s[18:19], v[14:15], v[29:30]
	v_lshrrev_b64 v[14:15], v28, v[2:3]
	v_mov_b32_e32 v16, v15
	v_mov_b32_e32 v15, v14
	s_and_saveexec_b64 s[92:93], s[18:19]
; %bb.6699:                             ;   in Loop: Header=BB6_5851 Depth=2
	v_bfe_u32 v2, v14, 20, 1
	v_add_co_u32_e64 v2, s[18:19], v14, v2
	v_add_co_u32_e64 v15, s[18:19], -1, v2
; %bb.6700:                             ;   in Loop: Header=BB6_5851 Depth=2
	s_or_b64 exec, exec, s[92:93]
	v_add_u32_e32 v2, 0xffffff81, v24
	v_mov_b32_e32 v16, 0xffffff82
	v_cndmask_b32_e32 v2, v2, v16, vcc
	v_lshrrev_b32_e32 v16, 23, v14
	v_add3_u32 v28, v28, v2, v16
	v_add_u32_e32 v24, 6, v28
	v_and_b32_e32 v2, 0xfffff, v15
	v_add_u32_e32 v2, v2, v14
	v_cmp_ne_u32_e32 vcc, 0, v24
                                        ; implicit-def: $vgpr14_vgpr15
                                        ; implicit-def: $vgpr16
	s_and_saveexec_b64 s[18:19], vcc
	s_xor_b64 s[18:19], exec, s[18:19]
; %bb.6701:                             ;   in Loop: Header=BB6_5851 Depth=2
	v_cmp_lt_u64_e32 vcc, s[58:59], v[2:3]
	v_add_u32_e32 v14, 7, v28
	v_cndmask_b32_e32 v16, v24, v14, vcc
	v_cndmask_b32_e64 v14, 0, 1, vcc
	v_lshrrev_b64 v[14:15], v14, v[2:3]
; %bb.6702:                             ;   in Loop: Header=BB6_5851 Depth=2
	s_andn2_saveexec_b64 s[18:19], s[18:19]
; %bb.6703:                             ;   in Loop: Header=BB6_5851 Depth=2
	v_mov_b32_e32 v15, v3
	v_bfe_u32 v16, v2, 23, 1
	v_mov_b32_e32 v14, v2
; %bb.6704:                             ;   in Loop: Header=BB6_5851 Depth=2
	s_or_b64 exec, exec, s[18:19]
	v_lshrrev_b64 v[14:15], 20, v[14:15]
	v_cmp_gt_i32_e32 vcc, 16, v16
	v_cndmask_b32_e32 v15, 0, v15, vcc
	v_cndmask_b32_e32 v14, 7, v14, vcc
	v_cmp_ne_u64_e32 vcc, 0, v[14:15]
	v_cmp_ne_u32_e64 s[18:19], 0, v16
	s_or_b64 s[18:19], s[18:19], vcc
                                        ; implicit-def: $vgpr24
	s_and_saveexec_b64 s[92:93], s[18:19]
	s_xor_b64 s[18:19], exec, s[92:93]
; %bb.6705:                             ;   in Loop: Header=BB6_5851 Depth=2
	v_min_i32_e32 v2, 15, v16
	v_lshl_or_b32 v2, v2, 3, v27
	v_and_or_b32 v24, v14, 7, v2
                                        ; implicit-def: $vgpr27
; %bb.6706:                             ;   in Loop: Header=BB6_5851 Depth=2
	s_andn2_saveexec_b64 s[18:19], s[18:19]
; %bb.6707:                             ;   in Loop: Header=BB6_5851 Depth=2
	v_mov_b32_e32 v24, v27
; %bb.6708:                             ;   in Loop: Header=BB6_5851 Depth=2
	s_or_b64 exec, exec, s[18:19]
.LBB6_6709:                             ;   in Loop: Header=BB6_5851 Depth=2
	s_or_b64 exec, exec, s[90:91]
                                        ; implicit-def: $vgpr27
.LBB6_6710:                             ;   in Loop: Header=BB6_5851 Depth=2
	s_andn2_saveexec_b64 s[18:19], s[88:89]
; %bb.6711:                             ;   in Loop: Header=BB6_5851 Depth=2
	v_or_b32_e32 v24, 0x7e, v27
; %bb.6712:                             ;   in Loop: Header=BB6_5851 Depth=2
	s_or_b64 exec, exec, s[18:19]
                                        ; implicit-def: $vgpr14
.LBB6_6713:                             ;   in Loop: Header=BB6_5851 Depth=2
	s_andn2_saveexec_b64 s[18:19], s[78:79]
; %bb.6714:                             ;   in Loop: Header=BB6_5851 Depth=2
	v_or_b32_sdwa v24, v14, s50 dst_sel:DWORD dst_unused:UNUSED_PAD src0_sel:BYTE_3 src1_sel:DWORD
; %bb.6715:                             ;   in Loop: Header=BB6_5851 Depth=2
	s_or_b64 exec, exec, s[18:19]
	buffer_load_dword v2, off, s[0:3], s33 offset:116 ; 4-byte Folded Reload
	v_mov_b32_e32 v14, 0
	v_mov_b32_e32 v15, 0
	s_waitcnt vmcnt(0)
	v_and_b32_e32 v2, 0xff, v2
	v_cmp_ne_u16_e32 vcc, 0, v2
	s_and_saveexec_b64 s[18:19], vcc
	s_cbranch_execz .LBB6_6721
; %bb.6716:                             ;   in Loop: Header=BB6_5851 Depth=2
	v_cmp_ne_u16_e32 vcc, s49, v2
	v_bfrev_b32_e32 v15, 1
	s_and_saveexec_b64 s[78:79], vcc
	s_cbranch_execz .LBB6_6720
; %bb.6717:                             ;   in Loop: Header=BB6_5851 Depth=2
	buffer_load_dword v30, off, s[0:3], s33 offset:116 ; 4-byte Folded Reload
	v_mov_b32_e32 v15, 0x7f800001
	s_waitcnt vmcnt(0)
	v_and_b32_e32 v16, 0x7f, v30
	v_cmp_ne_u32_e32 vcc, s50, v16
	s_and_saveexec_b64 s[88:89], vcc
	s_cbranch_execz .LBB6_6719
; %bb.6718:                             ;   in Loop: Header=BB6_5851 Depth=2
	v_and_b32_e32 v27, 7, v2
	v_ffbh_u32_e32 v15, v27
	v_min_u32_e32 v29, 32, v15
	v_subrev_u32_e32 v15, 28, v29
	v_lshrrev_b32_e32 v28, 3, v16
	v_cmp_gt_u32_e32 vcc, 8, v16
	v_lshlrev_b64 v[15:16], v15, v[2:3]
	v_sub_u32_e32 v2, 29, v29
	v_and_b32_e32 v15, 7, v15
	v_cndmask_b32_e32 v2, v28, v2, vcc
	v_cndmask_b32_e32 v15, v27, v15, vcc
	v_lshlrev_b32_e32 v16, 24, v30
	v_lshlrev_b32_e32 v15, 20, v15
	v_and_b32_e32 v16, 0x80000000, v16
	v_lshl_add_u32 v2, v2, 23, v57
	v_or3_b32 v15, v16, v2, v15
.LBB6_6719:                             ;   in Loop: Header=BB6_5851 Depth=2
	s_or_b64 exec, exec, s[88:89]
.LBB6_6720:                             ;   in Loop: Header=BB6_5851 Depth=2
	s_or_b64 exec, exec, s[78:79]
.LBB6_6721:                             ;   in Loop: Header=BB6_5851 Depth=2
	s_or_b64 exec, exec, s[18:19]
	buffer_load_dword v2, off, s[0:3], s33 offset:112 ; 4-byte Folded Reload
	s_waitcnt vmcnt(0)
	v_and_b32_e32 v2, 0xff, v2
	v_cmp_ne_u16_e32 vcc, 0, v2
	s_and_saveexec_b64 s[18:19], vcc
	s_cbranch_execz .LBB6_6727
; %bb.6722:                             ;   in Loop: Header=BB6_5851 Depth=2
	v_cmp_ne_u16_e32 vcc, s49, v2
	v_bfrev_b32_e32 v14, 1
	s_and_saveexec_b64 s[78:79], vcc
	s_cbranch_execz .LBB6_6726
; %bb.6723:                             ;   in Loop: Header=BB6_5851 Depth=2
	buffer_load_dword v30, off, s[0:3], s33 offset:112 ; 4-byte Folded Reload
	v_mov_b32_e32 v14, 0x7f800001
	s_waitcnt vmcnt(0)
	v_and_b32_e32 v16, 0x7f, v30
	v_cmp_ne_u32_e32 vcc, s50, v16
	s_and_saveexec_b64 s[88:89], vcc
	s_cbranch_execz .LBB6_6725
; %bb.6724:                             ;   in Loop: Header=BB6_5851 Depth=2
	v_and_b32_e32 v14, 7, v2
	v_lshrrev_b32_e32 v29, 3, v16
	v_cmp_gt_u32_e32 vcc, 8, v16
	v_ffbh_u32_e32 v16, v14
	v_min_u32_e32 v16, 32, v16
	v_subrev_u32_e32 v27, 28, v16
	v_lshlrev_b64 v[27:28], v27, v[2:3]
	v_sub_u32_e32 v2, 29, v16
	v_and_b32_e32 v16, 7, v27
	v_cndmask_b32_e32 v2, v29, v2, vcc
	v_cndmask_b32_e32 v14, v14, v16, vcc
	v_lshlrev_b32_e32 v16, 24, v30
	v_lshlrev_b32_e32 v14, 20, v14
	v_and_b32_e32 v16, 0x80000000, v16
	v_lshl_add_u32 v2, v2, 23, v57
	v_or3_b32 v14, v16, v2, v14
.LBB6_6725:                             ;   in Loop: Header=BB6_5851 Depth=2
	s_or_b64 exec, exec, s[88:89]
.LBB6_6726:                             ;   in Loop: Header=BB6_5851 Depth=2
	s_or_b64 exec, exec, s[78:79]
.LBB6_6727:                             ;   in Loop: Header=BB6_5851 Depth=2
	s_or_b64 exec, exec, s[18:19]
	v_add_f32_e32 v14, v15, v14
	v_and_b32_e32 v2, 0x7f800000, v14
	v_cmp_ne_u64_e32 vcc, s[46:47], v[2:3]
                                        ; implicit-def: $vgpr27
	s_and_saveexec_b64 s[18:19], vcc
	s_xor_b64 s[78:79], exec, s[18:19]
	s_cbranch_execz .LBB6_6745
; %bb.6728:                             ;   in Loop: Header=BB6_5851 Depth=2
	v_and_b32_e32 v2, 0x7fffffff, v14
	v_cmp_gt_u64_e32 vcc, s[56:57], v[2:3]
	v_and_b32_sdwa v28, v14, s49 dst_sel:DWORD dst_unused:UNUSED_PAD src0_sel:BYTE_3 src1_sel:DWORD
                                        ; implicit-def: $vgpr27
	s_and_saveexec_b64 s[18:19], vcc
	s_xor_b64 s[88:89], exec, s[18:19]
	s_cbranch_execz .LBB6_6742
; %bb.6729:                             ;   in Loop: Header=BB6_5851 Depth=2
	v_cmp_ne_u32_e32 vcc, 0, v14
	v_mov_b32_e32 v27, 0
	s_and_saveexec_b64 s[90:91], vcc
	s_cbranch_execz .LBB6_6741
; %bb.6730:                             ;   in Loop: Header=BB6_5851 Depth=2
	v_bfe_u32 v27, v14, 23, 8
	v_and_b32_e32 v2, 0x7fffff, v14
	v_cmp_gt_u32_e64 s[18:19], s51, v27
	v_sub_u32_e32 v14, 0x79, v27
	v_cmp_eq_u32_e32 vcc, 0, v27
	v_cndmask_b32_e64 v14, 0, v14, s[18:19]
	v_mov_b32_e32 v16, 0x78
	v_cndmask_b32_e32 v29, v14, v16, vcc
	v_or_b32_e32 v15, 0x800000, v2
	v_add_u32_e32 v14, 20, v29
	v_cndmask_b32_e32 v2, v15, v2, vcc
	v_lshlrev_b64 v[14:15], v14, -1
	v_add_u32_e32 v16, 19, v29
	v_lshlrev_b64 v[30:31], v16, 1
	v_bfi_b32 v15, v15, 0, 0
	v_bfi_b32 v14, v14, 0, v2
	v_cmp_eq_u64_e64 s[18:19], v[14:15], v[30:31]
	v_lshrrev_b64 v[14:15], v29, v[2:3]
	v_mov_b32_e32 v16, v15
	v_mov_b32_e32 v15, v14
	s_and_saveexec_b64 s[92:93], s[18:19]
; %bb.6731:                             ;   in Loop: Header=BB6_5851 Depth=2
	v_bfe_u32 v2, v14, 20, 1
	v_add_co_u32_e64 v2, s[18:19], v14, v2
	v_add_co_u32_e64 v15, s[18:19], -1, v2
; %bb.6732:                             ;   in Loop: Header=BB6_5851 Depth=2
	s_or_b64 exec, exec, s[92:93]
	v_add_u32_e32 v2, 0xffffff81, v27
	v_mov_b32_e32 v16, 0xffffff82
	v_cndmask_b32_e32 v2, v2, v16, vcc
	v_lshrrev_b32_e32 v16, 23, v14
	v_add3_u32 v29, v29, v2, v16
	v_add_u32_e32 v27, 6, v29
	v_and_b32_e32 v2, 0xfffff, v15
	v_add_u32_e32 v2, v2, v14
	v_cmp_ne_u32_e32 vcc, 0, v27
                                        ; implicit-def: $vgpr14_vgpr15
                                        ; implicit-def: $vgpr16
	s_and_saveexec_b64 s[18:19], vcc
	s_xor_b64 s[18:19], exec, s[18:19]
; %bb.6733:                             ;   in Loop: Header=BB6_5851 Depth=2
	v_cmp_lt_u64_e32 vcc, s[58:59], v[2:3]
	v_add_u32_e32 v14, 7, v29
	v_cndmask_b32_e32 v16, v27, v14, vcc
	v_cndmask_b32_e64 v14, 0, 1, vcc
	v_lshrrev_b64 v[14:15], v14, v[2:3]
; %bb.6734:                             ;   in Loop: Header=BB6_5851 Depth=2
	s_andn2_saveexec_b64 s[18:19], s[18:19]
; %bb.6735:                             ;   in Loop: Header=BB6_5851 Depth=2
	v_mov_b32_e32 v15, v3
	v_bfe_u32 v16, v2, 23, 1
	v_mov_b32_e32 v14, v2
; %bb.6736:                             ;   in Loop: Header=BB6_5851 Depth=2
	s_or_b64 exec, exec, s[18:19]
	v_lshrrev_b64 v[14:15], 20, v[14:15]
	v_cmp_gt_i32_e32 vcc, 16, v16
	v_cndmask_b32_e32 v15, 0, v15, vcc
	v_cndmask_b32_e32 v14, 7, v14, vcc
	v_cmp_ne_u64_e32 vcc, 0, v[14:15]
	v_cmp_ne_u32_e64 s[18:19], 0, v16
	s_or_b64 s[18:19], s[18:19], vcc
                                        ; implicit-def: $vgpr27
	s_and_saveexec_b64 s[92:93], s[18:19]
	s_xor_b64 s[18:19], exec, s[92:93]
; %bb.6737:                             ;   in Loop: Header=BB6_5851 Depth=2
	v_min_i32_e32 v2, 15, v16
	v_lshl_or_b32 v2, v2, 3, v28
	v_and_or_b32 v27, v14, 7, v2
                                        ; implicit-def: $vgpr28
; %bb.6738:                             ;   in Loop: Header=BB6_5851 Depth=2
	s_andn2_saveexec_b64 s[18:19], s[18:19]
; %bb.6739:                             ;   in Loop: Header=BB6_5851 Depth=2
	v_mov_b32_e32 v27, v28
; %bb.6740:                             ;   in Loop: Header=BB6_5851 Depth=2
	s_or_b64 exec, exec, s[18:19]
.LBB6_6741:                             ;   in Loop: Header=BB6_5851 Depth=2
	s_or_b64 exec, exec, s[90:91]
                                        ; implicit-def: $vgpr28
.LBB6_6742:                             ;   in Loop: Header=BB6_5851 Depth=2
	s_andn2_saveexec_b64 s[18:19], s[88:89]
; %bb.6743:                             ;   in Loop: Header=BB6_5851 Depth=2
	v_or_b32_e32 v27, 0x7e, v28
; %bb.6744:                             ;   in Loop: Header=BB6_5851 Depth=2
	s_or_b64 exec, exec, s[18:19]
                                        ; implicit-def: $vgpr14
.LBB6_6745:                             ;   in Loop: Header=BB6_5851 Depth=2
	s_andn2_saveexec_b64 s[18:19], s[78:79]
; %bb.6746:                             ;   in Loop: Header=BB6_5851 Depth=2
	v_or_b32_sdwa v27, v14, s50 dst_sel:DWORD dst_unused:UNUSED_PAD src0_sel:BYTE_3 src1_sel:DWORD
; %bb.6747:                             ;   in Loop: Header=BB6_5851 Depth=2
	s_or_b64 exec, exec, s[18:19]
	buffer_load_dword v2, off, s[0:3], s33 offset:108 ; 4-byte Folded Reload
	v_mov_b32_e32 v14, 0
	v_mov_b32_e32 v15, 0
	s_waitcnt vmcnt(0)
	v_and_b32_e32 v2, 0xff, v2
	v_cmp_ne_u16_e32 vcc, 0, v2
	s_and_saveexec_b64 s[18:19], vcc
	s_cbranch_execz .LBB6_6753
; %bb.6748:                             ;   in Loop: Header=BB6_5851 Depth=2
	v_cmp_ne_u16_e32 vcc, s49, v2
	v_bfrev_b32_e32 v15, 1
	s_and_saveexec_b64 s[78:79], vcc
	s_cbranch_execz .LBB6_6752
; %bb.6749:                             ;   in Loop: Header=BB6_5851 Depth=2
	buffer_load_dword v31, off, s[0:3], s33 offset:108 ; 4-byte Folded Reload
	v_mov_b32_e32 v15, 0x7f800001
	s_waitcnt vmcnt(0)
	v_and_b32_e32 v16, 0x7f, v31
	v_cmp_ne_u32_e32 vcc, s50, v16
	s_and_saveexec_b64 s[88:89], vcc
	s_cbranch_execz .LBB6_6751
; %bb.6750:                             ;   in Loop: Header=BB6_5851 Depth=2
	v_and_b32_e32 v28, 7, v2
	v_ffbh_u32_e32 v15, v28
	v_min_u32_e32 v30, 32, v15
	v_subrev_u32_e32 v15, 28, v30
	v_lshrrev_b32_e32 v29, 3, v16
	v_cmp_gt_u32_e32 vcc, 8, v16
	v_lshlrev_b64 v[15:16], v15, v[2:3]
	v_sub_u32_e32 v2, 29, v30
	v_and_b32_e32 v15, 7, v15
	v_cndmask_b32_e32 v2, v29, v2, vcc
	v_cndmask_b32_e32 v15, v28, v15, vcc
	v_lshlrev_b32_e32 v16, 24, v31
	v_lshlrev_b32_e32 v15, 20, v15
	v_and_b32_e32 v16, 0x80000000, v16
	v_lshl_add_u32 v2, v2, 23, v57
	v_or3_b32 v15, v16, v2, v15
.LBB6_6751:                             ;   in Loop: Header=BB6_5851 Depth=2
	s_or_b64 exec, exec, s[88:89]
.LBB6_6752:                             ;   in Loop: Header=BB6_5851 Depth=2
	s_or_b64 exec, exec, s[78:79]
.LBB6_6753:                             ;   in Loop: Header=BB6_5851 Depth=2
	s_or_b64 exec, exec, s[18:19]
	buffer_load_dword v2, off, s[0:3], s33 offset:104 ; 4-byte Folded Reload
	s_waitcnt vmcnt(0)
	v_and_b32_e32 v2, 0xff, v2
	v_cmp_ne_u16_e32 vcc, 0, v2
	s_and_saveexec_b64 s[18:19], vcc
	s_cbranch_execz .LBB6_6759
; %bb.6754:                             ;   in Loop: Header=BB6_5851 Depth=2
	v_cmp_ne_u16_e32 vcc, s49, v2
	v_bfrev_b32_e32 v14, 1
	s_and_saveexec_b64 s[78:79], vcc
	s_cbranch_execz .LBB6_6758
; %bb.6755:                             ;   in Loop: Header=BB6_5851 Depth=2
	buffer_load_dword v31, off, s[0:3], s33 offset:104 ; 4-byte Folded Reload
	v_mov_b32_e32 v14, 0x7f800001
	s_waitcnt vmcnt(0)
	v_and_b32_e32 v16, 0x7f, v31
	v_cmp_ne_u32_e32 vcc, s50, v16
	s_and_saveexec_b64 s[88:89], vcc
	s_cbranch_execz .LBB6_6757
; %bb.6756:                             ;   in Loop: Header=BB6_5851 Depth=2
	v_and_b32_e32 v14, 7, v2
	v_lshrrev_b32_e32 v30, 3, v16
	v_cmp_gt_u32_e32 vcc, 8, v16
	v_ffbh_u32_e32 v16, v14
	v_min_u32_e32 v16, 32, v16
	v_subrev_u32_e32 v28, 28, v16
	v_lshlrev_b64 v[28:29], v28, v[2:3]
	v_sub_u32_e32 v2, 29, v16
	v_and_b32_e32 v16, 7, v28
	v_cndmask_b32_e32 v2, v30, v2, vcc
	v_cndmask_b32_e32 v14, v14, v16, vcc
	v_lshlrev_b32_e32 v16, 24, v31
	v_lshlrev_b32_e32 v14, 20, v14
	v_and_b32_e32 v16, 0x80000000, v16
	v_lshl_add_u32 v2, v2, 23, v57
	v_or3_b32 v14, v16, v2, v14
.LBB6_6757:                             ;   in Loop: Header=BB6_5851 Depth=2
	s_or_b64 exec, exec, s[88:89]
.LBB6_6758:                             ;   in Loop: Header=BB6_5851 Depth=2
	s_or_b64 exec, exec, s[78:79]
.LBB6_6759:                             ;   in Loop: Header=BB6_5851 Depth=2
	s_or_b64 exec, exec, s[18:19]
	v_add_f32_e32 v14, v15, v14
	v_and_b32_e32 v2, 0x7f800000, v14
	v_cmp_ne_u64_e32 vcc, s[46:47], v[2:3]
                                        ; implicit-def: $vgpr28
	s_and_saveexec_b64 s[18:19], vcc
	s_xor_b64 s[78:79], exec, s[18:19]
	s_cbranch_execz .LBB6_6777
; %bb.6760:                             ;   in Loop: Header=BB6_5851 Depth=2
	v_and_b32_e32 v2, 0x7fffffff, v14
	v_cmp_gt_u64_e32 vcc, s[56:57], v[2:3]
	v_and_b32_sdwa v29, v14, s49 dst_sel:DWORD dst_unused:UNUSED_PAD src0_sel:BYTE_3 src1_sel:DWORD
                                        ; implicit-def: $vgpr28
	s_and_saveexec_b64 s[18:19], vcc
	s_xor_b64 s[88:89], exec, s[18:19]
	s_cbranch_execz .LBB6_6774
; %bb.6761:                             ;   in Loop: Header=BB6_5851 Depth=2
	v_cmp_ne_u32_e32 vcc, 0, v14
	v_mov_b32_e32 v28, 0
	s_and_saveexec_b64 s[90:91], vcc
	s_cbranch_execz .LBB6_6773
; %bb.6762:                             ;   in Loop: Header=BB6_5851 Depth=2
	v_bfe_u32 v28, v14, 23, 8
	v_and_b32_e32 v2, 0x7fffff, v14
	v_cmp_gt_u32_e64 s[18:19], s51, v28
	v_sub_u32_e32 v14, 0x79, v28
	v_cmp_eq_u32_e32 vcc, 0, v28
	v_cndmask_b32_e64 v14, 0, v14, s[18:19]
	v_mov_b32_e32 v16, 0x78
	v_cndmask_b32_e32 v30, v14, v16, vcc
	v_or_b32_e32 v15, 0x800000, v2
	v_add_u32_e32 v14, 20, v30
	v_cndmask_b32_e32 v2, v15, v2, vcc
	v_lshlrev_b64 v[14:15], v14, -1
	v_add_u32_e32 v16, 19, v30
	v_lshlrev_b64 v[31:32], v16, 1
	v_bfi_b32 v15, v15, 0, 0
	v_bfi_b32 v14, v14, 0, v2
	v_cmp_eq_u64_e64 s[18:19], v[14:15], v[31:32]
	v_lshrrev_b64 v[14:15], v30, v[2:3]
	v_mov_b32_e32 v16, v15
	v_mov_b32_e32 v15, v14
	s_and_saveexec_b64 s[92:93], s[18:19]
; %bb.6763:                             ;   in Loop: Header=BB6_5851 Depth=2
	v_bfe_u32 v2, v14, 20, 1
	v_add_co_u32_e64 v2, s[18:19], v14, v2
	v_add_co_u32_e64 v15, s[18:19], -1, v2
; %bb.6764:                             ;   in Loop: Header=BB6_5851 Depth=2
	s_or_b64 exec, exec, s[92:93]
	v_add_u32_e32 v2, 0xffffff81, v28
	v_mov_b32_e32 v16, 0xffffff82
	v_cndmask_b32_e32 v2, v2, v16, vcc
	v_lshrrev_b32_e32 v16, 23, v14
	v_add3_u32 v30, v30, v2, v16
	v_add_u32_e32 v28, 6, v30
	v_and_b32_e32 v2, 0xfffff, v15
	v_add_u32_e32 v2, v2, v14
	v_cmp_ne_u32_e32 vcc, 0, v28
                                        ; implicit-def: $vgpr14_vgpr15
                                        ; implicit-def: $vgpr16
	s_and_saveexec_b64 s[18:19], vcc
	s_xor_b64 s[18:19], exec, s[18:19]
; %bb.6765:                             ;   in Loop: Header=BB6_5851 Depth=2
	v_cmp_lt_u64_e32 vcc, s[58:59], v[2:3]
	v_add_u32_e32 v14, 7, v30
	v_cndmask_b32_e32 v16, v28, v14, vcc
	v_cndmask_b32_e64 v14, 0, 1, vcc
	v_lshrrev_b64 v[14:15], v14, v[2:3]
; %bb.6766:                             ;   in Loop: Header=BB6_5851 Depth=2
	s_andn2_saveexec_b64 s[18:19], s[18:19]
; %bb.6767:                             ;   in Loop: Header=BB6_5851 Depth=2
	v_mov_b32_e32 v15, v3
	v_bfe_u32 v16, v2, 23, 1
	v_mov_b32_e32 v14, v2
; %bb.6768:                             ;   in Loop: Header=BB6_5851 Depth=2
	s_or_b64 exec, exec, s[18:19]
	v_lshrrev_b64 v[14:15], 20, v[14:15]
	v_cmp_gt_i32_e32 vcc, 16, v16
	v_cndmask_b32_e32 v15, 0, v15, vcc
	v_cndmask_b32_e32 v14, 7, v14, vcc
	v_cmp_ne_u64_e32 vcc, 0, v[14:15]
	v_cmp_ne_u32_e64 s[18:19], 0, v16
	s_or_b64 s[18:19], s[18:19], vcc
                                        ; implicit-def: $vgpr28
	s_and_saveexec_b64 s[92:93], s[18:19]
	s_xor_b64 s[18:19], exec, s[92:93]
; %bb.6769:                             ;   in Loop: Header=BB6_5851 Depth=2
	v_min_i32_e32 v2, 15, v16
	v_lshl_or_b32 v2, v2, 3, v29
	v_and_or_b32 v28, v14, 7, v2
                                        ; implicit-def: $vgpr29
; %bb.6770:                             ;   in Loop: Header=BB6_5851 Depth=2
	s_andn2_saveexec_b64 s[18:19], s[18:19]
; %bb.6771:                             ;   in Loop: Header=BB6_5851 Depth=2
	v_mov_b32_e32 v28, v29
; %bb.6772:                             ;   in Loop: Header=BB6_5851 Depth=2
	s_or_b64 exec, exec, s[18:19]
.LBB6_6773:                             ;   in Loop: Header=BB6_5851 Depth=2
	s_or_b64 exec, exec, s[90:91]
                                        ; implicit-def: $vgpr29
.LBB6_6774:                             ;   in Loop: Header=BB6_5851 Depth=2
	s_andn2_saveexec_b64 s[18:19], s[88:89]
; %bb.6775:                             ;   in Loop: Header=BB6_5851 Depth=2
	v_or_b32_e32 v28, 0x7e, v29
; %bb.6776:                             ;   in Loop: Header=BB6_5851 Depth=2
	s_or_b64 exec, exec, s[18:19]
                                        ; implicit-def: $vgpr14
.LBB6_6777:                             ;   in Loop: Header=BB6_5851 Depth=2
	s_andn2_saveexec_b64 s[18:19], s[78:79]
; %bb.6778:                             ;   in Loop: Header=BB6_5851 Depth=2
	v_or_b32_sdwa v28, v14, s50 dst_sel:DWORD dst_unused:UNUSED_PAD src0_sel:BYTE_3 src1_sel:DWORD
; %bb.6779:                             ;   in Loop: Header=BB6_5851 Depth=2
	s_or_b64 exec, exec, s[18:19]
	buffer_load_dword v2, off, s[0:3], s33 offset:100 ; 4-byte Folded Reload
	v_mov_b32_e32 v14, 0
	v_mov_b32_e32 v15, 0
	s_waitcnt vmcnt(0)
	v_and_b32_e32 v2, 0xff, v2
	v_cmp_ne_u16_e32 vcc, 0, v2
	s_and_saveexec_b64 s[18:19], vcc
	s_cbranch_execz .LBB6_6785
; %bb.6780:                             ;   in Loop: Header=BB6_5851 Depth=2
	v_cmp_ne_u16_e32 vcc, s49, v2
	v_bfrev_b32_e32 v15, 1
	s_and_saveexec_b64 s[78:79], vcc
	s_cbranch_execz .LBB6_6784
; %bb.6781:                             ;   in Loop: Header=BB6_5851 Depth=2
	buffer_load_dword v32, off, s[0:3], s33 offset:100 ; 4-byte Folded Reload
	v_mov_b32_e32 v15, 0x7f800001
	s_waitcnt vmcnt(0)
	v_and_b32_e32 v16, 0x7f, v32
	v_cmp_ne_u32_e32 vcc, s50, v16
	s_and_saveexec_b64 s[88:89], vcc
	s_cbranch_execz .LBB6_6783
; %bb.6782:                             ;   in Loop: Header=BB6_5851 Depth=2
	v_and_b32_e32 v29, 7, v2
	v_ffbh_u32_e32 v15, v29
	v_min_u32_e32 v31, 32, v15
	v_subrev_u32_e32 v15, 28, v31
	v_lshrrev_b32_e32 v30, 3, v16
	v_cmp_gt_u32_e32 vcc, 8, v16
	v_lshlrev_b64 v[15:16], v15, v[2:3]
	v_sub_u32_e32 v2, 29, v31
	v_and_b32_e32 v15, 7, v15
	v_cndmask_b32_e32 v2, v30, v2, vcc
	v_cndmask_b32_e32 v15, v29, v15, vcc
	v_lshlrev_b32_e32 v16, 24, v32
	v_lshlrev_b32_e32 v15, 20, v15
	v_and_b32_e32 v16, 0x80000000, v16
	v_lshl_add_u32 v2, v2, 23, v57
	v_or3_b32 v15, v16, v2, v15
.LBB6_6783:                             ;   in Loop: Header=BB6_5851 Depth=2
	s_or_b64 exec, exec, s[88:89]
.LBB6_6784:                             ;   in Loop: Header=BB6_5851 Depth=2
	s_or_b64 exec, exec, s[78:79]
.LBB6_6785:                             ;   in Loop: Header=BB6_5851 Depth=2
	s_or_b64 exec, exec, s[18:19]
	buffer_load_dword v2, off, s[0:3], s33 offset:96 ; 4-byte Folded Reload
	s_waitcnt vmcnt(0)
	v_and_b32_e32 v2, 0xff, v2
	v_cmp_ne_u16_e32 vcc, 0, v2
	s_and_saveexec_b64 s[18:19], vcc
	s_cbranch_execz .LBB6_6791
; %bb.6786:                             ;   in Loop: Header=BB6_5851 Depth=2
	v_cmp_ne_u16_e32 vcc, s49, v2
	v_bfrev_b32_e32 v14, 1
	s_and_saveexec_b64 s[78:79], vcc
	s_cbranch_execz .LBB6_6790
; %bb.6787:                             ;   in Loop: Header=BB6_5851 Depth=2
	buffer_load_dword v32, off, s[0:3], s33 offset:96 ; 4-byte Folded Reload
	v_mov_b32_e32 v14, 0x7f800001
	s_waitcnt vmcnt(0)
	v_and_b32_e32 v16, 0x7f, v32
	v_cmp_ne_u32_e32 vcc, s50, v16
	s_and_saveexec_b64 s[88:89], vcc
	s_cbranch_execz .LBB6_6789
; %bb.6788:                             ;   in Loop: Header=BB6_5851 Depth=2
	v_and_b32_e32 v14, 7, v2
	v_lshrrev_b32_e32 v31, 3, v16
	v_cmp_gt_u32_e32 vcc, 8, v16
	v_ffbh_u32_e32 v16, v14
	v_min_u32_e32 v16, 32, v16
	v_subrev_u32_e32 v29, 28, v16
	v_lshlrev_b64 v[29:30], v29, v[2:3]
	v_sub_u32_e32 v2, 29, v16
	v_and_b32_e32 v16, 7, v29
	v_cndmask_b32_e32 v2, v31, v2, vcc
	v_cndmask_b32_e32 v14, v14, v16, vcc
	v_lshlrev_b32_e32 v16, 24, v32
	v_lshlrev_b32_e32 v14, 20, v14
	v_and_b32_e32 v16, 0x80000000, v16
	v_lshl_add_u32 v2, v2, 23, v57
	v_or3_b32 v14, v16, v2, v14
.LBB6_6789:                             ;   in Loop: Header=BB6_5851 Depth=2
	s_or_b64 exec, exec, s[88:89]
.LBB6_6790:                             ;   in Loop: Header=BB6_5851 Depth=2
	s_or_b64 exec, exec, s[78:79]
.LBB6_6791:                             ;   in Loop: Header=BB6_5851 Depth=2
	s_or_b64 exec, exec, s[18:19]
	v_add_f32_e32 v14, v15, v14
	v_and_b32_e32 v2, 0x7f800000, v14
	v_cmp_ne_u64_e32 vcc, s[46:47], v[2:3]
                                        ; implicit-def: $vgpr29
	s_and_saveexec_b64 s[18:19], vcc
	s_xor_b64 s[78:79], exec, s[18:19]
	s_cbranch_execz .LBB6_6809
; %bb.6792:                             ;   in Loop: Header=BB6_5851 Depth=2
	v_and_b32_e32 v2, 0x7fffffff, v14
	v_cmp_gt_u64_e32 vcc, s[56:57], v[2:3]
	v_and_b32_sdwa v30, v14, s49 dst_sel:DWORD dst_unused:UNUSED_PAD src0_sel:BYTE_3 src1_sel:DWORD
                                        ; implicit-def: $vgpr29
	s_and_saveexec_b64 s[18:19], vcc
	s_xor_b64 s[88:89], exec, s[18:19]
	s_cbranch_execz .LBB6_6806
; %bb.6793:                             ;   in Loop: Header=BB6_5851 Depth=2
	v_cmp_ne_u32_e32 vcc, 0, v14
	v_mov_b32_e32 v29, 0
	s_and_saveexec_b64 s[90:91], vcc
	s_cbranch_execz .LBB6_6805
; %bb.6794:                             ;   in Loop: Header=BB6_5851 Depth=2
	v_bfe_u32 v29, v14, 23, 8
	v_and_b32_e32 v2, 0x7fffff, v14
	v_cmp_gt_u32_e64 s[18:19], s51, v29
	v_sub_u32_e32 v14, 0x79, v29
	v_cmp_eq_u32_e32 vcc, 0, v29
	v_cndmask_b32_e64 v14, 0, v14, s[18:19]
	v_mov_b32_e32 v16, 0x78
	v_cndmask_b32_e32 v31, v14, v16, vcc
	v_or_b32_e32 v15, 0x800000, v2
	v_add_u32_e32 v14, 20, v31
	v_cndmask_b32_e32 v2, v15, v2, vcc
	v_lshlrev_b64 v[14:15], v14, -1
	v_add_u32_e32 v16, 19, v31
	v_lshlrev_b64 v[32:33], v16, 1
	v_bfi_b32 v15, v15, 0, 0
	v_bfi_b32 v14, v14, 0, v2
	v_cmp_eq_u64_e64 s[18:19], v[14:15], v[32:33]
	v_lshrrev_b64 v[14:15], v31, v[2:3]
	v_mov_b32_e32 v16, v15
	v_mov_b32_e32 v15, v14
	s_and_saveexec_b64 s[92:93], s[18:19]
; %bb.6795:                             ;   in Loop: Header=BB6_5851 Depth=2
	v_bfe_u32 v2, v14, 20, 1
	v_add_co_u32_e64 v2, s[18:19], v14, v2
	v_add_co_u32_e64 v15, s[18:19], -1, v2
; %bb.6796:                             ;   in Loop: Header=BB6_5851 Depth=2
	s_or_b64 exec, exec, s[92:93]
	v_add_u32_e32 v2, 0xffffff81, v29
	v_mov_b32_e32 v16, 0xffffff82
	v_cndmask_b32_e32 v2, v2, v16, vcc
	v_lshrrev_b32_e32 v16, 23, v14
	v_add3_u32 v31, v31, v2, v16
	v_add_u32_e32 v29, 6, v31
	v_and_b32_e32 v2, 0xfffff, v15
	v_add_u32_e32 v2, v2, v14
	v_cmp_ne_u32_e32 vcc, 0, v29
                                        ; implicit-def: $vgpr14_vgpr15
                                        ; implicit-def: $vgpr16
	s_and_saveexec_b64 s[18:19], vcc
	s_xor_b64 s[18:19], exec, s[18:19]
; %bb.6797:                             ;   in Loop: Header=BB6_5851 Depth=2
	v_cmp_lt_u64_e32 vcc, s[58:59], v[2:3]
	v_add_u32_e32 v14, 7, v31
	v_cndmask_b32_e32 v16, v29, v14, vcc
	v_cndmask_b32_e64 v14, 0, 1, vcc
	v_lshrrev_b64 v[14:15], v14, v[2:3]
; %bb.6798:                             ;   in Loop: Header=BB6_5851 Depth=2
	s_andn2_saveexec_b64 s[18:19], s[18:19]
; %bb.6799:                             ;   in Loop: Header=BB6_5851 Depth=2
	v_mov_b32_e32 v15, v3
	v_bfe_u32 v16, v2, 23, 1
	v_mov_b32_e32 v14, v2
; %bb.6800:                             ;   in Loop: Header=BB6_5851 Depth=2
	s_or_b64 exec, exec, s[18:19]
	v_lshrrev_b64 v[14:15], 20, v[14:15]
	v_cmp_gt_i32_e32 vcc, 16, v16
	v_cndmask_b32_e32 v15, 0, v15, vcc
	v_cndmask_b32_e32 v14, 7, v14, vcc
	v_cmp_ne_u64_e32 vcc, 0, v[14:15]
	v_cmp_ne_u32_e64 s[18:19], 0, v16
	s_or_b64 s[18:19], s[18:19], vcc
                                        ; implicit-def: $vgpr29
	s_and_saveexec_b64 s[92:93], s[18:19]
	s_xor_b64 s[18:19], exec, s[92:93]
; %bb.6801:                             ;   in Loop: Header=BB6_5851 Depth=2
	v_min_i32_e32 v2, 15, v16
	v_lshl_or_b32 v2, v2, 3, v30
	v_and_or_b32 v29, v14, 7, v2
                                        ; implicit-def: $vgpr30
; %bb.6802:                             ;   in Loop: Header=BB6_5851 Depth=2
	s_andn2_saveexec_b64 s[18:19], s[18:19]
; %bb.6803:                             ;   in Loop: Header=BB6_5851 Depth=2
	v_mov_b32_e32 v29, v30
; %bb.6804:                             ;   in Loop: Header=BB6_5851 Depth=2
	s_or_b64 exec, exec, s[18:19]
.LBB6_6805:                             ;   in Loop: Header=BB6_5851 Depth=2
	s_or_b64 exec, exec, s[90:91]
                                        ; implicit-def: $vgpr30
.LBB6_6806:                             ;   in Loop: Header=BB6_5851 Depth=2
	s_andn2_saveexec_b64 s[18:19], s[88:89]
; %bb.6807:                             ;   in Loop: Header=BB6_5851 Depth=2
	v_or_b32_e32 v29, 0x7e, v30
; %bb.6808:                             ;   in Loop: Header=BB6_5851 Depth=2
	s_or_b64 exec, exec, s[18:19]
                                        ; implicit-def: $vgpr14
.LBB6_6809:                             ;   in Loop: Header=BB6_5851 Depth=2
	s_andn2_saveexec_b64 s[18:19], s[78:79]
; %bb.6810:                             ;   in Loop: Header=BB6_5851 Depth=2
	v_or_b32_sdwa v29, v14, s50 dst_sel:DWORD dst_unused:UNUSED_PAD src0_sel:BYTE_3 src1_sel:DWORD
; %bb.6811:                             ;   in Loop: Header=BB6_5851 Depth=2
	s_or_b64 exec, exec, s[18:19]
	buffer_load_dword v2, off, s[0:3], s33 offset:92 ; 4-byte Folded Reload
	v_mov_b32_e32 v14, 0
	v_mov_b32_e32 v15, 0
	s_waitcnt vmcnt(0)
	v_and_b32_e32 v2, 0xff, v2
	v_cmp_ne_u16_e32 vcc, 0, v2
	s_and_saveexec_b64 s[18:19], vcc
	s_cbranch_execz .LBB6_6817
; %bb.6812:                             ;   in Loop: Header=BB6_5851 Depth=2
	v_cmp_ne_u16_e32 vcc, s49, v2
	v_bfrev_b32_e32 v15, 1
	s_and_saveexec_b64 s[78:79], vcc
	s_cbranch_execz .LBB6_6816
; %bb.6813:                             ;   in Loop: Header=BB6_5851 Depth=2
	buffer_load_dword v33, off, s[0:3], s33 offset:92 ; 4-byte Folded Reload
	v_mov_b32_e32 v15, 0x7f800001
	s_waitcnt vmcnt(0)
	v_and_b32_e32 v16, 0x7f, v33
	v_cmp_ne_u32_e32 vcc, s50, v16
	s_and_saveexec_b64 s[88:89], vcc
	s_cbranch_execz .LBB6_6815
; %bb.6814:                             ;   in Loop: Header=BB6_5851 Depth=2
	v_and_b32_e32 v30, 7, v2
	v_ffbh_u32_e32 v15, v30
	v_min_u32_e32 v32, 32, v15
	v_subrev_u32_e32 v15, 28, v32
	v_lshrrev_b32_e32 v31, 3, v16
	v_cmp_gt_u32_e32 vcc, 8, v16
	v_lshlrev_b64 v[15:16], v15, v[2:3]
	v_sub_u32_e32 v2, 29, v32
	v_and_b32_e32 v15, 7, v15
	v_cndmask_b32_e32 v2, v31, v2, vcc
	v_cndmask_b32_e32 v15, v30, v15, vcc
	v_lshlrev_b32_e32 v16, 24, v33
	v_lshlrev_b32_e32 v15, 20, v15
	v_and_b32_e32 v16, 0x80000000, v16
	v_lshl_add_u32 v2, v2, 23, v57
	v_or3_b32 v15, v16, v2, v15
.LBB6_6815:                             ;   in Loop: Header=BB6_5851 Depth=2
	s_or_b64 exec, exec, s[88:89]
.LBB6_6816:                             ;   in Loop: Header=BB6_5851 Depth=2
	s_or_b64 exec, exec, s[78:79]
.LBB6_6817:                             ;   in Loop: Header=BB6_5851 Depth=2
	s_or_b64 exec, exec, s[18:19]
	buffer_load_dword v2, off, s[0:3], s33 offset:88 ; 4-byte Folded Reload
	s_waitcnt vmcnt(0)
	v_and_b32_e32 v2, 0xff, v2
	v_cmp_ne_u16_e32 vcc, 0, v2
	s_and_saveexec_b64 s[18:19], vcc
	s_cbranch_execz .LBB6_6823
; %bb.6818:                             ;   in Loop: Header=BB6_5851 Depth=2
	v_cmp_ne_u16_e32 vcc, s49, v2
	v_bfrev_b32_e32 v14, 1
	s_and_saveexec_b64 s[78:79], vcc
	s_cbranch_execz .LBB6_6822
; %bb.6819:                             ;   in Loop: Header=BB6_5851 Depth=2
	buffer_load_dword v33, off, s[0:3], s33 offset:88 ; 4-byte Folded Reload
	v_mov_b32_e32 v14, 0x7f800001
	s_waitcnt vmcnt(0)
	v_and_b32_e32 v16, 0x7f, v33
	v_cmp_ne_u32_e32 vcc, s50, v16
	s_and_saveexec_b64 s[88:89], vcc
	s_cbranch_execz .LBB6_6821
; %bb.6820:                             ;   in Loop: Header=BB6_5851 Depth=2
	v_and_b32_e32 v14, 7, v2
	v_lshrrev_b32_e32 v32, 3, v16
	v_cmp_gt_u32_e32 vcc, 8, v16
	v_ffbh_u32_e32 v16, v14
	v_min_u32_e32 v16, 32, v16
	v_subrev_u32_e32 v30, 28, v16
	v_lshlrev_b64 v[30:31], v30, v[2:3]
	v_sub_u32_e32 v2, 29, v16
	v_and_b32_e32 v16, 7, v30
	v_cndmask_b32_e32 v2, v32, v2, vcc
	v_cndmask_b32_e32 v14, v14, v16, vcc
	v_lshlrev_b32_e32 v16, 24, v33
	v_lshlrev_b32_e32 v14, 20, v14
	v_and_b32_e32 v16, 0x80000000, v16
	v_lshl_add_u32 v2, v2, 23, v57
	v_or3_b32 v14, v16, v2, v14
.LBB6_6821:                             ;   in Loop: Header=BB6_5851 Depth=2
	s_or_b64 exec, exec, s[88:89]
.LBB6_6822:                             ;   in Loop: Header=BB6_5851 Depth=2
	s_or_b64 exec, exec, s[78:79]
.LBB6_6823:                             ;   in Loop: Header=BB6_5851 Depth=2
	s_or_b64 exec, exec, s[18:19]
	v_add_f32_e32 v14, v15, v14
	v_and_b32_e32 v2, 0x7f800000, v14
	v_cmp_ne_u64_e32 vcc, s[46:47], v[2:3]
                                        ; implicit-def: $vgpr30
	s_and_saveexec_b64 s[18:19], vcc
	s_xor_b64 s[78:79], exec, s[18:19]
	s_cbranch_execz .LBB6_6841
; %bb.6824:                             ;   in Loop: Header=BB6_5851 Depth=2
	v_and_b32_e32 v2, 0x7fffffff, v14
	v_cmp_gt_u64_e32 vcc, s[56:57], v[2:3]
	v_and_b32_sdwa v31, v14, s49 dst_sel:DWORD dst_unused:UNUSED_PAD src0_sel:BYTE_3 src1_sel:DWORD
                                        ; implicit-def: $vgpr30
	s_and_saveexec_b64 s[18:19], vcc
	s_xor_b64 s[88:89], exec, s[18:19]
	s_cbranch_execz .LBB6_6838
; %bb.6825:                             ;   in Loop: Header=BB6_5851 Depth=2
	v_cmp_ne_u32_e32 vcc, 0, v14
	v_mov_b32_e32 v30, 0
	s_and_saveexec_b64 s[90:91], vcc
	s_cbranch_execz .LBB6_6837
; %bb.6826:                             ;   in Loop: Header=BB6_5851 Depth=2
	v_bfe_u32 v30, v14, 23, 8
	v_and_b32_e32 v2, 0x7fffff, v14
	v_cmp_gt_u32_e64 s[18:19], s51, v30
	v_sub_u32_e32 v14, 0x79, v30
	v_cmp_eq_u32_e32 vcc, 0, v30
	v_cndmask_b32_e64 v14, 0, v14, s[18:19]
	v_mov_b32_e32 v16, 0x78
	v_cndmask_b32_e32 v32, v14, v16, vcc
	v_or_b32_e32 v15, 0x800000, v2
	v_add_u32_e32 v14, 20, v32
	v_cndmask_b32_e32 v2, v15, v2, vcc
	v_lshlrev_b64 v[14:15], v14, -1
	v_add_u32_e32 v16, 19, v32
	v_lshlrev_b64 v[33:34], v16, 1
	v_bfi_b32 v15, v15, 0, 0
	v_bfi_b32 v14, v14, 0, v2
	v_cmp_eq_u64_e64 s[18:19], v[14:15], v[33:34]
	v_lshrrev_b64 v[14:15], v32, v[2:3]
	v_mov_b32_e32 v16, v15
	v_mov_b32_e32 v15, v14
	s_and_saveexec_b64 s[92:93], s[18:19]
; %bb.6827:                             ;   in Loop: Header=BB6_5851 Depth=2
	v_bfe_u32 v2, v14, 20, 1
	v_add_co_u32_e64 v2, s[18:19], v14, v2
	v_add_co_u32_e64 v15, s[18:19], -1, v2
; %bb.6828:                             ;   in Loop: Header=BB6_5851 Depth=2
	s_or_b64 exec, exec, s[92:93]
	v_add_u32_e32 v2, 0xffffff81, v30
	v_mov_b32_e32 v16, 0xffffff82
	v_cndmask_b32_e32 v2, v2, v16, vcc
	v_lshrrev_b32_e32 v16, 23, v14
	v_add3_u32 v32, v32, v2, v16
	v_add_u32_e32 v30, 6, v32
	v_and_b32_e32 v2, 0xfffff, v15
	v_add_u32_e32 v2, v2, v14
	v_cmp_ne_u32_e32 vcc, 0, v30
                                        ; implicit-def: $vgpr14_vgpr15
                                        ; implicit-def: $vgpr16
	s_and_saveexec_b64 s[18:19], vcc
	s_xor_b64 s[18:19], exec, s[18:19]
; %bb.6829:                             ;   in Loop: Header=BB6_5851 Depth=2
	v_cmp_lt_u64_e32 vcc, s[58:59], v[2:3]
	v_add_u32_e32 v14, 7, v32
	v_cndmask_b32_e32 v16, v30, v14, vcc
	v_cndmask_b32_e64 v14, 0, 1, vcc
	v_lshrrev_b64 v[14:15], v14, v[2:3]
; %bb.6830:                             ;   in Loop: Header=BB6_5851 Depth=2
	s_andn2_saveexec_b64 s[18:19], s[18:19]
; %bb.6831:                             ;   in Loop: Header=BB6_5851 Depth=2
	v_mov_b32_e32 v15, v3
	v_bfe_u32 v16, v2, 23, 1
	v_mov_b32_e32 v14, v2
; %bb.6832:                             ;   in Loop: Header=BB6_5851 Depth=2
	s_or_b64 exec, exec, s[18:19]
	v_lshrrev_b64 v[14:15], 20, v[14:15]
	v_cmp_gt_i32_e32 vcc, 16, v16
	v_cndmask_b32_e32 v15, 0, v15, vcc
	v_cndmask_b32_e32 v14, 7, v14, vcc
	v_cmp_ne_u64_e32 vcc, 0, v[14:15]
	v_cmp_ne_u32_e64 s[18:19], 0, v16
	s_or_b64 s[18:19], s[18:19], vcc
                                        ; implicit-def: $vgpr30
	s_and_saveexec_b64 s[92:93], s[18:19]
	s_xor_b64 s[18:19], exec, s[92:93]
; %bb.6833:                             ;   in Loop: Header=BB6_5851 Depth=2
	v_min_i32_e32 v2, 15, v16
	v_lshl_or_b32 v2, v2, 3, v31
	v_and_or_b32 v30, v14, 7, v2
                                        ; implicit-def: $vgpr31
; %bb.6834:                             ;   in Loop: Header=BB6_5851 Depth=2
	s_andn2_saveexec_b64 s[18:19], s[18:19]
; %bb.6835:                             ;   in Loop: Header=BB6_5851 Depth=2
	v_mov_b32_e32 v30, v31
; %bb.6836:                             ;   in Loop: Header=BB6_5851 Depth=2
	s_or_b64 exec, exec, s[18:19]
.LBB6_6837:                             ;   in Loop: Header=BB6_5851 Depth=2
	s_or_b64 exec, exec, s[90:91]
                                        ; implicit-def: $vgpr31
.LBB6_6838:                             ;   in Loop: Header=BB6_5851 Depth=2
	s_andn2_saveexec_b64 s[18:19], s[88:89]
; %bb.6839:                             ;   in Loop: Header=BB6_5851 Depth=2
	v_or_b32_e32 v30, 0x7e, v31
; %bb.6840:                             ;   in Loop: Header=BB6_5851 Depth=2
	s_or_b64 exec, exec, s[18:19]
                                        ; implicit-def: $vgpr14
.LBB6_6841:                             ;   in Loop: Header=BB6_5851 Depth=2
	s_andn2_saveexec_b64 s[18:19], s[78:79]
; %bb.6842:                             ;   in Loop: Header=BB6_5851 Depth=2
	v_or_b32_sdwa v30, v14, s50 dst_sel:DWORD dst_unused:UNUSED_PAD src0_sel:BYTE_3 src1_sel:DWORD
; %bb.6843:                             ;   in Loop: Header=BB6_5851 Depth=2
	s_or_b64 exec, exec, s[18:19]
	v_and_b32_e32 v2, 0xff, v44
	v_cmp_ne_u16_e32 vcc, 0, v2
	v_mov_b32_e32 v14, 0
	v_mov_b32_e32 v15, 0
	s_and_saveexec_b64 s[18:19], vcc
	s_cbranch_execz .LBB6_6849
; %bb.6844:                             ;   in Loop: Header=BB6_5851 Depth=2
	v_cmp_ne_u16_e32 vcc, s49, v2
	v_bfrev_b32_e32 v15, 1
	s_and_saveexec_b64 s[78:79], vcc
	s_cbranch_execz .LBB6_6848
; %bb.6845:                             ;   in Loop: Header=BB6_5851 Depth=2
	v_and_b32_e32 v16, 0x7f, v44
	v_cmp_ne_u32_e32 vcc, s50, v16
	v_mov_b32_e32 v15, 0x7f800001
	s_and_saveexec_b64 s[88:89], vcc
	s_cbranch_execz .LBB6_6847
; %bb.6846:                             ;   in Loop: Header=BB6_5851 Depth=2
	v_and_b32_e32 v31, 7, v2
	v_ffbh_u32_e32 v15, v31
	v_min_u32_e32 v33, 32, v15
	v_subrev_u32_e32 v15, 28, v33
	v_lshrrev_b32_e32 v32, 3, v16
	v_cmp_gt_u32_e32 vcc, 8, v16
	v_lshlrev_b64 v[15:16], v15, v[2:3]
	v_sub_u32_e32 v2, 29, v33
	v_and_b32_e32 v15, 7, v15
	v_cndmask_b32_e32 v2, v32, v2, vcc
	v_cndmask_b32_e32 v15, v31, v15, vcc
	v_lshlrev_b32_e32 v16, 24, v44
	v_lshlrev_b32_e32 v15, 20, v15
	v_and_b32_e32 v16, 0x80000000, v16
	v_lshl_add_u32 v2, v2, 23, v57
	v_or3_b32 v15, v16, v2, v15
.LBB6_6847:                             ;   in Loop: Header=BB6_5851 Depth=2
	s_or_b64 exec, exec, s[88:89]
.LBB6_6848:                             ;   in Loop: Header=BB6_5851 Depth=2
	s_or_b64 exec, exec, s[78:79]
.LBB6_6849:                             ;   in Loop: Header=BB6_5851 Depth=2
	s_or_b64 exec, exec, s[18:19]
	v_and_b32_e32 v2, 0xff, v47
	v_cmp_ne_u16_e32 vcc, 0, v2
	s_and_saveexec_b64 s[18:19], vcc
	s_cbranch_execz .LBB6_6855
; %bb.6850:                             ;   in Loop: Header=BB6_5851 Depth=2
	v_cmp_ne_u16_e32 vcc, s49, v2
	v_bfrev_b32_e32 v14, 1
	s_and_saveexec_b64 s[78:79], vcc
	s_cbranch_execz .LBB6_6854
; %bb.6851:                             ;   in Loop: Header=BB6_5851 Depth=2
	v_and_b32_e32 v16, 0x7f, v47
	v_cmp_ne_u32_e32 vcc, s50, v16
	v_mov_b32_e32 v14, 0x7f800001
	s_and_saveexec_b64 s[88:89], vcc
	s_cbranch_execz .LBB6_6853
; %bb.6852:                             ;   in Loop: Header=BB6_5851 Depth=2
	v_and_b32_e32 v14, 7, v2
	v_lshrrev_b32_e32 v33, 3, v16
	v_cmp_gt_u32_e32 vcc, 8, v16
	v_ffbh_u32_e32 v16, v14
	v_min_u32_e32 v16, 32, v16
	v_subrev_u32_e32 v31, 28, v16
	v_lshlrev_b64 v[31:32], v31, v[2:3]
	v_sub_u32_e32 v2, 29, v16
	v_and_b32_e32 v16, 7, v31
	v_cndmask_b32_e32 v2, v33, v2, vcc
	v_cndmask_b32_e32 v14, v14, v16, vcc
	v_lshlrev_b32_e32 v16, 24, v47
	v_lshlrev_b32_e32 v14, 20, v14
	v_and_b32_e32 v16, 0x80000000, v16
	v_lshl_add_u32 v2, v2, 23, v57
	v_or3_b32 v14, v16, v2, v14
.LBB6_6853:                             ;   in Loop: Header=BB6_5851 Depth=2
	s_or_b64 exec, exec, s[88:89]
.LBB6_6854:                             ;   in Loop: Header=BB6_5851 Depth=2
	s_or_b64 exec, exec, s[78:79]
.LBB6_6855:                             ;   in Loop: Header=BB6_5851 Depth=2
	s_or_b64 exec, exec, s[18:19]
	v_add_f32_e32 v14, v15, v14
	v_and_b32_e32 v2, 0x7f800000, v14
	v_cmp_ne_u64_e32 vcc, s[46:47], v[2:3]
                                        ; implicit-def: $vgpr2
	s_and_saveexec_b64 s[18:19], vcc
	s_xor_b64 s[78:79], exec, s[18:19]
	s_cbranch_execz .LBB6_6873
; %bb.6856:                             ;   in Loop: Header=BB6_5851 Depth=2
	v_and_b32_e32 v2, 0x7fffffff, v14
	v_cmp_gt_u64_e32 vcc, s[56:57], v[2:3]
	v_and_b32_sdwa v31, v14, s49 dst_sel:DWORD dst_unused:UNUSED_PAD src0_sel:BYTE_3 src1_sel:DWORD
                                        ; implicit-def: $vgpr2
	s_and_saveexec_b64 s[18:19], vcc
	s_xor_b64 s[88:89], exec, s[18:19]
	s_cbranch_execz .LBB6_6870
; %bb.6857:                             ;   in Loop: Header=BB6_5851 Depth=2
	v_cmp_ne_u32_e32 vcc, 0, v14
	v_mov_b32_e32 v2, 0
	s_and_saveexec_b64 s[90:91], vcc
	s_cbranch_execz .LBB6_6869
; %bb.6858:                             ;   in Loop: Header=BB6_5851 Depth=2
	v_bfe_u32 v32, v14, 23, 8
	v_and_b32_e32 v2, 0x7fffff, v14
	v_cmp_gt_u32_e64 s[18:19], s51, v32
	v_sub_u32_e32 v14, 0x79, v32
	v_cmp_eq_u32_e32 vcc, 0, v32
	v_cndmask_b32_e64 v14, 0, v14, s[18:19]
	v_mov_b32_e32 v16, 0x78
	v_cndmask_b32_e32 v33, v14, v16, vcc
	v_or_b32_e32 v15, 0x800000, v2
	v_add_u32_e32 v14, 20, v33
	v_cndmask_b32_e32 v2, v15, v2, vcc
	v_lshlrev_b64 v[14:15], v14, -1
	v_add_u32_e32 v16, 19, v33
	v_lshlrev_b64 v[34:35], v16, 1
	v_bfi_b32 v15, v15, 0, 0
	v_bfi_b32 v14, v14, 0, v2
	v_cmp_eq_u64_e64 s[18:19], v[14:15], v[34:35]
	v_lshrrev_b64 v[14:15], v33, v[2:3]
	v_mov_b32_e32 v16, v15
	v_mov_b32_e32 v15, v14
	s_and_saveexec_b64 s[92:93], s[18:19]
; %bb.6859:                             ;   in Loop: Header=BB6_5851 Depth=2
	v_bfe_u32 v2, v14, 20, 1
	v_add_co_u32_e64 v2, s[18:19], v14, v2
	v_add_co_u32_e64 v15, s[18:19], -1, v2
; %bb.6860:                             ;   in Loop: Header=BB6_5851 Depth=2
	s_or_b64 exec, exec, s[92:93]
	v_add_u32_e32 v2, 0xffffff81, v32
	v_mov_b32_e32 v16, 0xffffff82
	v_cndmask_b32_e32 v2, v2, v16, vcc
	v_lshrrev_b32_e32 v16, 23, v14
	v_add3_u32 v33, v33, v2, v16
	v_add_u32_e32 v32, 6, v33
	v_and_b32_e32 v2, 0xfffff, v15
	v_add_u32_e32 v2, v2, v14
	v_cmp_ne_u32_e32 vcc, 0, v32
                                        ; implicit-def: $vgpr14_vgpr15
                                        ; implicit-def: $vgpr16
	s_and_saveexec_b64 s[18:19], vcc
	s_xor_b64 s[18:19], exec, s[18:19]
; %bb.6861:                             ;   in Loop: Header=BB6_5851 Depth=2
	v_cmp_lt_u64_e32 vcc, s[58:59], v[2:3]
	v_add_u32_e32 v14, 7, v33
	v_cndmask_b32_e32 v16, v32, v14, vcc
	v_cndmask_b32_e64 v14, 0, 1, vcc
	v_lshrrev_b64 v[14:15], v14, v[2:3]
; %bb.6862:                             ;   in Loop: Header=BB6_5851 Depth=2
	s_andn2_saveexec_b64 s[18:19], s[18:19]
; %bb.6863:                             ;   in Loop: Header=BB6_5851 Depth=2
	v_mov_b32_e32 v15, v3
	v_bfe_u32 v16, v2, 23, 1
	v_mov_b32_e32 v14, v2
; %bb.6864:                             ;   in Loop: Header=BB6_5851 Depth=2
	s_or_b64 exec, exec, s[18:19]
	v_lshrrev_b64 v[14:15], 20, v[14:15]
	v_cmp_gt_i32_e32 vcc, 16, v16
	v_cndmask_b32_e32 v15, 0, v15, vcc
	v_cndmask_b32_e32 v14, 7, v14, vcc
	v_cmp_ne_u64_e32 vcc, 0, v[14:15]
	v_cmp_ne_u32_e64 s[18:19], 0, v16
	s_or_b64 s[18:19], s[18:19], vcc
                                        ; implicit-def: $vgpr2
	s_and_saveexec_b64 s[92:93], s[18:19]
	s_xor_b64 s[18:19], exec, s[92:93]
; %bb.6865:                             ;   in Loop: Header=BB6_5851 Depth=2
	v_min_i32_e32 v2, 15, v16
	v_lshl_or_b32 v2, v2, 3, v31
	v_and_or_b32 v2, v14, 7, v2
                                        ; implicit-def: $vgpr31
; %bb.6866:                             ;   in Loop: Header=BB6_5851 Depth=2
	s_andn2_saveexec_b64 s[18:19], s[18:19]
; %bb.6867:                             ;   in Loop: Header=BB6_5851 Depth=2
	v_mov_b32_e32 v2, v31
; %bb.6868:                             ;   in Loop: Header=BB6_5851 Depth=2
	s_or_b64 exec, exec, s[18:19]
.LBB6_6869:                             ;   in Loop: Header=BB6_5851 Depth=2
	s_or_b64 exec, exec, s[90:91]
                                        ; implicit-def: $vgpr31
.LBB6_6870:                             ;   in Loop: Header=BB6_5851 Depth=2
	s_andn2_saveexec_b64 s[18:19], s[88:89]
; %bb.6871:                             ;   in Loop: Header=BB6_5851 Depth=2
	v_or_b32_e32 v2, 0x7e, v31
; %bb.6872:                             ;   in Loop: Header=BB6_5851 Depth=2
	s_or_b64 exec, exec, s[18:19]
                                        ; implicit-def: $vgpr14
.LBB6_6873:                             ;   in Loop: Header=BB6_5851 Depth=2
	s_andn2_saveexec_b64 s[18:19], s[78:79]
	s_cbranch_execz .LBB6_5850
; %bb.6874:                             ;   in Loop: Header=BB6_5851 Depth=2
	v_or_b32_sdwa v2, v14, s50 dst_sel:DWORD dst_unused:UNUSED_PAD src0_sel:BYTE_3 src1_sel:DWORD
	s_branch .LBB6_5850
.LBB6_6875:                             ;   in Loop: Header=BB6_3523 Depth=1
	s_or_b64 exec, exec, s[76:77]
	buffer_load_dword v45, off, s[0:3], s33 offset:276 ; 4-byte Folded Reload
	buffer_load_dword v38, off, s[0:3], s33 offset:280 ; 4-byte Folded Reload
	;; [unrolled: 1-line block ×19, first 2 shown]
	v_mov_b32_e32 v40, 0x7f800001
	v_bfrev_b32_e32 v41, 1
.LBB6_6876:                             ;   in Loop: Header=BB6_3523 Depth=1
	s_or_b64 exec, exec, s[74:75]
	s_waitcnt vmcnt(0)
	v_and_b32_e32 v0, 0xfffff800, v6
	v_cmp_ne_u32_e32 vcc, v6, v0
	s_and_b64 exec, exec, vcc
	s_cbranch_execz .LBB6_6912
; %bb.6877:                             ;   in Loop: Header=BB6_3523 Depth=1
	v_add_u32_e32 v1, v2, v1
	v_and_b32_e32 v1, 0xffffffc0, v1
	v_sub_u32_e32 v1, v2, v1
	v_lshlrev_b32_e32 v2, 6, v18
	v_sub_u32_e32 v1, v1, v2
	v_and_b32_e32 v2, 0x7ff, v6
	v_sub_u32_e32 v4, v2, v1
	v_cmp_lt_i32_e32 vcc, 0, v4
	s_and_b64 exec, exec, vcc
	s_cbranch_execz .LBB6_6912
; %bb.6878:                             ;   in Loop: Header=BB6_3523 Depth=1
	s_trap 2
	ds_read_b128 v[5:8], v0
	ds_read_b64 v[12:13], v0
	v_add3_u32 v2, v0, v9, v1
	v_ashrrev_i32_e32 v9, 31, v2
	s_mov_b64 s[74:75], 0
	s_waitcnt lgkmcnt(0)
	v_add_co_u32_e32 v0, vcc, v5, v2
	v_addc_co_u32_e32 v1, vcc, v6, v9, vcc
	v_add_co_u32_e32 v10, vcc, v7, v2
	v_addc_co_u32_e32 v11, vcc, v8, v9, vcc
	;; [unrolled: 2-line block ×3, first 2 shown]
	s_branch .LBB6_6880
.LBB6_6879:                             ;   in Loop: Header=BB6_6880 Depth=2
	s_or_b64 exec, exec, s[18:19]
	v_add_co_u32_e32 v0, vcc, v0, v53
	v_addc_co_u32_e32 v1, vcc, 0, v1, vcc
	v_add_co_u32_e32 v10, vcc, v10, v53
	v_addc_co_u32_e32 v11, vcc, 0, v11, vcc
	v_sub_u32_e32 v4, v4, v53
	v_cmp_gt_i32_e32 vcc, 1, v4
	flat_store_byte v[12:13], v2 glc slc
	s_or_b64 s[74:75], vcc, s[74:75]
	v_add_co_u32_e32 v12, vcc, v12, v53
	v_addc_co_u32_e32 v13, vcc, 0, v13, vcc
	s_andn2_b64 exec, exec, s[74:75]
	s_cbranch_execz .LBB6_6912
.LBB6_6880:                             ;   Parent Loop BB6_3523 Depth=1
                                        ; =>  This Inner Loop Header: Depth=2
	flat_load_ubyte v8, v[0:1] glc slc
	flat_load_ubyte v6, v[10:11] glc slc
	v_mov_b32_e32 v5, 0
	v_mov_b32_e32 v7, 0
	s_waitcnt vmcnt(0) lgkmcnt(0)
	v_cmp_ne_u16_e32 vcc, 0, v8
	s_and_saveexec_b64 s[18:19], vcc
	s_cbranch_execz .LBB6_6886
; %bb.6881:                             ;   in Loop: Header=BB6_6880 Depth=2
	v_cmp_ne_u16_e32 vcc, s49, v8
	v_bfrev_b32_e32 v7, 1
	s_and_saveexec_b64 s[76:77], vcc
	s_cbranch_execz .LBB6_6885
; %bb.6882:                             ;   in Loop: Header=BB6_6880 Depth=2
	v_and_b32_e32 v2, 0xffff, v8
	v_and_b32_e32 v9, 0x7f, v2
	v_cmp_ne_u32_e32 vcc, s50, v9
	v_mov_b32_e32 v7, 0x7f800001
	s_and_saveexec_b64 s[78:79], vcc
	s_cbranch_execz .LBB6_6884
; %bb.6883:                             ;   in Loop: Header=BB6_6880 Depth=2
	v_and_b32_e32 v7, 7, v2
	v_lshrrev_b32_e32 v16, 3, v9
	v_cmp_gt_u32_e32 vcc, 8, v9
	v_ffbh_u32_e32 v9, v7
	v_min_u32_e32 v9, 32, v9
	v_subrev_u32_e32 v14, 28, v9
	v_lshlrev_b64 v[14:15], v14, v[2:3]
	v_sub_u32_e32 v2, 29, v9
	v_and_b32_e32 v9, 7, v14
	v_cndmask_b32_e32 v2, v16, v2, vcc
	v_cndmask_b32_e32 v7, v7, v9, vcc
	v_lshlrev_b32_e32 v8, 24, v8
	v_lshlrev_b32_e32 v7, 20, v7
	v_and_b32_e32 v8, 0x80000000, v8
	v_lshl_add_u32 v2, v2, 23, v57
	v_or3_b32 v7, v8, v2, v7
.LBB6_6884:                             ;   in Loop: Header=BB6_6880 Depth=2
	s_or_b64 exec, exec, s[78:79]
.LBB6_6885:                             ;   in Loop: Header=BB6_6880 Depth=2
	s_or_b64 exec, exec, s[76:77]
.LBB6_6886:                             ;   in Loop: Header=BB6_6880 Depth=2
	s_or_b64 exec, exec, s[18:19]
	v_and_b32_e32 v2, 0xff, v6
	v_cmp_ne_u16_e32 vcc, 0, v2
	s_and_saveexec_b64 s[18:19], vcc
	s_cbranch_execz .LBB6_6892
; %bb.6887:                             ;   in Loop: Header=BB6_6880 Depth=2
	v_cmp_ne_u16_e32 vcc, s49, v2
	v_bfrev_b32_e32 v5, 1
	s_and_saveexec_b64 s[76:77], vcc
	s_cbranch_execz .LBB6_6891
; %bb.6888:                             ;   in Loop: Header=BB6_6880 Depth=2
	v_and_b32_e32 v8, 0x7f, v6
	v_cmp_ne_u32_e32 vcc, s50, v8
	v_mov_b32_e32 v5, 0x7f800001
	s_and_saveexec_b64 s[78:79], vcc
	s_cbranch_execz .LBB6_6890
; %bb.6889:                             ;   in Loop: Header=BB6_6880 Depth=2
	v_and_b32_e32 v9, 7, v2
	v_lshlrev_b32_e32 v5, 24, v6
	v_and_b32_e32 v15, 0x80000000, v5
	v_ffbh_u32_e32 v5, v9
	v_lshrrev_b32_e32 v14, 3, v8
	v_cmp_gt_u32_e32 vcc, 8, v8
	v_min_u32_e32 v8, 32, v5
	v_subrev_u32_e32 v5, 28, v8
	v_lshlrev_b64 v[5:6], v5, v[2:3]
	v_sub_u32_e32 v2, 29, v8
	v_and_b32_e32 v5, 7, v5
	v_cndmask_b32_e32 v2, v14, v2, vcc
	v_cndmask_b32_e32 v5, v9, v5, vcc
	v_lshlrev_b32_e32 v5, 20, v5
	v_lshl_add_u32 v2, v2, 23, v57
	v_or3_b32 v5, v15, v2, v5
.LBB6_6890:                             ;   in Loop: Header=BB6_6880 Depth=2
	s_or_b64 exec, exec, s[78:79]
.LBB6_6891:                             ;   in Loop: Header=BB6_6880 Depth=2
	s_or_b64 exec, exec, s[76:77]
.LBB6_6892:                             ;   in Loop: Header=BB6_6880 Depth=2
	s_or_b64 exec, exec, s[18:19]
	v_add_f32_e32 v6, v7, v5
	v_and_b32_e32 v2, 0x7f800000, v6
	v_cmp_ne_u64_e32 vcc, s[46:47], v[2:3]
                                        ; implicit-def: $vgpr2
	s_and_saveexec_b64 s[18:19], vcc
	s_xor_b64 s[76:77], exec, s[18:19]
	s_cbranch_execz .LBB6_6910
; %bb.6893:                             ;   in Loop: Header=BB6_6880 Depth=2
	v_and_b32_e32 v2, 0x7fffffff, v6
	v_cmp_gt_u64_e32 vcc, s[56:57], v[2:3]
	v_and_b32_sdwa v5, v6, s49 dst_sel:DWORD dst_unused:UNUSED_PAD src0_sel:BYTE_3 src1_sel:DWORD
                                        ; implicit-def: $vgpr2
	s_and_saveexec_b64 s[18:19], vcc
	s_xor_b64 s[78:79], exec, s[18:19]
	s_cbranch_execz .LBB6_6907
; %bb.6894:                             ;   in Loop: Header=BB6_6880 Depth=2
	v_cmp_ne_u32_e32 vcc, 0, v6
	v_mov_b32_e32 v2, 0
	s_and_saveexec_b64 s[88:89], vcc
	s_cbranch_execz .LBB6_6906
; %bb.6895:                             ;   in Loop: Header=BB6_6880 Depth=2
	v_and_b32_e32 v2, 0x7fffff, v6
	v_bfe_u32 v6, v6, 23, 8
	v_cmp_gt_u32_e64 s[18:19], s51, v6
	v_sub_u32_e32 v7, 0x79, v6
	v_cmp_eq_u32_e32 vcc, 0, v6
	v_cndmask_b32_e64 v7, 0, v7, s[18:19]
	v_mov_b32_e32 v9, 0x78
	v_or_b32_e32 v8, 0x800000, v2
	v_cndmask_b32_e32 v7, v7, v9, vcc
	v_cndmask_b32_e32 v2, v8, v2, vcc
	v_add_u32_e32 v8, 20, v7
	v_lshlrev_b64 v[8:9], v8, -1
	v_add_u32_e32 v14, 19, v7
	v_lshlrev_b64 v[14:15], v14, 1
	v_bfi_b32 v9, v9, 0, 0
	v_bfi_b32 v8, v8, 0, v2
	v_cmp_eq_u64_e64 s[18:19], v[8:9], v[14:15]
	v_lshrrev_b64 v[14:15], v7, v[2:3]
	v_mov_b32_e32 v16, v15
	v_mov_b32_e32 v15, v14
	s_and_saveexec_b64 s[90:91], s[18:19]
; %bb.6896:                             ;   in Loop: Header=BB6_6880 Depth=2
	v_bfe_u32 v2, v14, 20, 1
	v_add_co_u32_e64 v2, s[18:19], v14, v2
	v_add_co_u32_e64 v15, s[18:19], -1, v2
; %bb.6897:                             ;   in Loop: Header=BB6_6880 Depth=2
	s_or_b64 exec, exec, s[90:91]
	v_add_u32_e32 v2, 0xffffff81, v6
	v_mov_b32_e32 v6, 0xffffff82
	v_cndmask_b32_e32 v2, v2, v6, vcc
	v_lshrrev_b32_e32 v6, 23, v14
	v_add3_u32 v8, v7, v2, v6
	v_add_u32_e32 v7, 6, v8
	v_and_b32_e32 v2, 0xfffff, v15
	v_add_u32_e32 v2, v2, v14
	v_cmp_ne_u32_e32 vcc, 0, v7
                                        ; implicit-def: $vgpr14_vgpr15
                                        ; implicit-def: $vgpr6
	s_and_saveexec_b64 s[18:19], vcc
	s_xor_b64 s[18:19], exec, s[18:19]
; %bb.6898:                             ;   in Loop: Header=BB6_6880 Depth=2
	v_cmp_lt_u64_e32 vcc, s[58:59], v[2:3]
	v_add_u32_e32 v6, 7, v8
	v_cndmask_b32_e32 v6, v7, v6, vcc
	v_cndmask_b32_e64 v7, 0, 1, vcc
	v_lshrrev_b64 v[14:15], v7, v[2:3]
; %bb.6899:                             ;   in Loop: Header=BB6_6880 Depth=2
	s_andn2_saveexec_b64 s[18:19], s[18:19]
; %bb.6900:                             ;   in Loop: Header=BB6_6880 Depth=2
	v_mov_b32_e32 v15, v3
	v_bfe_u32 v6, v2, 23, 1
	v_mov_b32_e32 v14, v2
; %bb.6901:                             ;   in Loop: Header=BB6_6880 Depth=2
	s_or_b64 exec, exec, s[18:19]
	v_lshrrev_b64 v[7:8], 20, v[14:15]
	v_cmp_gt_i32_e32 vcc, 16, v6
	v_cndmask_b32_e32 v15, 0, v8, vcc
	v_cndmask_b32_e32 v14, 7, v7, vcc
	v_cmp_ne_u64_e32 vcc, 0, v[14:15]
	v_cmp_ne_u32_e64 s[18:19], 0, v6
	s_or_b64 s[18:19], s[18:19], vcc
                                        ; implicit-def: $vgpr2
	s_and_saveexec_b64 s[90:91], s[18:19]
	s_xor_b64 s[18:19], exec, s[90:91]
; %bb.6902:                             ;   in Loop: Header=BB6_6880 Depth=2
	v_min_i32_e32 v2, 15, v6
	v_lshl_or_b32 v2, v2, 3, v5
	v_and_or_b32 v2, v14, 7, v2
                                        ; implicit-def: $vgpr5
; %bb.6903:                             ;   in Loop: Header=BB6_6880 Depth=2
	s_andn2_saveexec_b64 s[18:19], s[18:19]
; %bb.6904:                             ;   in Loop: Header=BB6_6880 Depth=2
	v_mov_b32_e32 v2, v5
; %bb.6905:                             ;   in Loop: Header=BB6_6880 Depth=2
	s_or_b64 exec, exec, s[18:19]
.LBB6_6906:                             ;   in Loop: Header=BB6_6880 Depth=2
	s_or_b64 exec, exec, s[88:89]
                                        ; implicit-def: $vgpr5
.LBB6_6907:                             ;   in Loop: Header=BB6_6880 Depth=2
	s_andn2_saveexec_b64 s[18:19], s[78:79]
; %bb.6908:                             ;   in Loop: Header=BB6_6880 Depth=2
	v_or_b32_e32 v2, 0x7e, v5
; %bb.6909:                             ;   in Loop: Header=BB6_6880 Depth=2
	s_or_b64 exec, exec, s[18:19]
                                        ; implicit-def: $vgpr6
.LBB6_6910:                             ;   in Loop: Header=BB6_6880 Depth=2
	s_andn2_saveexec_b64 s[18:19], s[76:77]
	s_cbranch_execz .LBB6_6879
; %bb.6911:                             ;   in Loop: Header=BB6_6880 Depth=2
	v_or_b32_sdwa v2, v6, s50 dst_sel:DWORD dst_unused:UNUSED_PAD src0_sel:BYTE_3 src1_sel:DWORD
	s_branch .LBB6_6879
.LBB6_6912:                             ;   in Loop: Header=BB6_3523 Depth=1
	s_or_b64 exec, exec, s[20:21]
	buffer_load_dword v16, off, s[0:3], s33 offset:220 ; 4-byte Folded Reload
	buffer_load_dword v4, off, s[0:3], s33 offset:156 ; 4-byte Folded Reload
	;; [unrolled: 1-line block ×9, first 2 shown]
	v_cmp_ne_u32_e64 s[18:19], 0, v44
	s_waitcnt vmcnt(0)
	v_mov_b32_e32 v15, v5
	v_mov_b32_e32 v14, v4
	s_and_saveexec_b64 s[20:21], s[10:11]
	s_cbranch_execz .LBB6_6931
.LBB6_6913:                             ;   in Loop: Header=BB6_3523 Depth=1
	s_and_saveexec_b64 s[74:75], s[40:41]
	s_xor_b64 s[74:75], exec, s[74:75]
	s_cbranch_execz .LBB6_6928
; %bb.6914:                             ;   in Loop: Header=BB6_3523 Depth=1
	s_and_saveexec_b64 s[76:77], s[12:13]
	s_cbranch_execz .LBB6_6927
; %bb.6915:                             ;   in Loop: Header=BB6_3523 Depth=1
	s_mov_b64 s[88:89], exec
	v_mbcnt_lo_u32_b32 v0, s88, 0
	v_mbcnt_hi_u32_b32 v0, s89, v0
	v_cmp_eq_u32_e32 vcc, 0, v0
	s_waitcnt vmcnt(0) lgkmcnt(0)
	buffer_wbinvl1_vol
	s_and_saveexec_b64 s[78:79], vcc
	s_cbranch_execz .LBB6_6917
; %bb.6916:                             ;   in Loop: Header=BB6_3523 Depth=1
	s_bcnt1_i32_b64 s88, s[88:89]
	v_mov_b32_e32 v2, s88
	ds_add_u64 v0, v[2:3]
	s_trap 2
.LBB6_6917:                             ;   in Loop: Header=BB6_3523 Depth=1
	s_or_b64 exec, exec, s[78:79]
	s_trap 2
	ds_read_b64 v[0:1], v0
	s_waitcnt lgkmcnt(0)
	buffer_load_dword v4, off, s[0:3], s33 offset:76 ; 4-byte Folded Reload
	buffer_load_dword v5, off, s[0:3], s33 offset:80 ; 4-byte Folded Reload
	;; [unrolled: 1-line block ×3, first 2 shown]
	s_waitcnt vmcnt(0)
	v_add_co_u32_e32 v4, vcc, v4, v2
	v_addc_co_u32_e32 v5, vcc, 0, v5, vcc
	buffer_store_dword v4, off, s[0:3], s33 offset:76 ; 4-byte Folded Spill
	s_nop 0
	buffer_store_dword v5, off, s[0:3], s33 offset:80 ; 4-byte Folded Spill
	v_cmp_lt_u64_e32 vcc, v[0:1], v[4:5]
	s_and_saveexec_b64 s[78:79], vcc
	s_cbranch_execz .LBB6_6926
; %bb.6918:                             ;   in Loop: Header=BB6_3523 Depth=1
	s_mov_b32 s34, 0
	s_mov_b64 s[88:89], 0
                                        ; implicit-def: $sgpr90_sgpr91
                                        ; implicit-def: $sgpr92_sgpr93
	s_branch .LBB6_6920
.LBB6_6919:                             ;   in Loop: Header=BB6_6920 Depth=2
	s_or_b64 exec, exec, s[30:31]
	s_and_b64 s[94:95], exec, vcc
	s_or_b64 s[88:89], s[94:95], s[88:89]
	s_andn2_b64 s[90:91], s[90:91], exec
	s_and_b64 s[94:95], s[92:93], exec
	s_or_b64 s[90:91], s[90:91], s[94:95]
	s_andn2_b64 exec, exec, s[88:89]
	s_cbranch_execz .LBB6_6924
.LBB6_6920:                             ;   Parent Loop BB6_3523 Depth=1
                                        ; =>  This Inner Loop Header: Depth=2
	s_add_i32 s34, s34, 1
	s_cmpk_lg_i32 s34, 0x2710
	s_cselect_b64 s[94:95], -1, 0
	s_and_b64 vcc, exec, s[94:95]
	s_cbranch_vccz .LBB6_6922
; %bb.6921:                             ;   in Loop: Header=BB6_6920 Depth=2
	s_mov_b64 vcc, -1
	s_or_b64 s[92:93], s[92:93], exec
	s_and_saveexec_b64 s[30:31], s[94:95]
	s_cbranch_execz .LBB6_6919
	s_branch .LBB6_6923
.LBB6_6922:                             ;   in Loop: Header=BB6_6920 Depth=2
	s_trap 2
	ds_read_b64 v[0:1], v0
	s_andn2_b64 s[94:95], s[94:95], exec
	s_mov_b32 s34, 0
	s_waitcnt vmcnt(0) lgkmcnt(0)
	flat_load_dword v0, v[0:1] glc
	s_waitcnt vmcnt(0) lgkmcnt(0)
	buffer_wbinvl1_vol
	v_cmp_eq_u32_e32 vcc, 0, v0
	s_and_b64 vcc, vcc, exec
	s_or_b64 s[94:95], s[94:95], vcc
	s_mov_b64 vcc, -1
	s_or_b64 s[92:93], s[92:93], exec
	s_and_saveexec_b64 s[30:31], s[94:95]
	s_cbranch_execz .LBB6_6919
.LBB6_6923:                             ;   in Loop: Header=BB6_6920 Depth=2
	s_sleep 1
	s_trap 2
	ds_read_b64 v[0:1], v0
	s_waitcnt lgkmcnt(0)
	buffer_load_dword v4, off, s[0:3], s33 offset:76 ; 4-byte Folded Reload
	buffer_load_dword v5, off, s[0:3], s33 offset:80 ; 4-byte Folded Reload
	s_andn2_b64 s[92:93], s[92:93], exec
	s_waitcnt vmcnt(0)
	v_cmp_ge_u64_e32 vcc, v[0:1], v[4:5]
	s_orn2_b64 vcc, vcc, exec
	s_branch .LBB6_6919
.LBB6_6924:                             ;   in Loop: Header=BB6_3523 Depth=1
	s_or_b64 exec, exec, s[88:89]
	s_and_saveexec_b64 s[88:89], s[90:91]
	s_xor_b64 s[88:89], exec, s[88:89]
	s_cbranch_execz .LBB6_6926
; %bb.6925:                             ;   in Loop: Header=BB6_3523 Depth=1
	v_mov_b32_e32 v0, 1
	ds_write_b32 v0, v0
	s_trap 2
.LBB6_6926:                             ;   in Loop: Header=BB6_3523 Depth=1
	s_or_b64 exec, exec, s[78:79]
	;;#ASMSTART
	s_wakeup
	;;#ASMEND
.LBB6_6927:                             ;   in Loop: Header=BB6_3523 Depth=1
	s_or_b64 exec, exec, s[76:77]
.LBB6_6928:                             ;   in Loop: Header=BB6_3523 Depth=1
	s_andn2_saveexec_b64 s[74:75], s[74:75]
	s_cbranch_execz .LBB6_6930
; %bb.6929:                             ;   in Loop: Header=BB6_3523 Depth=1
	s_waitcnt vmcnt(0) lgkmcnt(0)
	buffer_wbinvl1_vol
	s_barrier
.LBB6_6930:                             ;   in Loop: Header=BB6_3523 Depth=1
	s_or_b64 exec, exec, s[74:75]
.LBB6_6931:                             ;   in Loop: Header=BB6_3523 Depth=1
	s_or_b64 exec, exec, s[20:21]
	v_and_b32_e32 v0, 16, v16
	v_cmp_ne_u32_e32 vcc, 0, v0
	s_and_b64 s[20:21], vcc, s[18:19]
	s_and_saveexec_b64 s[18:19], s[20:21]
	s_cbranch_execz .LBB6_6933
; %bb.6932:                             ;   in Loop: Header=BB6_3523 Depth=1
	s_waitcnt vmcnt(0) lgkmcnt(0)
	buffer_wbinvl1_vol
.LBB6_6933:                             ;   in Loop: Header=BB6_3523 Depth=1
	s_or_b64 exec, exec, s[18:19]
	v_and_b32_e32 v0, 32, v16
	v_cmp_ne_u32_e32 vcc, 0, v0
	s_and_saveexec_b64 s[18:19], vcc
	s_cbranch_execz .LBB6_6935
; %bb.6934:                             ;   in Loop: Header=BB6_3523 Depth=1
	buffer_load_dword v0, off, s[0:3], s33 offset:60 ; 4-byte Folded Reload
	buffer_load_dword v1, off, s[0:3], s33 offset:64 ; 4-byte Folded Reload
	v_add_co_u32_e32 v23, vcc, 1, v23
	v_addc_co_u32_e32 v24, vcc, 0, v24, vcc
	s_waitcnt vmcnt(0)
	flat_store_dwordx2 v[0:1], v[23:24]
.LBB6_6935:                             ;   in Loop: Header=BB6_3523 Depth=1
	s_or_b64 exec, exec, s[18:19]
	v_mov_b32_e32 v4, v43
.LBB6_6936:                             ;   in Loop: Header=BB6_3523 Depth=1
	s_or_b64 exec, exec, s[72:73]
	s_and_saveexec_b64 s[20:21], s[62:63]
	s_cbranch_execz .LBB6_3522
; %bb.6937:                             ;   in Loop: Header=BB6_3523 Depth=1
	v_and_b32_e32 v0, 4, v16
	v_cmp_ne_u32_e32 vcc, 0, v0
	s_and_saveexec_b64 s[62:63], vcc
	s_cbranch_execz .LBB6_6959
; %bb.6938:                             ;   in Loop: Header=BB6_3523 Depth=1
	buffer_load_dword v5, off, s[0:3], s33 offset:68 ; 4-byte Folded Reload
	buffer_load_dword v6, off, s[0:3], s33 offset:72 ; 4-byte Folded Reload
	s_waitcnt lgkmcnt(0)
	v_add_co_u32_e32 v0, vcc, 1, v23
	v_addc_co_u32_e32 v1, vcc, 0, v24, vcc
	s_waitcnt vmcnt(0)
	v_cmp_lt_u64_e32 vcc, v[5:6], v[0:1]
	s_and_saveexec_b64 s[72:73], vcc
	s_cbranch_execz .LBB6_6950
; %bb.6939:                             ;   in Loop: Header=BB6_3523 Depth=1
	v_and_b32_e32 v2, 64, v16
	s_mov_b32 s36, 0
	v_cmp_eq_u32_e32 vcc, 0, v2
	s_mov_b64 s[74:75], 0
                                        ; implicit-def: $sgpr76_sgpr77
                                        ; implicit-def: $sgpr78_sgpr79
                                        ; implicit-def: $sgpr88_sgpr89
	s_branch .LBB6_6943
.LBB6_6940:                             ;   in Loop: Header=BB6_6943 Depth=2
	buffer_load_dword v5, off, s[0:3], s33 offset:68 ; 4-byte Folded Reload
	buffer_load_dword v6, off, s[0:3], s33 offset:72 ; 4-byte Folded Reload
	s_or_b64 s[94:95], s[94:95], exec
	s_waitcnt vmcnt(0)
	v_cmp_ge_u64_e64 s[18:19], v[5:6], v[0:1]
	s_orn2_b64 s[92:93], s[18:19], exec
.LBB6_6941:                             ;   in Loop: Header=BB6_6943 Depth=2
	s_or_b64 exec, exec, s[34:35]
	s_andn2_b64 s[18:19], s[88:89], exec
	s_and_b64 s[88:89], s[94:95], exec
	s_or_b64 s[88:89], s[18:19], s[88:89]
	s_andn2_b64 s[18:19], s[78:79], exec
	s_and_b64 s[78:79], s[92:93], exec
	s_or_b64 s[78:79], s[18:19], s[78:79]
.LBB6_6942:                             ;   in Loop: Header=BB6_6943 Depth=2
	s_or_b64 exec, exec, s[90:91]
	s_and_b64 s[18:19], exec, s[78:79]
	s_or_b64 s[74:75], s[18:19], s[74:75]
	s_andn2_b64 s[18:19], s[76:77], exec
	s_and_b64 s[76:77], s[88:89], exec
	s_or_b64 s[76:77], s[18:19], s[76:77]
	s_andn2_b64 exec, exec, s[74:75]
	s_cbranch_execz .LBB6_6947
.LBB6_6943:                             ;   Parent Loop BB6_3523 Depth=1
                                        ; =>  This Inner Loop Header: Depth=2
	s_sleep 1
	buffer_load_dword v5, off, s[0:3], s33 offset:60 ; 4-byte Folded Reload
	buffer_load_dword v6, off, s[0:3], s33 offset:64 ; 4-byte Folded Reload
	s_or_b64 s[88:89], s[88:89], exec
	s_or_b64 s[78:79], s[78:79], exec
                                        ; implicit-def: $vgpr2
	s_waitcnt vmcnt(0)
	flat_load_dwordx2 v[5:6], v[5:6] glc
	s_waitcnt vmcnt(0) lgkmcnt(0)
	buffer_store_dword v5, off, s[0:3], s33 offset:68 ; 4-byte Folded Spill
	s_nop 0
	buffer_store_dword v6, off, s[0:3], s33 offset:72 ; 4-byte Folded Spill
	s_and_saveexec_b64 s[90:91], vcc
	s_cbranch_execz .LBB6_6942
; %bb.6944:                             ;   in Loop: Header=BB6_6943 Depth=2
	s_cmpk_lt_i32 s36, 0x270f
	s_cselect_b64 s[30:31], -1, 0
	s_cmpk_gt_i32 s36, 0x270e
	s_mov_b64 s[92:93], -1
	s_cbranch_scc0 .LBB6_6946
; %bb.6945:                             ;   in Loop: Header=BB6_6943 Depth=2
	s_trap 2
	ds_read_b64 v[5:6], v0
	s_andn2_b64 s[30:31], s[30:31], exec
	s_mov_b32 s36, 0
	s_mov_b64 s[94:95], 0
	s_waitcnt vmcnt(0) lgkmcnt(0)
	flat_load_dword v2, v[5:6] glc
	s_waitcnt vmcnt(0) lgkmcnt(0)
	buffer_wbinvl1_vol
	v_cmp_eq_u32_e64 s[18:19], 0, v2
	s_and_b64 s[18:19], s[18:19], exec
	s_or_b64 s[30:31], s[30:31], s[18:19]
	s_and_saveexec_b64 s[34:35], s[30:31]
	s_cbranch_execz .LBB6_6941
	s_branch .LBB6_6940
.LBB6_6946:                             ;   in Loop: Header=BB6_6943 Depth=2
	s_add_i32 s36, s36, 1
	s_mov_b64 s[94:95], -1
                                        ; implicit-def: $vgpr2
	s_and_saveexec_b64 s[34:35], s[30:31]
	s_cbranch_execz .LBB6_6941
	s_branch .LBB6_6940
.LBB6_6947:                             ;   in Loop: Header=BB6_3523 Depth=1
	s_or_b64 exec, exec, s[74:75]
	s_xor_b64 s[18:19], s[76:77], -1
	s_and_saveexec_b64 s[74:75], s[18:19]
	s_xor_b64 s[18:19], exec, s[74:75]
	s_cbranch_execz .LBB6_6949
; %bb.6948:                             ;   in Loop: Header=BB6_3523 Depth=1
	v_or_b32_e32 v16, 64, v16
	ds_write_b32 v0, v2
	s_trap 2
.LBB6_6949:                             ;   in Loop: Header=BB6_3523 Depth=1
	s_or_b64 exec, exec, s[18:19]
.LBB6_6950:                             ;   in Loop: Header=BB6_3523 Depth=1
	s_or_b64 exec, exec, s[72:73]
	v_and_b32_e32 v2, 0x100, v16
	v_cmp_ne_u32_e32 vcc, 0, v2
	v_and_b32_e32 v2, 7, v23
	s_mov_b64 s[18:19], -1
	;;#ASMSTART
	s_wakeup
	;;#ASMEND
                                        ; implicit-def: $vgpr8_vgpr9
	s_and_saveexec_b64 s[72:73], vcc
	s_cbranch_execz .LBB6_6954
; %bb.6951:                             ;   in Loop: Header=BB6_3523 Depth=1
	v_mad_u64_u32 v[10:11], s[18:19], v2, 24, v[21:22]
                                        ; implicit-def: $vgpr8_vgpr9
	flat_load_dword v5, v[10:11]
	s_waitcnt vmcnt(0) lgkmcnt(0)
	v_cmp_ne_u32_e32 vcc, 1, v5
	v_cmp_eq_u32_e64 s[18:19], 1, v5
	s_and_saveexec_b64 s[74:75], s[18:19]
	s_cbranch_execz .LBB6_6953
; %bb.6952:                             ;   in Loop: Header=BB6_3523 Depth=1
	flat_load_dword v8, v[10:11] offset:4 glc
	s_waitcnt vmcnt(0) lgkmcnt(0)
	v_ashrrev_i32_e32 v9, 31, v8
.LBB6_6953:                             ;   in Loop: Header=BB6_3523 Depth=1
	s_or_b64 exec, exec, s[74:75]
	s_orn2_b64 s[18:19], vcc, exec
.LBB6_6954:                             ;   in Loop: Header=BB6_3523 Depth=1
	s_or_b64 exec, exec, s[72:73]
	s_and_saveexec_b64 s[72:73], s[18:19]
	s_cbranch_execz .LBB6_6956
; %bb.6955:                             ;   in Loop: Header=BB6_3523 Depth=1
	buffer_load_dword v5, off, s[0:3], s33 offset:236 ; 4-byte Folded Reload
	s_waitcnt vmcnt(0)
	v_mad_i64_i32 v[8:9], s[18:19], v2, v5, 0
.LBB6_6956:                             ;   in Loop: Header=BB6_3523 Depth=1
	s_or_b64 exec, exec, s[72:73]
	buffer_load_dword v5, off, s[0:3], s33 offset:200 ; 4-byte Folded Reload
	buffer_load_dword v6, off, s[0:3], s33 offset:204 ; 4-byte Folded Reload
	v_and_b32_e32 v2, 0x2000, v16
	s_waitcnt vmcnt(1)
	v_add_co_u32_e32 v5, vcc, v5, v8
	s_waitcnt vmcnt(0)
	v_addc_co_u32_e32 v6, vcc, v6, v9, vcc
	v_cmp_ne_u32_e32 vcc, 0, v2
	ds_write_b64 v0, v[5:6] offset:728
	s_and_saveexec_b64 s[18:19], vcc
	s_cbranch_execz .LBB6_6958
; %bb.6957:                             ;   in Loop: Header=BB6_3523 Depth=1
	ds_read_b64 v[5:6], v0 offset:872
	s_waitcnt lgkmcnt(0)
	v_add_co_u32_e32 v5, vcc, 1, v5
	v_addc_co_u32_e32 v6, vcc, 0, v6, vcc
	ds_write_b64 v0, v[5:6] offset:872
.LBB6_6958:                             ;   in Loop: Header=BB6_3523 Depth=1
	s_or_b64 exec, exec, s[18:19]
	v_mov_b32_e32 v24, v1
	v_mov_b32_e32 v23, v0
.LBB6_6959:                             ;   in Loop: Header=BB6_3523 Depth=1
	s_or_b64 exec, exec, s[62:63]
	s_and_saveexec_b64 s[18:19], s[10:11]
	s_cbranch_execz .LBB6_6978
; %bb.6960:                             ;   in Loop: Header=BB6_3523 Depth=1
	s_and_saveexec_b64 s[62:63], s[40:41]
	s_xor_b64 s[62:63], exec, s[62:63]
	s_cbranch_execz .LBB6_6975
; %bb.6961:                             ;   in Loop: Header=BB6_3523 Depth=1
	s_and_saveexec_b64 s[72:73], s[12:13]
	s_cbranch_execz .LBB6_6974
; %bb.6962:                             ;   in Loop: Header=BB6_3523 Depth=1
	s_mov_b64 s[76:77], exec
	v_mbcnt_lo_u32_b32 v0, s76, 0
	v_mbcnt_hi_u32_b32 v0, s77, v0
	v_cmp_eq_u32_e32 vcc, 0, v0
	s_waitcnt vmcnt(0) lgkmcnt(0)
	buffer_wbinvl1_vol
	s_and_saveexec_b64 s[74:75], vcc
	s_cbranch_execz .LBB6_6964
; %bb.6963:                             ;   in Loop: Header=BB6_3523 Depth=1
	s_bcnt1_i32_b64 s76, s[76:77]
	v_mov_b32_e32 v2, s76
	ds_add_u64 v0, v[2:3]
	s_trap 2
.LBB6_6964:                             ;   in Loop: Header=BB6_3523 Depth=1
	s_or_b64 exec, exec, s[74:75]
	s_trap 2
	ds_read_b64 v[0:1], v0
	s_waitcnt lgkmcnt(0)
	buffer_load_dword v5, off, s[0:3], s33 offset:76 ; 4-byte Folded Reload
	buffer_load_dword v6, off, s[0:3], s33 offset:80 ; 4-byte Folded Reload
	buffer_load_dword v2, off, s[0:3], s33 offset:84 ; 4-byte Folded Reload
	s_waitcnt vmcnt(0)
	v_add_co_u32_e32 v5, vcc, v5, v2
	v_addc_co_u32_e32 v6, vcc, 0, v6, vcc
	buffer_store_dword v5, off, s[0:3], s33 offset:76 ; 4-byte Folded Spill
	s_nop 0
	buffer_store_dword v6, off, s[0:3], s33 offset:80 ; 4-byte Folded Spill
	v_cmp_lt_u64_e32 vcc, v[0:1], v[5:6]
	s_and_saveexec_b64 s[74:75], vcc
	s_cbranch_execz .LBB6_6973
; %bb.6965:                             ;   in Loop: Header=BB6_3523 Depth=1
	s_mov_b32 s30, 0
	s_mov_b64 s[76:77], 0
                                        ; implicit-def: $sgpr78_sgpr79
                                        ; implicit-def: $sgpr88_sgpr89
	s_branch .LBB6_6967
.LBB6_6966:                             ;   in Loop: Header=BB6_6967 Depth=2
	s_or_b64 exec, exec, s[92:93]
	s_and_b64 s[90:91], exec, s[94:95]
	s_or_b64 s[76:77], s[90:91], s[76:77]
	s_andn2_b64 s[78:79], s[78:79], exec
	s_and_b64 s[90:91], s[88:89], exec
	s_or_b64 s[78:79], s[78:79], s[90:91]
	s_andn2_b64 exec, exec, s[76:77]
	s_cbranch_execz .LBB6_6971
.LBB6_6967:                             ;   Parent Loop BB6_3523 Depth=1
                                        ; =>  This Inner Loop Header: Depth=2
	s_add_i32 s30, s30, 1
	s_cmpk_lg_i32 s30, 0x2710
	s_cselect_b64 s[90:91], -1, 0
	s_and_b64 vcc, exec, s[90:91]
	s_cbranch_vccz .LBB6_6969
; %bb.6968:                             ;   in Loop: Header=BB6_6967 Depth=2
	s_mov_b64 s[94:95], -1
	s_or_b64 s[88:89], s[88:89], exec
	s_and_saveexec_b64 s[92:93], s[90:91]
	s_cbranch_execz .LBB6_6966
	s_branch .LBB6_6970
.LBB6_6969:                             ;   in Loop: Header=BB6_6967 Depth=2
	s_trap 2
	ds_read_b64 v[0:1], v0
	s_andn2_b64 s[90:91], s[90:91], exec
	s_mov_b32 s30, 0
	s_waitcnt vmcnt(0) lgkmcnt(0)
	flat_load_dword v0, v[0:1] glc
	s_waitcnt vmcnt(0) lgkmcnt(0)
	buffer_wbinvl1_vol
	v_cmp_eq_u32_e32 vcc, 0, v0
	s_and_b64 s[92:93], vcc, exec
	s_or_b64 s[90:91], s[90:91], s[92:93]
	s_mov_b64 s[94:95], -1
	s_or_b64 s[88:89], s[88:89], exec
	s_and_saveexec_b64 s[92:93], s[90:91]
	s_cbranch_execz .LBB6_6966
.LBB6_6970:                             ;   in Loop: Header=BB6_6967 Depth=2
	s_sleep 1
	s_trap 2
	ds_read_b64 v[0:1], v0
	s_waitcnt lgkmcnt(0)
	buffer_load_dword v5, off, s[0:3], s33 offset:76 ; 4-byte Folded Reload
	buffer_load_dword v6, off, s[0:3], s33 offset:80 ; 4-byte Folded Reload
	s_andn2_b64 s[88:89], s[88:89], exec
	s_waitcnt vmcnt(0)
	v_cmp_ge_u64_e32 vcc, v[0:1], v[5:6]
	s_orn2_b64 s[94:95], vcc, exec
	s_branch .LBB6_6966
.LBB6_6971:                             ;   in Loop: Header=BB6_3523 Depth=1
	s_or_b64 exec, exec, s[76:77]
	s_and_saveexec_b64 s[76:77], s[78:79]
	s_xor_b64 s[76:77], exec, s[76:77]
	s_cbranch_execz .LBB6_6973
; %bb.6972:                             ;   in Loop: Header=BB6_3523 Depth=1
	v_mov_b32_e32 v0, 1
	ds_write_b32 v0, v0
	s_trap 2
.LBB6_6973:                             ;   in Loop: Header=BB6_3523 Depth=1
	s_or_b64 exec, exec, s[74:75]
	;;#ASMSTART
	s_wakeup
	;;#ASMEND
.LBB6_6974:                             ;   in Loop: Header=BB6_3523 Depth=1
	s_or_b64 exec, exec, s[72:73]
.LBB6_6975:                             ;   in Loop: Header=BB6_3523 Depth=1
	s_andn2_saveexec_b64 s[62:63], s[62:63]
	s_cbranch_execz .LBB6_6977
; %bb.6976:                             ;   in Loop: Header=BB6_3523 Depth=1
	s_waitcnt vmcnt(0) lgkmcnt(0)
	buffer_wbinvl1_vol
	s_barrier
.LBB6_6977:                             ;   in Loop: Header=BB6_3523 Depth=1
	s_or_b64 exec, exec, s[62:63]
.LBB6_6978:                             ;   in Loop: Header=BB6_3523 Depth=1
	s_or_b64 exec, exec, s[18:19]
	s_trap 2
	ds_read_b32 v0, v0
	v_sub_u32_e32 v1, v42, v4
	v_min_i32_e32 v1, v43, v1
	v_cmp_lt_i32_e32 vcc, 0, v1
	s_waitcnt lgkmcnt(0)
	v_readfirstlane_b32 s18, v0
	s_cmp_eq_u32 s18, 0
	s_cselect_b64 s[18:19], -1, 0
	v_and_b32_e32 v0, 16, v16
	s_and_b64 s[18:19], vcc, s[18:19]
	v_cmp_ne_u32_e32 vcc, 0, v0
	s_and_b64 s[62:63], vcc, s[18:19]
	s_and_saveexec_b64 s[18:19], s[62:63]
	s_cbranch_execz .LBB6_6980
; %bb.6979:                             ;   in Loop: Header=BB6_3523 Depth=1
	s_waitcnt vmcnt(0)
	buffer_wbinvl1_vol
.LBB6_6980:                             ;   in Loop: Header=BB6_3523 Depth=1
	s_or_b64 exec, exec, s[18:19]
	v_and_b32_e32 v0, 32, v16
	v_cmp_ne_u32_e32 vcc, 0, v0
	s_and_saveexec_b64 s[18:19], vcc
	s_cbranch_execz .LBB6_3521
; %bb.6981:                             ;   in Loop: Header=BB6_3523 Depth=1
	buffer_load_dword v0, off, s[0:3], s33 offset:60 ; 4-byte Folded Reload
	buffer_load_dword v1, off, s[0:3], s33 offset:64 ; 4-byte Folded Reload
	v_add_co_u32_e32 v23, vcc, 1, v23
	v_addc_co_u32_e32 v24, vcc, 0, v24, vcc
	s_waitcnt vmcnt(0)
	flat_store_dwordx2 v[0:1], v[23:24]
	s_branch .LBB6_3521
.LBB6_6982:
	s_or_b64 exec, exec, s[42:43]
.LBB6_6983:
	s_or_b64 exec, exec, s[28:29]
.LBB6_6984:
	s_or_b64 exec, exec, s[22:23]
                                        ; implicit-def: $vgpr0_vgpr1
                                        ; kill: killed $vgpr0_vgpr1
                                        ; implicit-def: $vgpr14_vgpr15
                                        ; implicit-def: $vgpr36_vgpr37
                                        ; implicit-def: $vgpr48
                                        ; implicit-def: $vgpr6
                                        ; implicit-def: $vgpr49
                                        ; implicit-def: $vgpr0
                                        ; kill: killed $vgpr0
                                        ; implicit-def: $vgpr0_vgpr1
                                        ; kill: killed $vgpr0_vgpr1
                                        ; implicit-def: $vgpr0_vgpr1
                                        ; kill: killed $vgpr0_vgpr1
	;; [unrolled: 2-line block ×3, first 2 shown]
.LBB6_6985:
	s_andn2_saveexec_b64 s[22:23], s[26:27]
	s_cbranch_execz .LBB6_7159
; %bb.6986:
	v_mov_b32_e32 v0, 0
	v_cmp_ne_u64_e32 vcc, 0, v[14:15]
	v_mov_b32_e32 v1, 0
	buffer_store_dword v0, off, s[0:3], s33 offset:76 ; 4-byte Folded Spill
	s_nop 0
	buffer_store_dword v1, off, s[0:3], s33 offset:80 ; 4-byte Folded Spill
	s_and_saveexec_b64 s[26:27], vcc
	s_cbranch_execz .LBB6_7158
; %bb.6987:
	s_waitcnt vmcnt(0)
	v_and_b32_e32 v0, 63, v38
	v_cmp_eq_u32_e64 s[12:13], 0, v0
	v_ashrrev_i32_e32 v0, 31, v48
	v_lshrrev_b32_e32 v0, 26, v0
	v_add_u32_e32 v0, v48, v0
	v_and_b32_e32 v2, 0xffffffc0, v0
	v_sub_u32_e32 v2, v48, v2
	v_cmp_lt_i32_e64 s[16:17], v2, v6
	v_mov_b32_e32 v5, 0
	v_mov_b32_e32 v6, 0
	s_trap 2
	buffer_store_dword v39, off, s[0:3], s33 offset:284 ; 4-byte Folded Spill
	buffer_store_dword v38, off, s[0:3], s33 offset:280 ; 4-byte Folded Spill
	;; [unrolled: 1-line block ×5, first 2 shown]
	s_nop 0
	buffer_store_dword v6, off, s[0:3], s33 offset:80 ; 4-byte Folded Spill
	buffer_load_dword v17, off, s[0:3], s33 offset:68 ; 4-byte Folded Reload
	buffer_load_dword v18, off, s[0:3], s33 offset:72 ; 4-byte Folded Reload
	s_ashr_i32 s6, s48, 31
	v_ashrrev_i32_e32 v32, 6, v0
	s_lshr_b32 s6, s6, 24
	v_lshlrev_b32_e32 v0, 13, v32
	s_add_i32 s48, s48, s6
	v_cmp_eq_u32_e32 vcc, 64, v45
	v_lshrrev_b32_e32 v46, 6, v45
	v_cmp_gt_i32_e64 s[14:15], 1, v2
	v_lshl_add_u32 v7, v2, 4, v0
	v_cmp_ne_u64_e64 s[18:19], 0, v[36:37]
	v_mov_b32_e32 v2, 0
	s_ashr_i32 s94, s48, 8
	v_cmp_ge_i32_e64 s[6:7], v48, v45
	v_cmp_ne_u32_e64 s[10:11], 64, v45
	v_cmp_ne_u32_sdwa s[28:29], v45, v39 src0_sel:DWORD src1_sel:WORD_0
	v_mov_b32_e32 v1, 0
	v_ashrrev_i32_e32 v62, 31, v7
	v_lshlrev_b32_e32 v19, 13, v46
	v_lshlrev_b32_e32 v33, 10, v46
	v_lshlrev_b32_e32 v34, 11, v46
	v_and_b32_e32 v20, 0x3fc0, v45
	s_mov_b64 s[40:41], 0
	v_mov_b32_e32 v3, 0
	v_mov_b32_e32 v35, 1
	s_xor_b64 s[42:43], vcc, -1
	s_movk_i32 s95, 0x1000
	s_mov_b32 s30, 0x3ffffc00
	buffer_store_dword v49, off, s[0:3], s33 offset:208 ; 4-byte Folded Spill
	s_nop 0
	buffer_store_dword v50, off, s[0:3], s33 offset:212 ; 4-byte Folded Spill
	buffer_store_dword v36, off, s[0:3], s33 offset:268 ; 4-byte Folded Spill
	s_nop 0
	buffer_store_dword v37, off, s[0:3], s33 offset:272 ; 4-byte Folded Spill
	buffer_store_dword v32, off, s[0:3], s33 offset:84 ; 4-byte Folded Spill
	;; [unrolled: 1-line block ×5, first 2 shown]
	s_nop 0
	buffer_store_dword v15, off, s[0:3], s33 offset:160 ; 4-byte Folded Spill
	buffer_store_dword v16, off, s[0:3], s33 offset:164 ; 4-byte Folded Spill
	s_waitcnt vmcnt(0)
	buffer_store_dword v17, off, s[0:3], s33 offset:168 ; 4-byte Folded Spill
	s_branch .LBB6_6991
.LBB6_6988:                             ;   in Loop: Header=BB6_6991 Depth=1
	s_or_b64 exec, exec, s[44:45]
	buffer_load_dword v5, off, s[0:3], s33 offset:60 ; 4-byte Folded Reload
	buffer_load_dword v6, off, s[0:3], s33 offset:64 ; 4-byte Folded Reload
	v_mov_b32_e32 v8, v21
	v_mov_b32_e32 v10, v23
	;; [unrolled: 1-line block ×3, first 2 shown]
	v_add_co_u32_e32 v10, vcc, 1, v10
	v_addc_co_u32_e32 v11, vcc, 0, v11, vcc
	v_mov_b32_e32 v9, v22
	v_mov_b32_e32 v24, v11
	;; [unrolled: 1-line block ×5, first 2 shown]
	s_waitcnt vmcnt(0)
	flat_store_dwordx2 v[5:6], v[10:11]
.LBB6_6989:                             ;   in Loop: Header=BB6_6991 Depth=1
	s_or_b64 exec, exec, s[20:21]
.LBB6_6990:                             ;   in Loop: Header=BB6_6991 Depth=1
	s_or_b64 exec, exec, s[46:47]
	buffer_load_dword v8, off, s[0:3], s33 offset:156 ; 4-byte Folded Reload
	buffer_load_dword v9, off, s[0:3], s33 offset:160 ; 4-byte Folded Reload
	;; [unrolled: 1-line block ×4, first 2 shown]
	v_add_co_u32_e32 v2, vcc, v2, v49
	v_addc_co_u32_e32 v3, vcc, 0, v3, vcc
	s_waitcnt vmcnt(0)
	v_mov_b32_e32 v15, v9
	v_mov_b32_e32 v14, v8
	v_cmp_ge_u64_e32 vcc, v[2:3], v[14:15]
	s_or_b64 s[40:41], vcc, s[40:41]
	s_andn2_b64 exec, exec, s[40:41]
	s_cbranch_execz .LBB6_7157
.LBB6_6991:                             ; =>This Loop Header: Depth=1
                                        ;     Child Loop BB6_7000 Depth 2
                                        ;     Child Loop BB6_7024 Depth 2
	;; [unrolled: 1-line block ×10, first 2 shown]
	v_sub_co_u32_e32 v8, vcc, v14, v2
	v_subb_co_u32_e32 v9, vcc, v15, v3, vcc
	v_cmp_lt_u64_e32 vcc, v[49:50], v[8:9]
	v_cndmask_b32_e64 v11, v9, 0, vcc
	v_cndmask_b32_e32 v10, v8, v49, vcc
	v_cmp_eq_u64_e32 vcc, 0, v[10:11]
	v_add_u32_e32 v0, 15, v10
	v_and_b32_e32 v0, 0x7ffffff0, v0
	s_or_b64 s[44:45], s[6:7], vcc
	v_max_i32_e32 v0, s94, v0
	s_xor_b64 s[20:21], s[44:45], -1
	v_mov_b32_e32 v8, 0
	s_and_saveexec_b64 s[46:47], s[20:21]
	s_cbranch_execz .LBB6_7110
; %bb.6992:                             ;   in Loop: Header=BB6_6991 Depth=1
	s_and_saveexec_b64 s[20:21], s[4:5]
	s_cbranch_execz .LBB6_6994
; %bb.6993:                             ;   in Loop: Header=BB6_6991 Depth=1
	s_trap 2
	ds_read_b64 v[8:9], v0
	buffer_load_dword v5, off, s[0:3], s33 offset:224 ; 4-byte Folded Reload
	buffer_load_dword v6, off, s[0:3], s33 offset:228 ; 4-byte Folded Reload
	s_waitcnt vmcnt(0) lgkmcnt(0)
	v_add_co_u32_e32 v5, vcc, v8, v5
	v_addc_co_u32_e32 v6, vcc, v9, v6, vcc
	v_add_co_u32_e32 v8, vcc, v5, v2
	v_addc_co_u32_e32 v9, vcc, v6, v3, vcc
	ds_write_b64 v0, v[8:9]
	v_mov_b32_e32 v8, v1
	v_mov_b32_e32 v9, v1
	ds_write_b64 v0, v[8:9]
.LBB6_6994:                             ;   in Loop: Header=BB6_6991 Depth=1
	s_or_b64 exec, exec, s[20:21]
	v_and_b32_e32 v5, 8, v16
	v_min_u32_e32 v0, v0, v10
	v_cmp_ne_u32_e32 vcc, 0, v5
	s_and_saveexec_b64 s[56:57], vcc
	s_cbranch_execz .LBB6_7016
; %bb.6995:                             ;   in Loop: Header=BB6_6991 Depth=1
	v_add_co_u32_e32 v8, vcc, 8, v17
	s_waitcnt lgkmcnt(0)
	v_mov_b32_e32 v11, v21
	v_addc_co_u32_e32 v9, vcc, 0, v18, vcc
	v_mov_b32_e32 v13, v23
	v_mov_b32_e32 v12, v22
	;; [unrolled: 1-line block ×3, first 2 shown]
	v_add_co_u32_e32 v11, vcc, 1, v13
	v_addc_co_u32_e32 v12, vcc, 0, v14, vcc
	v_cmp_lt_u64_e32 vcc, v[8:9], v[11:12]
	s_and_saveexec_b64 s[58:59], vcc
	s_cbranch_execz .LBB6_7007
; %bb.6996:                             ;   in Loop: Header=BB6_6991 Depth=1
	v_and_b32_e32 v5, 64, v16
	s_mov_b32 s31, 0
	v_cmp_eq_u32_e32 vcc, 0, v5
	s_mov_b64 s[60:61], 0
                                        ; implicit-def: $sgpr62_sgpr63
                                        ; implicit-def: $sgpr72_sgpr73
                                        ; implicit-def: $sgpr74_sgpr75
	s_branch .LBB6_7000
.LBB6_6997:                             ;   in Loop: Header=BB6_7000 Depth=2
	s_waitcnt vmcnt(0) lgkmcnt(0)
	v_add_co_u32_e64 v13, s[20:21], 8, v17
	v_addc_co_u32_e64 v14, s[20:21], 0, v18, s[20:21]
	v_cmp_ge_u64_e64 s[20:21], v[13:14], v[11:12]
	s_or_b64 s[88:89], s[88:89], exec
	s_orn2_b64 s[78:79], s[20:21], exec
.LBB6_6998:                             ;   in Loop: Header=BB6_7000 Depth=2
	s_or_b64 exec, exec, s[92:93]
	s_andn2_b64 s[20:21], s[74:75], exec
	s_and_b64 s[74:75], s[88:89], exec
	s_or_b64 s[74:75], s[20:21], s[74:75]
	s_andn2_b64 s[20:21], s[72:73], exec
	s_and_b64 s[72:73], s[78:79], exec
	s_or_b64 s[72:73], s[20:21], s[72:73]
.LBB6_6999:                             ;   in Loop: Header=BB6_7000 Depth=2
	s_or_b64 exec, exec, s[76:77]
	s_and_b64 s[20:21], exec, s[72:73]
	s_or_b64 s[60:61], s[20:21], s[60:61]
	s_andn2_b64 s[20:21], s[62:63], exec
	s_and_b64 s[62:63], s[74:75], exec
	s_or_b64 s[62:63], s[20:21], s[62:63]
	s_andn2_b64 exec, exec, s[60:61]
	s_cbranch_execz .LBB6_7004
.LBB6_7000:                             ;   Parent Loop BB6_6991 Depth=1
                                        ; =>  This Inner Loop Header: Depth=2
	s_sleep 1
	buffer_load_dword v5, off, s[0:3], s33 offset:60 ; 4-byte Folded Reload
	buffer_load_dword v6, off, s[0:3], s33 offset:64 ; 4-byte Folded Reload
	s_or_b64 s[74:75], s[74:75], exec
	s_or_b64 s[72:73], s[72:73], exec
                                        ; implicit-def: $vgpr8
	s_waitcnt vmcnt(0) lgkmcnt(0)
	flat_load_dwordx2 v[17:18], v[5:6] glc
	s_and_saveexec_b64 s[76:77], vcc
	s_cbranch_execz .LBB6_6999
; %bb.7001:                             ;   in Loop: Header=BB6_7000 Depth=2
	s_cmpk_lt_i32 s31, 0x270f
	s_cselect_b64 s[90:91], -1, 0
	s_cmpk_gt_i32 s31, 0x270e
	s_mov_b64 s[78:79], -1
	s_cbranch_scc0 .LBB6_7003
; %bb.7002:                             ;   in Loop: Header=BB6_7000 Depth=2
	s_trap 2
	ds_read_b64 v[8:9], v0
	s_andn2_b64 s[90:91], s[90:91], exec
	s_mov_b32 s31, 0
	s_mov_b64 s[88:89], 0
	s_waitcnt vmcnt(0) lgkmcnt(0)
	flat_load_dword v8, v[8:9] glc
	s_waitcnt vmcnt(0) lgkmcnt(0)
	buffer_wbinvl1_vol
	v_cmp_eq_u32_e64 s[20:21], 0, v8
	s_and_b64 s[20:21], s[20:21], exec
	s_or_b64 s[90:91], s[90:91], s[20:21]
	s_and_saveexec_b64 s[92:93], s[90:91]
	s_cbranch_execz .LBB6_6998
	s_branch .LBB6_6997
.LBB6_7003:                             ;   in Loop: Header=BB6_7000 Depth=2
	s_add_i32 s31, s31, 1
	s_mov_b64 s[88:89], -1
                                        ; implicit-def: $vgpr8
	s_and_saveexec_b64 s[92:93], s[90:91]
	s_cbranch_execz .LBB6_6998
	s_branch .LBB6_6997
.LBB6_7004:                             ;   in Loop: Header=BB6_6991 Depth=1
	s_or_b64 exec, exec, s[60:61]
	s_xor_b64 s[20:21], s[62:63], -1
	s_and_saveexec_b64 s[60:61], s[20:21]
	s_xor_b64 s[20:21], exec, s[60:61]
	s_cbranch_execz .LBB6_7006
; %bb.7005:                             ;   in Loop: Header=BB6_6991 Depth=1
	v_or_b32_e32 v16, 64, v16
	s_waitcnt lgkmcnt(0)
	ds_write_b32 v0, v8
	s_trap 2
.LBB6_7006:                             ;   in Loop: Header=BB6_6991 Depth=1
	s_or_b64 exec, exec, s[20:21]
.LBB6_7007:                             ;   in Loop: Header=BB6_6991 Depth=1
	s_or_b64 exec, exec, s[58:59]
	v_and_b32_e32 v5, 0x100, v16
	v_cmp_ne_u32_e32 vcc, 0, v5
	v_and_b32_e32 v15, 7, v23
	s_mov_b64 s[20:21], -1
	;;#ASMSTART
	s_wakeup
	;;#ASMEND
                                        ; implicit-def: $vgpr8_vgpr9
	s_and_saveexec_b64 s[58:59], vcc
	s_cbranch_execz .LBB6_7011
; %bb.7008:                             ;   in Loop: Header=BB6_6991 Depth=1
	v_mad_u64_u32 v[13:14], s[20:21], v15, 24, v[21:22]
                                        ; implicit-def: $vgpr8_vgpr9
	flat_load_dword v5, v[13:14]
	s_nop 0
	flat_store_dwordx2 v[13:14], v[0:1] offset:8
	s_waitcnt vmcnt(0) lgkmcnt(0)
	v_cmp_ne_u32_e32 vcc, 1, v5
	v_cmp_eq_u32_e64 s[20:21], 1, v5
	s_and_saveexec_b64 s[60:61], s[20:21]
	s_cbranch_execz .LBB6_7010
; %bb.7009:                             ;   in Loop: Header=BB6_6991 Depth=1
	flat_load_dword v8, v[13:14] offset:4 glc
	s_waitcnt vmcnt(0) lgkmcnt(0)
	v_ashrrev_i32_e32 v9, 31, v8
.LBB6_7010:                             ;   in Loop: Header=BB6_6991 Depth=1
	s_or_b64 exec, exec, s[60:61]
	s_orn2_b64 s[20:21], vcc, exec
.LBB6_7011:                             ;   in Loop: Header=BB6_6991 Depth=1
	s_or_b64 exec, exec, s[58:59]
	s_and_saveexec_b64 s[58:59], s[20:21]
	s_cbranch_execz .LBB6_7013
; %bb.7012:                             ;   in Loop: Header=BB6_6991 Depth=1
	buffer_load_dword v5, off, s[0:3], s33 offset:236 ; 4-byte Folded Reload
	s_waitcnt vmcnt(0)
	v_mad_i64_i32 v[8:9], s[20:21], v15, v5, 0
.LBB6_7013:                             ;   in Loop: Header=BB6_6991 Depth=1
	s_or_b64 exec, exec, s[58:59]
	buffer_load_dword v5, off, s[0:3], s33 offset:200 ; 4-byte Folded Reload
	buffer_load_dword v6, off, s[0:3], s33 offset:204 ; 4-byte Folded Reload
	s_waitcnt vmcnt(0)
	v_add_co_u32_e32 v8, vcc, v5, v8
	v_addc_co_u32_e32 v9, vcc, v6, v9, vcc
	v_and_b32_e32 v5, 0x2000, v16
	v_cmp_ne_u32_e32 vcc, 0, v5
	ds_write_b64 v0, v[8:9] offset:784
	s_and_saveexec_b64 s[20:21], vcc
	s_cbranch_execz .LBB6_7015
; %bb.7014:                             ;   in Loop: Header=BB6_6991 Depth=1
	ds_read_b64 v[8:9], v0 offset:872
	s_waitcnt lgkmcnt(0)
	v_add_co_u32_e32 v8, vcc, 1, v8
	v_addc_co_u32_e32 v9, vcc, 0, v9, vcc
	ds_write_b64 v0, v[8:9] offset:872
.LBB6_7015:                             ;   in Loop: Header=BB6_6991 Depth=1
	s_or_b64 exec, exec, s[20:21]
	v_mov_b32_e32 v24, v12
	v_mov_b32_e32 v23, v11
.LBB6_7016:                             ;   in Loop: Header=BB6_6991 Depth=1
	s_or_b64 exec, exec, s[56:57]
	s_and_saveexec_b64 s[20:21], s[10:11]
	s_cbranch_execz .LBB6_7035
; %bb.7017:                             ;   in Loop: Header=BB6_6991 Depth=1
	s_and_saveexec_b64 s[56:57], s[28:29]
	s_xor_b64 s[56:57], exec, s[56:57]
	s_cbranch_execz .LBB6_7032
; %bb.7018:                             ;   in Loop: Header=BB6_6991 Depth=1
	s_and_saveexec_b64 s[58:59], s[12:13]
	s_cbranch_execz .LBB6_7031
; %bb.7019:                             ;   in Loop: Header=BB6_6991 Depth=1
	s_mov_b64 s[62:63], exec
	v_mbcnt_lo_u32_b32 v5, s62, 0
	v_mbcnt_hi_u32_b32 v5, s63, v5
	v_cmp_eq_u32_e32 vcc, 0, v5
	s_waitcnt vmcnt(0) lgkmcnt(0)
	buffer_wbinvl1_vol
	s_and_saveexec_b64 s[60:61], vcc
	s_cbranch_execz .LBB6_7021
; %bb.7020:                             ;   in Loop: Header=BB6_6991 Depth=1
	s_bcnt1_i32_b64 s62, s[62:63]
	v_mov_b32_e32 v8, s62
	v_mov_b32_e32 v9, v1
	ds_add_u64 v0, v[8:9]
	s_trap 2
.LBB6_7021:                             ;   in Loop: Header=BB6_6991 Depth=1
	s_or_b64 exec, exec, s[60:61]
	s_trap 2
	ds_read_b64 v[8:9], v0
	s_waitcnt lgkmcnt(0)
	buffer_load_dword v5, off, s[0:3], s33 offset:76 ; 4-byte Folded Reload
	buffer_load_dword v6, off, s[0:3], s33 offset:80 ; 4-byte Folded Reload
	s_waitcnt vmcnt(1)
	v_add_co_u32_e32 v5, vcc, v5, v46
	s_waitcnt vmcnt(0)
	v_addc_co_u32_e32 v6, vcc, 0, v6, vcc
	buffer_store_dword v5, off, s[0:3], s33 offset:76 ; 4-byte Folded Spill
	s_nop 0
	buffer_store_dword v6, off, s[0:3], s33 offset:80 ; 4-byte Folded Spill
	v_cmp_lt_u64_e32 vcc, v[8:9], v[5:6]
	s_and_saveexec_b64 s[60:61], vcc
	s_cbranch_execz .LBB6_7030
; %bb.7022:                             ;   in Loop: Header=BB6_6991 Depth=1
	s_mov_b32 s90, 0
	s_mov_b64 s[62:63], 0
                                        ; implicit-def: $sgpr72_sgpr73
                                        ; implicit-def: $sgpr74_sgpr75
	s_branch .LBB6_7024
.LBB6_7023:                             ;   in Loop: Header=BB6_7024 Depth=2
	s_or_b64 exec, exec, s[78:79]
	s_and_b64 s[76:77], exec, s[88:89]
	s_or_b64 s[62:63], s[76:77], s[62:63]
	s_andn2_b64 s[72:73], s[72:73], exec
	s_and_b64 s[76:77], s[74:75], exec
	s_or_b64 s[72:73], s[72:73], s[76:77]
	s_andn2_b64 exec, exec, s[62:63]
	s_cbranch_execz .LBB6_7028
.LBB6_7024:                             ;   Parent Loop BB6_6991 Depth=1
                                        ; =>  This Inner Loop Header: Depth=2
	s_add_i32 s90, s90, 1
	s_cmpk_lg_i32 s90, 0x2710
	s_cselect_b64 s[76:77], -1, 0
	s_and_b64 vcc, exec, s[76:77]
	s_cbranch_vccz .LBB6_7026
; %bb.7025:                             ;   in Loop: Header=BB6_7024 Depth=2
	s_mov_b64 s[88:89], -1
	s_or_b64 s[74:75], s[74:75], exec
	s_and_saveexec_b64 s[78:79], s[76:77]
	s_cbranch_execz .LBB6_7023
	s_branch .LBB6_7027
.LBB6_7026:                             ;   in Loop: Header=BB6_7024 Depth=2
	s_trap 2
	ds_read_b64 v[8:9], v0
	s_andn2_b64 s[76:77], s[76:77], exec
	s_mov_b32 s90, 0
	s_waitcnt vmcnt(0) lgkmcnt(0)
	flat_load_dword v5, v[8:9] glc
	s_waitcnt vmcnt(0) lgkmcnt(0)
	buffer_wbinvl1_vol
	v_cmp_eq_u32_e32 vcc, 0, v5
	s_and_b64 s[78:79], vcc, exec
	s_or_b64 s[76:77], s[76:77], s[78:79]
	s_mov_b64 s[88:89], -1
	s_or_b64 s[74:75], s[74:75], exec
	s_and_saveexec_b64 s[78:79], s[76:77]
	s_cbranch_execz .LBB6_7023
.LBB6_7027:                             ;   in Loop: Header=BB6_7024 Depth=2
	s_sleep 1
	s_trap 2
	ds_read_b64 v[8:9], v0
	s_waitcnt lgkmcnt(0)
	buffer_load_dword v5, off, s[0:3], s33 offset:76 ; 4-byte Folded Reload
	buffer_load_dword v6, off, s[0:3], s33 offset:80 ; 4-byte Folded Reload
	s_andn2_b64 s[74:75], s[74:75], exec
	s_waitcnt vmcnt(0)
	v_cmp_ge_u64_e32 vcc, v[8:9], v[5:6]
	s_orn2_b64 s[88:89], vcc, exec
	s_branch .LBB6_7023
.LBB6_7028:                             ;   in Loop: Header=BB6_6991 Depth=1
	s_or_b64 exec, exec, s[62:63]
	s_and_saveexec_b64 s[62:63], s[72:73]
	s_xor_b64 s[62:63], exec, s[62:63]
	s_cbranch_execz .LBB6_7030
; %bb.7029:                             ;   in Loop: Header=BB6_6991 Depth=1
	ds_write_b32 v0, v35
	s_trap 2
.LBB6_7030:                             ;   in Loop: Header=BB6_6991 Depth=1
	s_or_b64 exec, exec, s[60:61]
	;;#ASMSTART
	s_wakeup
	;;#ASMEND
.LBB6_7031:                             ;   in Loop: Header=BB6_6991 Depth=1
	s_or_b64 exec, exec, s[58:59]
.LBB6_7032:                             ;   in Loop: Header=BB6_6991 Depth=1
	s_andn2_saveexec_b64 s[56:57], s[56:57]
	s_cbranch_execz .LBB6_7034
; %bb.7033:                             ;   in Loop: Header=BB6_6991 Depth=1
	s_waitcnt vmcnt(0) lgkmcnt(0)
	buffer_wbinvl1_vol
	s_barrier
.LBB6_7034:                             ;   in Loop: Header=BB6_6991 Depth=1
	s_or_b64 exec, exec, s[56:57]
.LBB6_7035:                             ;   in Loop: Header=BB6_6991 Depth=1
	s_or_b64 exec, exec, s[20:21]
	s_trap 2
	ds_read_b32 v8, v0
	v_and_b32_e32 v5, 0x4000, v16
	v_cmp_ne_u32_e32 vcc, 0, v5
	s_and_b64 s[56:57], s[42:43], vcc
	s_and_saveexec_b64 s[20:21], s[56:57]
	s_cbranch_execz .LBB6_7054
; %bb.7036:                             ;   in Loop: Header=BB6_6991 Depth=1
	s_and_saveexec_b64 s[56:57], s[28:29]
	s_xor_b64 s[56:57], exec, s[56:57]
	s_cbranch_execz .LBB6_7051
; %bb.7037:                             ;   in Loop: Header=BB6_6991 Depth=1
	s_and_saveexec_b64 s[58:59], s[12:13]
	s_cbranch_execz .LBB6_7050
; %bb.7038:                             ;   in Loop: Header=BB6_6991 Depth=1
	s_mov_b64 s[62:63], exec
	v_mbcnt_lo_u32_b32 v5, s62, 0
	v_mbcnt_hi_u32_b32 v5, s63, v5
	v_cmp_eq_u32_e32 vcc, 0, v5
	s_waitcnt vmcnt(0) lgkmcnt(0)
	buffer_wbinvl1_vol
	s_and_saveexec_b64 s[60:61], vcc
	s_cbranch_execz .LBB6_7040
; %bb.7039:                             ;   in Loop: Header=BB6_6991 Depth=1
	s_bcnt1_i32_b64 s62, s[62:63]
	v_mov_b32_e32 v11, s62
	v_mov_b32_e32 v12, v1
	ds_add_u64 v0, v[11:12]
	s_trap 2
.LBB6_7040:                             ;   in Loop: Header=BB6_6991 Depth=1
	s_or_b64 exec, exec, s[60:61]
	s_trap 2
	ds_read_b64 v[11:12], v0
	s_waitcnt lgkmcnt(0)
	buffer_load_dword v5, off, s[0:3], s33 offset:76 ; 4-byte Folded Reload
	buffer_load_dword v6, off, s[0:3], s33 offset:80 ; 4-byte Folded Reload
	s_waitcnt vmcnt(1)
	v_add_co_u32_e32 v5, vcc, v5, v46
	s_waitcnt vmcnt(0)
	v_addc_co_u32_e32 v6, vcc, 0, v6, vcc
	buffer_store_dword v5, off, s[0:3], s33 offset:76 ; 4-byte Folded Spill
	s_nop 0
	buffer_store_dword v6, off, s[0:3], s33 offset:80 ; 4-byte Folded Spill
	v_cmp_lt_u64_e32 vcc, v[11:12], v[5:6]
	s_and_saveexec_b64 s[60:61], vcc
	s_cbranch_execz .LBB6_7049
; %bb.7041:                             ;   in Loop: Header=BB6_6991 Depth=1
	s_mov_b32 s90, 0
	s_mov_b64 s[62:63], 0
                                        ; implicit-def: $sgpr72_sgpr73
                                        ; implicit-def: $sgpr74_sgpr75
	s_branch .LBB6_7043
.LBB6_7042:                             ;   in Loop: Header=BB6_7043 Depth=2
	s_or_b64 exec, exec, s[78:79]
	s_and_b64 s[76:77], exec, s[88:89]
	s_or_b64 s[62:63], s[76:77], s[62:63]
	s_andn2_b64 s[72:73], s[72:73], exec
	s_and_b64 s[76:77], s[74:75], exec
	s_or_b64 s[72:73], s[72:73], s[76:77]
	s_andn2_b64 exec, exec, s[62:63]
	s_cbranch_execz .LBB6_7047
.LBB6_7043:                             ;   Parent Loop BB6_6991 Depth=1
                                        ; =>  This Inner Loop Header: Depth=2
	s_add_i32 s90, s90, 1
	s_cmpk_lg_i32 s90, 0x2710
	s_cselect_b64 s[76:77], -1, 0
	s_and_b64 vcc, exec, s[76:77]
	s_cbranch_vccz .LBB6_7045
; %bb.7044:                             ;   in Loop: Header=BB6_7043 Depth=2
	s_mov_b64 s[88:89], -1
	s_or_b64 s[74:75], s[74:75], exec
	s_and_saveexec_b64 s[78:79], s[76:77]
	s_cbranch_execz .LBB6_7042
	s_branch .LBB6_7046
.LBB6_7045:                             ;   in Loop: Header=BB6_7043 Depth=2
	s_trap 2
	ds_read_b64 v[11:12], v0
	s_andn2_b64 s[76:77], s[76:77], exec
	s_mov_b32 s90, 0
	s_waitcnt vmcnt(0) lgkmcnt(0)
	flat_load_dword v5, v[11:12] glc
	s_waitcnt vmcnt(0) lgkmcnt(0)
	buffer_wbinvl1_vol
	v_cmp_eq_u32_e32 vcc, 0, v5
	s_and_b64 s[78:79], vcc, exec
	s_or_b64 s[76:77], s[76:77], s[78:79]
	s_mov_b64 s[88:89], -1
	s_or_b64 s[74:75], s[74:75], exec
	s_and_saveexec_b64 s[78:79], s[76:77]
	s_cbranch_execz .LBB6_7042
.LBB6_7046:                             ;   in Loop: Header=BB6_7043 Depth=2
	s_sleep 1
	s_trap 2
	ds_read_b64 v[11:12], v0
	s_waitcnt lgkmcnt(0)
	buffer_load_dword v5, off, s[0:3], s33 offset:76 ; 4-byte Folded Reload
	buffer_load_dword v6, off, s[0:3], s33 offset:80 ; 4-byte Folded Reload
	s_andn2_b64 s[74:75], s[74:75], exec
	s_waitcnt vmcnt(0)
	v_cmp_ge_u64_e32 vcc, v[11:12], v[5:6]
	s_orn2_b64 s[88:89], vcc, exec
	s_branch .LBB6_7042
.LBB6_7047:                             ;   in Loop: Header=BB6_6991 Depth=1
	s_or_b64 exec, exec, s[62:63]
	s_and_saveexec_b64 s[62:63], s[72:73]
	s_xor_b64 s[62:63], exec, s[62:63]
	s_cbranch_execz .LBB6_7049
; %bb.7048:                             ;   in Loop: Header=BB6_6991 Depth=1
	ds_write_b32 v0, v35
	s_trap 2
.LBB6_7049:                             ;   in Loop: Header=BB6_6991 Depth=1
	s_or_b64 exec, exec, s[60:61]
	;;#ASMSTART
	s_wakeup
	;;#ASMEND
.LBB6_7050:                             ;   in Loop: Header=BB6_6991 Depth=1
	s_or_b64 exec, exec, s[58:59]
.LBB6_7051:                             ;   in Loop: Header=BB6_6991 Depth=1
	s_andn2_saveexec_b64 s[56:57], s[56:57]
	s_cbranch_execz .LBB6_7053
; %bb.7052:                             ;   in Loop: Header=BB6_6991 Depth=1
	s_waitcnt vmcnt(0) lgkmcnt(0)
	buffer_wbinvl1_vol
	s_barrier
.LBB6_7053:                             ;   in Loop: Header=BB6_6991 Depth=1
	s_or_b64 exec, exec, s[56:57]
.LBB6_7054:                             ;   in Loop: Header=BB6_6991 Depth=1
	s_or_b64 exec, exec, s[20:21]
	s_trap 2
	ds_read_b64 v[11:12], v0
	s_waitcnt lgkmcnt(0)
	v_cmp_eq_u64_e32 vcc, 0, v[11:12]
	s_cbranch_vccnz .LBB6_7084
; %bb.7055:                             ;   in Loop: Header=BB6_6991 Depth=1
	s_trap 2
	ds_read_b64 v[13:14], v0
	s_waitcnt lgkmcnt(0)
	v_cmp_eq_u64_e32 vcc, 0, v[13:14]
	s_cbranch_vccnz .LBB6_7084
; %bb.7056:                             ;   in Loop: Header=BB6_6991 Depth=1
	s_mov_b64 s[20:21], -1
	s_and_saveexec_b64 s[56:57], s[14:15]
	s_cbranch_execz .LBB6_7058
; %bb.7057:                             ;   in Loop: Header=BB6_6991 Depth=1
	ds_read_b32 v5, v0 offset:720
	s_waitcnt lgkmcnt(0)
	v_and_b32_e32 v5, 15, v5
	v_cmp_eq_u32_e32 vcc, 0, v5
	s_orn2_b64 s[20:21], vcc, exec
.LBB6_7058:                             ;   in Loop: Header=BB6_6991 Depth=1
	s_or_b64 exec, exec, s[56:57]
	s_and_saveexec_b64 s[56:57], s[16:17]
	s_cbranch_execz .LBB6_7060
; %bb.7059:                             ;   in Loop: Header=BB6_6991 Depth=1
	ds_read_b32 v5, v0 offset:784
	s_waitcnt lgkmcnt(0)
	v_and_b32_e32 v5, 15, v5
	v_cmp_eq_u32_e32 vcc, 0, v5
	s_and_b64 s[58:59], s[20:21], vcc
	s_andn2_b64 s[20:21], s[20:21], exec
	s_and_b64 s[58:59], s[58:59], exec
	s_or_b64 s[20:21], s[20:21], s[58:59]
.LBB6_7060:                             ;   in Loop: Header=BB6_6991 Depth=1
	s_or_b64 exec, exec, s[56:57]
	buffer_store_dword v16, off, s[0:3], s33 offset:220 ; 4-byte Folded Spill
	buffer_load_dword v16, off, s[0:3], s33 offset:240 ; 4-byte Folded Reload
	v_cmp_eq_u32_e32 vcc, 0, v8
	s_xor_b64 s[20:21], s[20:21], -1
	v_cndmask_b32_e32 v8, 0, v0, vcc
	v_cndmask_b32_e64 v5, 0, 1, s[20:21]
	s_mov_b64 s[58:59], -1
	v_cmp_ne_u32_e32 vcc, 0, v5
	v_mov_b32_e32 v9, 0
	v_mov_b32_e32 v15, v8
	;; [unrolled: 1-line block ×3, first 2 shown]
	s_cbranch_vccnz .LBB6_7074
; %bb.7061:                             ;   in Loop: Header=BB6_6991 Depth=1
	v_lshrrev_b32_e32 v5, 13, v8
	v_sub_u32_e32 v25, v5, v32
	v_cmp_lt_i32_e32 vcc, 0, v25
	s_and_saveexec_b64 s[56:57], vcc
	s_cbranch_execz .LBB6_7065
; %bb.7062:                             ;   in Loop: Header=BB6_6991 Depth=1
	buffer_store_dword v17, off, s[0:3], s33 offset:68 ; 4-byte Folded Spill
	s_nop 0
	buffer_store_dword v18, off, s[0:3], s33 offset:72 ; 4-byte Folded Spill
	s_waitcnt vmcnt(2)
	v_mov_b32_e32 v16, v14
	v_mov_b32_e32 v18, v12
	v_mov_b32_e32 v4, v34
	v_mov_b32_e32 v9, v45
	s_mov_b64 s[58:59], 0
	v_mov_b32_e32 v15, v13
	v_mov_b32_e32 v17, v11
.LBB6_7063:                             ;   Parent Loop BB6_6991 Depth=1
                                        ; =>  This Inner Loop Header: Depth=2
	v_add_co_u32_e32 v38, vcc, v7, v17
	v_addc_co_u32_e32 v39, vcc, v62, v18, vcc
	v_add_co_u32_e32 v56, vcc, s95, v38
	v_addc_co_u32_e32 v57, vcc, 0, v39, vcc
	global_load_dwordx4 v[26:29], v[38:39], off glc slc
	global_load_dwordx4 v[30:33], v[38:39], off offset:1024 glc slc
	global_load_dwordx4 v[34:37], v[38:39], off offset:2048 glc slc
	;; [unrolled: 1-line block ×3, first 2 shown]
	global_load_dwordx4 v[52:55], v[56:57], off glc slc
	s_nop 0
	global_load_dwordx4 v[38:41], v[56:57], off offset:1024 glc slc
	global_load_dwordx4 v[42:45], v[56:57], off offset:2048 glc slc
	s_nop 0
	global_load_dwordx4 v[56:59], v[56:57], off offset:3072 glc slc
	v_add_co_u32_e32 v60, vcc, v7, v15
	v_addc_co_u32_e32 v61, vcc, v62, v16, vcc
	v_add_co_u32_e32 v17, vcc, v17, v19
	v_addc_co_u32_e32 v18, vcc, 0, v18, vcc
	v_sub_u32_e32 v25, v25, v46
	v_add_co_u32_e32 v15, vcc, v15, v19
	v_addc_co_u32_e32 v16, vcc, 0, v16, vcc
	v_cmp_gt_i32_e64 s[20:21], 1, v25
	v_add_co_u32_e32 v5, vcc, s95, v60
	s_or_b64 s[58:59], s[20:21], s[58:59]
	v_addc_co_u32_e32 v6, vcc, 0, v61, vcc
	s_waitcnt vmcnt(7)
	global_store_dwordx4 v[60:61], v[26:29], off glc slc
	s_waitcnt vmcnt(7)
	global_store_dwordx4 v[60:61], v[30:33], off offset:1024 glc slc
	s_waitcnt vmcnt(7)
	global_store_dwordx4 v[60:61], v[34:37], off offset:2048 glc slc
	;; [unrolled: 2-line block ×3, first 2 shown]
	s_waitcnt vmcnt(7)
	global_store_dwordx4 v[5:6], v[52:55], off glc slc
	s_waitcnt vmcnt(7)
	global_store_dwordx4 v[5:6], v[38:41], off offset:1024 glc slc
	s_waitcnt vmcnt(7)
	global_store_dwordx4 v[5:6], v[42:45], off offset:2048 glc slc
	;; [unrolled: 2-line block ×3, first 2 shown]
	s_andn2_b64 exec, exec, s[58:59]
	s_cbranch_execnz .LBB6_7063
; %bb.7064:                             ;   in Loop: Header=BB6_6991 Depth=1
	s_or_b64 exec, exec, s[58:59]
	buffer_load_dword v17, off, s[0:3], s33 offset:68 ; 4-byte Folded Reload
	buffer_load_dword v18, off, s[0:3], s33 offset:72 ; 4-byte Folded Reload
	;; [unrolled: 1-line block ×6, first 2 shown]
	v_mov_b32_e32 v45, v9
	v_lshlrev_b32_e32 v33, 10, v46
	v_mov_b32_e32 v34, v4
	v_mov_b32_e32 v35, 1
.LBB6_7065:                             ;   in Loop: Header=BB6_6991 Depth=1
	s_or_b64 exec, exec, s[56:57]
	v_and_b32_e32 v27, 0x3fffe000, v8
	v_cmp_ne_u32_e32 vcc, v8, v27
	s_mov_b64 s[58:59], 0
	v_mov_b32_e32 v9, 0
                                        ; implicit-def: $vgpr15
                                        ; implicit-def: $vgpr16
                                        ; implicit-def: $vgpr26
	s_and_saveexec_b64 s[56:57], vcc
	s_cbranch_execz .LBB6_7073
; %bb.7066:                             ;   in Loop: Header=BB6_6991 Depth=1
	buffer_load_dword v9, off, s[0:3], s33 offset:92 ; 4-byte Folded Reload
	v_lshlrev_b32_e32 v6, 6, v25
	s_waitcnt vmcnt(5)
	v_mov_b32_e32 v31, v18
	v_mov_b32_e32 v30, v17
	v_and_b32_e32 v5, 0x1fff, v8
	s_waitcnt vmcnt(0)
	v_sub_u32_e32 v6, v9, v6
	v_ashrrev_i32_e32 v9, 31, v6
	v_lshrrev_b32_e32 v9, 26, v9
	v_add_u32_e32 v9, v6, v9
	v_ashrrev_i32_e32 v18, 6, v9
	v_and_b32_e32 v9, 0xffffffc0, v9
	v_sub_u32_e32 v17, v6, v9
	v_lshlrev_b32_e32 v6, 4, v17
	v_lshl_add_u32 v16, v18, 10, v6
	v_and_b32_e32 v9, 0x3ff, v8
	v_sub_u32_e32 v15, v5, v16
	v_bfe_u32 v5, v8, 10, 3
	v_cmp_lt_u32_e32 vcc, 15, v9
	v_addc_co_u32_e64 v5, s[20:21], 0, v5, vcc
	v_sub_u32_e32 v18, v5, v18
	v_cmp_lt_i32_e64 s[20:21], 15, v15
	s_and_saveexec_b64 s[58:59], s[20:21]
	s_cbranch_execz .LBB6_7070
; %bb.7067:                             ;   in Loop: Header=BB6_6991 Depth=1
	v_add_u32_e32 v16, v16, v27
	v_ashrrev_i32_e32 v25, 31, v16
	s_mov_b64 s[60:61], 0
.LBB6_7068:                             ;   Parent Loop BB6_6991 Depth=1
                                        ; =>  This Inner Loop Header: Depth=2
	v_add_co_u32_e64 v5, s[20:21], v11, v16
	v_addc_co_u32_e64 v6, s[20:21], v12, v25, s[20:21]
	global_load_dwordx4 v[26:29], v[5:6], off glc slc
	v_add_co_u32_e64 v5, s[20:21], v13, v16
	v_addc_co_u32_e64 v6, s[20:21], v14, v25, s[20:21]
	v_add_co_u32_e64 v16, s[20:21], v16, v33
	v_sub_u32_e32 v15, v15, v33
	v_addc_co_u32_e64 v25, s[20:21], 0, v25, s[20:21]
	v_cmp_gt_i32_e64 s[20:21], 16, v15
	v_sub_u32_e32 v18, v18, v46
	s_or_b64 s[60:61], s[20:21], s[60:61]
	s_waitcnt vmcnt(0)
	global_store_dwordx4 v[5:6], v[26:29], off glc slc
	s_andn2_b64 exec, exec, s[60:61]
	s_cbranch_execnz .LBB6_7068
; %bb.7069:                             ;   in Loop: Header=BB6_6991 Depth=1
	s_or_b64 exec, exec, s[60:61]
.LBB6_7070:                             ;   in Loop: Header=BB6_6991 Depth=1
	s_or_b64 exec, exec, s[58:59]
	v_and_b32_e32 v5, 15, v8
	v_cndmask_b32_e32 v15, v9, v5, vcc
	v_mov_b32_e32 v9, 0
	v_cmp_ne_u32_e64 s[20:21], 0, v15
	s_mov_b64 s[58:59], 0
                                        ; implicit-def: $vgpr16
                                        ; implicit-def: $vgpr26
	s_and_saveexec_b64 s[60:61], s[20:21]
	s_cbranch_execz .LBB6_7072
; %bb.7071:                             ;   in Loop: Header=BB6_6991 Depth=1
	v_and_b32_e32 v5, 0x3f0, v8
	v_cndmask_b32_e32 v5, 0, v5, vcc
	v_cmp_lt_i32_e32 vcc, 0, v18
	v_and_or_b32 v9, v8, s30, v5
	v_cndmask_b32_e32 v5, 0, v46, vcc
	v_sub_u32_e32 v5, v5, v18
	v_lshl_add_u32 v16, v5, 6, v17
	v_ashrrev_i32_e32 v5, 31, v16
	v_lshrrev_b32_e32 v5, 26, v5
	v_add_u32_e32 v5, v16, v5
	s_mov_b64 s[58:59], exec
	v_ashrrev_i32_e32 v26, 6, v5
.LBB6_7072:                             ;   in Loop: Header=BB6_6991 Depth=1
	s_or_b64 exec, exec, s[60:61]
	v_mov_b32_e32 v17, v30
	s_and_b64 s[58:59], s[58:59], exec
	v_mov_b32_e32 v18, v31
.LBB6_7073:                             ;   in Loop: Header=BB6_6991 Depth=1
	s_or_b64 exec, exec, s[56:57]
.LBB6_7074:                             ;   in Loop: Header=BB6_6991 Depth=1
	v_mov_b32_e32 v47, v62
	s_waitcnt vmcnt(4)
	v_mov_b32_e32 v62, v18
	v_mov_b32_e32 v61, v17
	s_and_saveexec_b64 s[20:21], s[58:59]
	s_cbranch_execz .LBB6_7083
; %bb.7075:                             ;   in Loop: Header=BB6_6991 Depth=1
	v_lshrrev_b32_e32 v5, 11, v15
	v_sub_u32_e32 v17, v5, v26
	s_waitcnt vmcnt(0)
	v_ashrrev_i32_e32 v5, 31, v16
	v_cmp_lt_i32_e32 vcc, 0, v17
	v_lshrrev_b32_e32 v18, 26, v5
	s_and_saveexec_b64 s[56:57], vcc
	s_cbranch_execz .LBB6_7079
; %bb.7076:                             ;   in Loop: Header=BB6_6991 Depth=1
	v_add_u32_e32 v5, v16, v18
	v_and_b32_e32 v5, 0xffffffc0, v5
	v_sub_u32_e32 v5, v16, v5
	v_lshlrev_b32_e32 v6, 11, v26
	v_add3_u32 v25, v9, v5, v6
	v_ashrrev_i32_e32 v26, 31, v25
	s_mov_b64 s[58:59], 0
	v_mov_b32_e32 v4, v34
	v_mov_b32_e32 v20, v46
.LBB6_7077:                             ;   Parent Loop BB6_6991 Depth=1
                                        ; =>  This Inner Loop Header: Depth=2
	v_add_co_u32_e32 v5, vcc, v25, v11
	v_addc_co_u32_e32 v6, vcc, v26, v12, vcc
	flat_load_ubyte v27, v[5:6] glc slc
	flat_load_ubyte v28, v[5:6] offset:64 glc slc
	flat_load_ubyte v29, v[5:6] offset:128 glc slc
	;; [unrolled: 1-line block ×31, first 2 shown]
	v_add_co_u32_e32 v5, vcc, v25, v13
	v_addc_co_u32_e32 v6, vcc, v26, v14, vcc
	v_add_co_u32_e32 v11, vcc, v11, v4
	v_addc_co_u32_e32 v12, vcc, 0, v12, vcc
	v_add_co_u32_e32 v13, vcc, v13, v4
	v_sub_u32_e32 v17, v17, v20
	v_addc_co_u32_e32 v14, vcc, 0, v14, vcc
	v_cmp_gt_i32_e32 vcc, 1, v17
	s_or_b64 s[58:59], vcc, s[58:59]
	s_waitcnt vmcnt(0) lgkmcnt(0)
	flat_store_byte v[5:6], v27 glc slc
	flat_store_byte v[5:6], v28 offset:64 glc slc
	flat_store_byte v[5:6], v29 offset:128 glc slc
	;; [unrolled: 1-line block ×31, first 2 shown]
	s_andn2_b64 exec, exec, s[58:59]
	s_cbranch_execnz .LBB6_7077
; %bb.7078:                             ;   in Loop: Header=BB6_6991 Depth=1
	s_or_b64 exec, exec, s[58:59]
	buffer_load_dword v36, off, s[0:3], s33 offset:268 ; 4-byte Folded Reload
	buffer_load_dword v37, off, s[0:3], s33 offset:272 ; 4-byte Folded Reload
	;; [unrolled: 1-line block ×4, first 2 shown]
	v_lshlrev_b32_e32 v33, 10, v20
	buffer_load_dword v20, off, s[0:3], s33 offset:88 ; 4-byte Folded Reload
	v_mov_b32_e32 v34, v4
	v_mov_b32_e32 v35, 1
.LBB6_7079:                             ;   in Loop: Header=BB6_6991 Depth=1
	s_or_b64 exec, exec, s[56:57]
	v_and_b32_e32 v14, 0xfffff800, v15
	v_cmp_ne_u32_e32 vcc, v15, v14
	s_and_b64 exec, exec, vcc
	s_cbranch_execz .LBB6_7083
; %bb.7080:                             ;   in Loop: Header=BB6_6991 Depth=1
	v_add_u32_e32 v5, v16, v18
	v_and_b32_e32 v5, 0xffffffc0, v5
	v_sub_u32_e32 v5, v16, v5
	v_lshlrev_b32_e32 v6, 6, v17
	v_sub_u32_e32 v16, v5, v6
	v_and_b32_e32 v5, 0x7ff, v15
	v_sub_u32_e32 v13, v5, v16
	v_cmp_lt_i32_e32 vcc, 0, v13
	s_and_b64 exec, exec, vcc
	s_cbranch_execz .LBB6_7083
; %bb.7081:                             ;   in Loop: Header=BB6_6991 Depth=1
	s_trap 2
	ds_read_b64 v[11:12], v0
	v_add3_u32 v9, v14, v9, v16
	v_ashrrev_i32_e32 v14, 31, v9
	s_mov_b64 s[56:57], 0
.LBB6_7082:                             ;   Parent Loop BB6_6991 Depth=1
                                        ; =>  This Inner Loop Header: Depth=2
	s_waitcnt lgkmcnt(0)
	v_add_co_u32_e32 v5, vcc, v11, v9
	v_addc_co_u32_e32 v6, vcc, v12, v14, vcc
	flat_load_ubyte v15, v[5:6] glc slc
	s_waitcnt vmcnt(0)
	v_add_co_u32_e32 v9, vcc, v9, v20
	v_sub_u32_e32 v13, v13, v20
	v_addc_co_u32_e32 v14, vcc, 0, v14, vcc
	v_cmp_gt_i32_e32 vcc, 1, v13
	s_or_b64 s[56:57], vcc, s[56:57]
	s_waitcnt lgkmcnt(0)
	flat_store_byte v[5:6], v15 glc slc
	s_andn2_b64 exec, exec, s[56:57]
	s_cbranch_execnz .LBB6_7082
.LBB6_7083:                             ;   in Loop: Header=BB6_6991 Depth=1
	s_or_b64 exec, exec, s[20:21]
	buffer_load_dword v16, off, s[0:3], s33 offset:220 ; 4-byte Folded Reload
	buffer_load_dword v49, off, s[0:3], s33 offset:208 ; 4-byte Folded Reload
	;; [unrolled: 1-line block ×3, first 2 shown]
	v_mov_b32_e32 v17, v61
	v_cmp_ne_u32_e64 s[20:21], 0, v8
	v_mov_b32_e32 v18, v62
	v_mov_b32_e32 v62, v47
	s_and_saveexec_b64 s[56:57], s[10:11]
	s_cbranch_execnz .LBB6_7085
	s_branch .LBB6_7103
.LBB6_7084:                             ;   in Loop: Header=BB6_6991 Depth=1
	s_mov_b64 s[20:21], 0
	s_and_saveexec_b64 s[56:57], s[10:11]
	s_cbranch_execz .LBB6_7103
.LBB6_7085:                             ;   in Loop: Header=BB6_6991 Depth=1
	s_and_saveexec_b64 s[58:59], s[28:29]
	s_xor_b64 s[58:59], exec, s[58:59]
	s_cbranch_execz .LBB6_7100
; %bb.7086:                             ;   in Loop: Header=BB6_6991 Depth=1
	s_and_saveexec_b64 s[60:61], s[12:13]
	s_cbranch_execz .LBB6_7099
; %bb.7087:                             ;   in Loop: Header=BB6_6991 Depth=1
	s_mov_b64 s[72:73], exec
	v_mbcnt_lo_u32_b32 v5, s72, 0
	v_mbcnt_hi_u32_b32 v5, s73, v5
	v_cmp_eq_u32_e32 vcc, 0, v5
	s_waitcnt vmcnt(0) lgkmcnt(0)
	buffer_wbinvl1_vol
	s_and_saveexec_b64 s[62:63], vcc
	s_cbranch_execz .LBB6_7089
; %bb.7088:                             ;   in Loop: Header=BB6_6991 Depth=1
	s_bcnt1_i32_b64 s72, s[72:73]
	v_mov_b32_e32 v5, s72
	v_mov_b32_e32 v6, v1
	ds_add_u64 v0, v[5:6]
	s_trap 2
.LBB6_7089:                             ;   in Loop: Header=BB6_6991 Depth=1
	s_or_b64 exec, exec, s[62:63]
	s_trap 2
	ds_read_b64 v[5:6], v0
	s_waitcnt lgkmcnt(0)
	buffer_load_dword v8, off, s[0:3], s33 offset:76 ; 4-byte Folded Reload
	buffer_load_dword v9, off, s[0:3], s33 offset:80 ; 4-byte Folded Reload
	s_waitcnt vmcnt(1)
	v_add_co_u32_e32 v8, vcc, v8, v46
	s_waitcnt vmcnt(0)
	v_addc_co_u32_e32 v9, vcc, 0, v9, vcc
	buffer_store_dword v8, off, s[0:3], s33 offset:76 ; 4-byte Folded Spill
	s_nop 0
	buffer_store_dword v9, off, s[0:3], s33 offset:80 ; 4-byte Folded Spill
	v_cmp_lt_u64_e32 vcc, v[5:6], v[8:9]
	s_and_saveexec_b64 s[62:63], vcc
	s_cbranch_execz .LBB6_7098
; %bb.7090:                             ;   in Loop: Header=BB6_6991 Depth=1
	s_mov_b32 s92, 0
	s_mov_b64 s[72:73], 0
                                        ; implicit-def: $sgpr74_sgpr75
                                        ; implicit-def: $sgpr76_sgpr77
	s_branch .LBB6_7092
.LBB6_7091:                             ;   in Loop: Header=BB6_7092 Depth=2
	s_or_b64 exec, exec, s[88:89]
	s_and_b64 s[78:79], exec, s[90:91]
	s_or_b64 s[72:73], s[78:79], s[72:73]
	s_andn2_b64 s[74:75], s[74:75], exec
	s_and_b64 s[78:79], s[76:77], exec
	s_or_b64 s[74:75], s[74:75], s[78:79]
	s_andn2_b64 exec, exec, s[72:73]
	s_cbranch_execz .LBB6_7096
.LBB6_7092:                             ;   Parent Loop BB6_6991 Depth=1
                                        ; =>  This Inner Loop Header: Depth=2
	s_add_i32 s92, s92, 1
	s_cmpk_lg_i32 s92, 0x2710
	s_cselect_b64 s[78:79], -1, 0
	s_and_b64 vcc, exec, s[78:79]
	s_cbranch_vccz .LBB6_7094
; %bb.7093:                             ;   in Loop: Header=BB6_7092 Depth=2
	s_mov_b64 s[90:91], -1
	s_or_b64 s[76:77], s[76:77], exec
	s_and_saveexec_b64 s[88:89], s[78:79]
	s_cbranch_execz .LBB6_7091
	s_branch .LBB6_7095
.LBB6_7094:                             ;   in Loop: Header=BB6_7092 Depth=2
	s_trap 2
	ds_read_b64 v[5:6], v0
	s_andn2_b64 s[78:79], s[78:79], exec
	s_mov_b32 s92, 0
	s_waitcnt vmcnt(0) lgkmcnt(0)
	flat_load_dword v5, v[5:6] glc
	s_waitcnt vmcnt(0) lgkmcnt(0)
	buffer_wbinvl1_vol
	v_cmp_eq_u32_e32 vcc, 0, v5
	s_and_b64 s[88:89], vcc, exec
	s_or_b64 s[78:79], s[78:79], s[88:89]
	s_mov_b64 s[90:91], -1
	s_or_b64 s[76:77], s[76:77], exec
	s_and_saveexec_b64 s[88:89], s[78:79]
	s_cbranch_execz .LBB6_7091
.LBB6_7095:                             ;   in Loop: Header=BB6_7092 Depth=2
	s_sleep 1
	s_trap 2
	ds_read_b64 v[5:6], v0
	s_waitcnt lgkmcnt(0)
	buffer_load_dword v8, off, s[0:3], s33 offset:76 ; 4-byte Folded Reload
	buffer_load_dword v9, off, s[0:3], s33 offset:80 ; 4-byte Folded Reload
	s_andn2_b64 s[76:77], s[76:77], exec
	s_waitcnt vmcnt(0)
	v_cmp_ge_u64_e32 vcc, v[5:6], v[8:9]
	s_orn2_b64 s[90:91], vcc, exec
	s_branch .LBB6_7091
.LBB6_7096:                             ;   in Loop: Header=BB6_6991 Depth=1
	s_or_b64 exec, exec, s[72:73]
	s_and_saveexec_b64 s[72:73], s[74:75]
	s_xor_b64 s[72:73], exec, s[72:73]
	s_cbranch_execz .LBB6_7098
; %bb.7097:                             ;   in Loop: Header=BB6_6991 Depth=1
	ds_write_b32 v0, v35
	s_trap 2
.LBB6_7098:                             ;   in Loop: Header=BB6_6991 Depth=1
	s_or_b64 exec, exec, s[62:63]
	;;#ASMSTART
	s_wakeup
	;;#ASMEND
.LBB6_7099:                             ;   in Loop: Header=BB6_6991 Depth=1
	s_or_b64 exec, exec, s[60:61]
.LBB6_7100:                             ;   in Loop: Header=BB6_6991 Depth=1
	s_andn2_saveexec_b64 s[58:59], s[58:59]
	s_cbranch_execz .LBB6_7102
; %bb.7101:                             ;   in Loop: Header=BB6_6991 Depth=1
	s_waitcnt vmcnt(0) lgkmcnt(0)
	buffer_wbinvl1_vol
	s_barrier
.LBB6_7102:                             ;   in Loop: Header=BB6_6991 Depth=1
	s_or_b64 exec, exec, s[58:59]
.LBB6_7103:                             ;   in Loop: Header=BB6_6991 Depth=1
	s_or_b64 exec, exec, s[56:57]
	s_waitcnt vmcnt(0)
	v_and_b32_e32 v8, 16, v16
	v_cmp_ne_u32_e32 vcc, 0, v8
	s_and_b64 s[56:57], vcc, s[20:21]
	s_and_saveexec_b64 s[20:21], s[56:57]
	s_cbranch_execz .LBB6_7105
; %bb.7104:                             ;   in Loop: Header=BB6_6991 Depth=1
	s_waitcnt lgkmcnt(0)
	buffer_wbinvl1_vol
.LBB6_7105:                             ;   in Loop: Header=BB6_6991 Depth=1
	s_or_b64 exec, exec, s[20:21]
	v_cmp_ne_u32_e32 vcc, 0, v8
	s_and_saveexec_b64 s[20:21], vcc
	s_cbranch_execz .LBB6_7109
; %bb.7106:                             ;   in Loop: Header=BB6_6991 Depth=1
	s_and_saveexec_b64 s[56:57], s[18:19]
	s_cbranch_execz .LBB6_7108
; %bb.7107:                             ;   in Loop: Header=BB6_6991 Depth=1
	flat_store_dword v[36:37], v35
.LBB6_7108:                             ;   in Loop: Header=BB6_6991 Depth=1
	s_or_b64 exec, exec, s[56:57]
	buffer_load_dword v5, off, s[0:3], s33 offset:60 ; 4-byte Folded Reload
	buffer_load_dword v6, off, s[0:3], s33 offset:64 ; 4-byte Folded Reload
	v_mov_b32_e32 v11, v21
	v_mov_b32_e32 v13, v23
	;; [unrolled: 1-line block ×3, first 2 shown]
	v_add_co_u32_e32 v13, vcc, 1, v13
	v_addc_co_u32_e32 v14, vcc, 0, v14, vcc
	v_mov_b32_e32 v12, v22
	v_mov_b32_e32 v24, v14
	;; [unrolled: 1-line block ×5, first 2 shown]
	s_waitcnt vmcnt(0)
	flat_store_dwordx2 v[5:6], v[13:14]
.LBB6_7109:                             ;   in Loop: Header=BB6_6991 Depth=1
	s_or_b64 exec, exec, s[20:21]
	v_mov_b32_e32 v8, v0
.LBB6_7110:                             ;   in Loop: Header=BB6_6991 Depth=1
	s_or_b64 exec, exec, s[46:47]
	s_and_saveexec_b64 s[46:47], s[44:45]
	s_cbranch_execz .LBB6_6990
; %bb.7111:                             ;   in Loop: Header=BB6_6991 Depth=1
	v_sub_u32_e32 v5, v10, v8
	v_min_i32_e32 v10, v0, v5
	v_and_b32_e32 v0, 8, v16
	v_cmp_ne_u32_e32 vcc, 0, v0
	s_and_saveexec_b64 s[44:45], vcc
	s_cbranch_execz .LBB6_7133
; %bb.7112:                             ;   in Loop: Header=BB6_6991 Depth=1
	v_add_co_u32_e32 v5, vcc, 8, v17
	s_waitcnt lgkmcnt(0)
	v_mov_b32_e32 v11, v21
	v_addc_co_u32_e32 v6, vcc, 0, v18, vcc
	v_mov_b32_e32 v12, v22
	v_mov_b32_e32 v13, v23
	;; [unrolled: 1-line block ×3, first 2 shown]
	v_add_co_u32_e32 v12, vcc, 1, v13
	v_addc_co_u32_e32 v13, vcc, 0, v14, vcc
	v_cmp_lt_u64_e32 vcc, v[5:6], v[12:13]
	s_and_saveexec_b64 s[56:57], vcc
	s_cbranch_execz .LBB6_7124
; %bb.7113:                             ;   in Loop: Header=BB6_6991 Depth=1
	v_and_b32_e32 v0, 64, v16
	s_mov_b32 s92, 0
	v_cmp_eq_u32_e32 vcc, 0, v0
	s_mov_b64 s[58:59], 0
                                        ; implicit-def: $sgpr60_sgpr61
                                        ; implicit-def: $sgpr62_sgpr63
                                        ; implicit-def: $sgpr72_sgpr73
	s_branch .LBB6_7117
.LBB6_7114:                             ;   in Loop: Header=BB6_7117 Depth=2
	s_waitcnt vmcnt(0) lgkmcnt(0)
	v_add_co_u32_e64 v5, s[20:21], 8, v17
	v_addc_co_u32_e64 v6, s[20:21], 0, v18, s[20:21]
	v_cmp_ge_u64_e64 s[20:21], v[5:6], v[12:13]
	s_or_b64 s[78:79], s[78:79], exec
	s_orn2_b64 s[76:77], s[20:21], exec
.LBB6_7115:                             ;   in Loop: Header=BB6_7117 Depth=2
	s_or_b64 exec, exec, s[90:91]
	s_andn2_b64 s[20:21], s[72:73], exec
	s_and_b64 s[72:73], s[78:79], exec
	s_or_b64 s[72:73], s[20:21], s[72:73]
	s_andn2_b64 s[20:21], s[62:63], exec
	s_and_b64 s[62:63], s[76:77], exec
	s_or_b64 s[62:63], s[20:21], s[62:63]
.LBB6_7116:                             ;   in Loop: Header=BB6_7117 Depth=2
	s_or_b64 exec, exec, s[74:75]
	s_and_b64 s[20:21], exec, s[62:63]
	s_or_b64 s[58:59], s[20:21], s[58:59]
	s_andn2_b64 s[20:21], s[60:61], exec
	s_and_b64 s[60:61], s[72:73], exec
	s_or_b64 s[60:61], s[20:21], s[60:61]
	s_andn2_b64 exec, exec, s[58:59]
	s_cbranch_execz .LBB6_7121
.LBB6_7117:                             ;   Parent Loop BB6_6991 Depth=1
                                        ; =>  This Inner Loop Header: Depth=2
	s_sleep 1
	buffer_load_dword v5, off, s[0:3], s33 offset:60 ; 4-byte Folded Reload
	buffer_load_dword v6, off, s[0:3], s33 offset:64 ; 4-byte Folded Reload
	s_or_b64 s[72:73], s[72:73], exec
	s_or_b64 s[62:63], s[62:63], exec
                                        ; implicit-def: $vgpr0
	s_waitcnt vmcnt(0) lgkmcnt(0)
	flat_load_dwordx2 v[17:18], v[5:6] glc
	s_and_saveexec_b64 s[74:75], vcc
	s_cbranch_execz .LBB6_7116
; %bb.7118:                             ;   in Loop: Header=BB6_7117 Depth=2
	s_cmpk_lt_i32 s92, 0x270f
	s_cselect_b64 s[88:89], -1, 0
	s_cmpk_gt_i32 s92, 0x270e
	s_mov_b64 s[76:77], -1
	s_cbranch_scc0 .LBB6_7120
; %bb.7119:                             ;   in Loop: Header=BB6_7117 Depth=2
	s_trap 2
	ds_read_b64 v[5:6], v0
	s_andn2_b64 s[88:89], s[88:89], exec
	s_mov_b32 s92, 0
	s_mov_b64 s[78:79], 0
	s_waitcnt vmcnt(0) lgkmcnt(0)
	flat_load_dword v0, v[5:6] glc
	s_waitcnt vmcnt(0) lgkmcnt(0)
	buffer_wbinvl1_vol
	v_cmp_eq_u32_e64 s[20:21], 0, v0
	s_and_b64 s[20:21], s[20:21], exec
	s_or_b64 s[88:89], s[88:89], s[20:21]
	s_and_saveexec_b64 s[90:91], s[88:89]
	s_cbranch_execz .LBB6_7115
	s_branch .LBB6_7114
.LBB6_7120:                             ;   in Loop: Header=BB6_7117 Depth=2
	s_add_i32 s92, s92, 1
	s_mov_b64 s[78:79], -1
                                        ; implicit-def: $vgpr0
	s_and_saveexec_b64 s[90:91], s[88:89]
	s_cbranch_execz .LBB6_7115
	s_branch .LBB6_7114
.LBB6_7121:                             ;   in Loop: Header=BB6_6991 Depth=1
	s_or_b64 exec, exec, s[58:59]
	s_xor_b64 s[20:21], s[60:61], -1
	s_and_saveexec_b64 s[58:59], s[20:21]
	s_xor_b64 s[20:21], exec, s[58:59]
	s_cbranch_execz .LBB6_7123
; %bb.7122:                             ;   in Loop: Header=BB6_6991 Depth=1
	v_or_b32_e32 v16, 64, v16
	s_waitcnt lgkmcnt(0)
	ds_write_b32 v0, v0
	s_trap 2
.LBB6_7123:                             ;   in Loop: Header=BB6_6991 Depth=1
	s_or_b64 exec, exec, s[20:21]
.LBB6_7124:                             ;   in Loop: Header=BB6_6991 Depth=1
	s_or_b64 exec, exec, s[56:57]
	v_and_b32_e32 v0, 0x100, v16
	v_cmp_ne_u32_e32 vcc, 0, v0
	v_and_b32_e32 v0, 7, v23
	s_mov_b64 s[20:21], -1
	;;#ASMSTART
	s_wakeup
	;;#ASMEND
                                        ; implicit-def: $vgpr8_vgpr9
	s_and_saveexec_b64 s[56:57], vcc
	s_cbranch_execz .LBB6_7128
; %bb.7125:                             ;   in Loop: Header=BB6_6991 Depth=1
	v_mad_u64_u32 v[14:15], s[20:21], v0, 24, v[21:22]
	v_ashrrev_i32_e32 v11, 31, v10
                                        ; implicit-def: $vgpr8_vgpr9
	flat_load_dword v5, v[14:15]
	s_nop 0
	flat_store_dwordx2 v[14:15], v[10:11] offset:8
	s_waitcnt vmcnt(0) lgkmcnt(0)
	v_cmp_ne_u32_e32 vcc, 1, v5
	v_cmp_eq_u32_e64 s[20:21], 1, v5
	s_and_saveexec_b64 s[58:59], s[20:21]
	s_cbranch_execz .LBB6_7127
; %bb.7126:                             ;   in Loop: Header=BB6_6991 Depth=1
	flat_load_dword v8, v[14:15] offset:4 glc
	s_waitcnt vmcnt(0) lgkmcnt(0)
	v_ashrrev_i32_e32 v9, 31, v8
.LBB6_7127:                             ;   in Loop: Header=BB6_6991 Depth=1
	s_or_b64 exec, exec, s[58:59]
	s_orn2_b64 s[20:21], vcc, exec
.LBB6_7128:                             ;   in Loop: Header=BB6_6991 Depth=1
	s_or_b64 exec, exec, s[56:57]
	s_and_saveexec_b64 s[56:57], s[20:21]
	s_cbranch_execz .LBB6_7130
; %bb.7129:                             ;   in Loop: Header=BB6_6991 Depth=1
	buffer_load_dword v5, off, s[0:3], s33 offset:236 ; 4-byte Folded Reload
	s_waitcnt vmcnt(0)
	v_mad_i64_i32 v[8:9], s[20:21], v0, v5, 0
.LBB6_7130:                             ;   in Loop: Header=BB6_6991 Depth=1
	s_or_b64 exec, exec, s[56:57]
	buffer_load_dword v5, off, s[0:3], s33 offset:200 ; 4-byte Folded Reload
	buffer_load_dword v6, off, s[0:3], s33 offset:204 ; 4-byte Folded Reload
	s_waitcnt vmcnt(0)
	v_add_co_u32_e32 v5, vcc, v5, v8
	v_addc_co_u32_e32 v6, vcc, v6, v9, vcc
	ds_write_b64 v0, v[5:6] offset:784
	v_and_b32_e32 v0, 0x2000, v16
	v_cmp_ne_u32_e32 vcc, 0, v0
	s_and_saveexec_b64 s[20:21], vcc
	s_cbranch_execz .LBB6_7132
; %bb.7131:                             ;   in Loop: Header=BB6_6991 Depth=1
	ds_read_b64 v[5:6], v0 offset:872
	s_waitcnt lgkmcnt(0)
	v_add_co_u32_e32 v5, vcc, 1, v5
	v_addc_co_u32_e32 v6, vcc, 0, v6, vcc
	ds_write_b64 v0, v[5:6] offset:872
.LBB6_7132:                             ;   in Loop: Header=BB6_6991 Depth=1
	s_or_b64 exec, exec, s[20:21]
	v_mov_b32_e32 v24, v13
	v_mov_b32_e32 v23, v12
.LBB6_7133:                             ;   in Loop: Header=BB6_6991 Depth=1
	s_or_b64 exec, exec, s[44:45]
	s_and_saveexec_b64 s[20:21], s[10:11]
	s_cbranch_execz .LBB6_7152
; %bb.7134:                             ;   in Loop: Header=BB6_6991 Depth=1
	s_and_saveexec_b64 s[44:45], s[28:29]
	s_xor_b64 s[44:45], exec, s[44:45]
	s_cbranch_execz .LBB6_7149
; %bb.7135:                             ;   in Loop: Header=BB6_6991 Depth=1
	s_and_saveexec_b64 s[56:57], s[12:13]
	s_cbranch_execz .LBB6_7148
; %bb.7136:                             ;   in Loop: Header=BB6_6991 Depth=1
	s_mov_b64 s[60:61], exec
	v_mbcnt_lo_u32_b32 v0, s60, 0
	v_mbcnt_hi_u32_b32 v0, s61, v0
	v_cmp_eq_u32_e32 vcc, 0, v0
	s_waitcnt vmcnt(0) lgkmcnt(0)
	buffer_wbinvl1_vol
	s_and_saveexec_b64 s[58:59], vcc
	s_cbranch_execz .LBB6_7138
; %bb.7137:                             ;   in Loop: Header=BB6_6991 Depth=1
	s_bcnt1_i32_b64 s60, s[60:61]
	v_mov_b32_e32 v0, s60
	ds_add_u64 v0, v[0:1]
	s_trap 2
.LBB6_7138:                             ;   in Loop: Header=BB6_6991 Depth=1
	s_or_b64 exec, exec, s[58:59]
	s_trap 2
	ds_read_b64 v[5:6], v0
	s_waitcnt lgkmcnt(0)
	buffer_load_dword v8, off, s[0:3], s33 offset:76 ; 4-byte Folded Reload
	buffer_load_dword v9, off, s[0:3], s33 offset:80 ; 4-byte Folded Reload
	s_waitcnt vmcnt(1)
	v_add_co_u32_e32 v8, vcc, v8, v46
	s_waitcnt vmcnt(0)
	v_addc_co_u32_e32 v9, vcc, 0, v9, vcc
	buffer_store_dword v8, off, s[0:3], s33 offset:76 ; 4-byte Folded Spill
	s_nop 0
	buffer_store_dword v9, off, s[0:3], s33 offset:80 ; 4-byte Folded Spill
	v_cmp_lt_u64_e32 vcc, v[5:6], v[8:9]
	s_and_saveexec_b64 s[58:59], vcc
	s_cbranch_execz .LBB6_7147
; %bb.7139:                             ;   in Loop: Header=BB6_6991 Depth=1
	s_mov_b32 s88, 0
	s_mov_b64 s[60:61], 0
                                        ; implicit-def: $sgpr62_sgpr63
                                        ; implicit-def: $sgpr72_sgpr73
	s_branch .LBB6_7141
.LBB6_7140:                             ;   in Loop: Header=BB6_7141 Depth=2
	s_or_b64 exec, exec, s[76:77]
	s_and_b64 s[74:75], exec, s[78:79]
	s_or_b64 s[60:61], s[74:75], s[60:61]
	s_andn2_b64 s[62:63], s[62:63], exec
	s_and_b64 s[74:75], s[72:73], exec
	s_or_b64 s[62:63], s[62:63], s[74:75]
	s_andn2_b64 exec, exec, s[60:61]
	s_cbranch_execz .LBB6_7145
.LBB6_7141:                             ;   Parent Loop BB6_6991 Depth=1
                                        ; =>  This Inner Loop Header: Depth=2
	s_add_i32 s88, s88, 1
	s_cmpk_lg_i32 s88, 0x2710
	s_cselect_b64 s[74:75], -1, 0
	s_and_b64 vcc, exec, s[74:75]
	s_cbranch_vccz .LBB6_7143
; %bb.7142:                             ;   in Loop: Header=BB6_7141 Depth=2
	s_mov_b64 s[78:79], -1
	s_or_b64 s[72:73], s[72:73], exec
	s_and_saveexec_b64 s[76:77], s[74:75]
	s_cbranch_execz .LBB6_7140
	s_branch .LBB6_7144
.LBB6_7143:                             ;   in Loop: Header=BB6_7141 Depth=2
	s_trap 2
	ds_read_b64 v[5:6], v0
	s_andn2_b64 s[74:75], s[74:75], exec
	s_mov_b32 s88, 0
	s_waitcnt vmcnt(0) lgkmcnt(0)
	flat_load_dword v0, v[5:6] glc
	s_waitcnt vmcnt(0) lgkmcnt(0)
	buffer_wbinvl1_vol
	v_cmp_eq_u32_e32 vcc, 0, v0
	s_and_b64 s[76:77], vcc, exec
	s_or_b64 s[74:75], s[74:75], s[76:77]
	s_mov_b64 s[78:79], -1
	s_or_b64 s[72:73], s[72:73], exec
	s_and_saveexec_b64 s[76:77], s[74:75]
	s_cbranch_execz .LBB6_7140
.LBB6_7144:                             ;   in Loop: Header=BB6_7141 Depth=2
	s_sleep 1
	s_trap 2
	ds_read_b64 v[5:6], v0
	s_waitcnt lgkmcnt(0)
	buffer_load_dword v8, off, s[0:3], s33 offset:76 ; 4-byte Folded Reload
	buffer_load_dword v9, off, s[0:3], s33 offset:80 ; 4-byte Folded Reload
	s_andn2_b64 s[72:73], s[72:73], exec
	s_waitcnt vmcnt(0)
	v_cmp_ge_u64_e32 vcc, v[5:6], v[8:9]
	s_orn2_b64 s[78:79], vcc, exec
	s_branch .LBB6_7140
.LBB6_7145:                             ;   in Loop: Header=BB6_6991 Depth=1
	s_or_b64 exec, exec, s[60:61]
	s_and_saveexec_b64 s[60:61], s[62:63]
	s_xor_b64 s[60:61], exec, s[60:61]
	s_cbranch_execz .LBB6_7147
; %bb.7146:                             ;   in Loop: Header=BB6_6991 Depth=1
	ds_write_b32 v0, v35
	s_trap 2
.LBB6_7147:                             ;   in Loop: Header=BB6_6991 Depth=1
	s_or_b64 exec, exec, s[58:59]
	;;#ASMSTART
	s_wakeup
	;;#ASMEND
.LBB6_7148:                             ;   in Loop: Header=BB6_6991 Depth=1
	s_or_b64 exec, exec, s[56:57]
.LBB6_7149:                             ;   in Loop: Header=BB6_6991 Depth=1
	s_andn2_saveexec_b64 s[44:45], s[44:45]
	s_cbranch_execz .LBB6_7151
; %bb.7150:                             ;   in Loop: Header=BB6_6991 Depth=1
	s_waitcnt vmcnt(0) lgkmcnt(0)
	buffer_wbinvl1_vol
	s_barrier
.LBB6_7151:                             ;   in Loop: Header=BB6_6991 Depth=1
	s_or_b64 exec, exec, s[44:45]
.LBB6_7152:                             ;   in Loop: Header=BB6_6991 Depth=1
	s_or_b64 exec, exec, s[20:21]
	s_trap 2
	ds_read_b32 v5, v0
	v_cmp_lt_i32_e32 vcc, 0, v10
	v_and_b32_e32 v0, 16, v16
	s_waitcnt lgkmcnt(0)
	v_readfirstlane_b32 s20, v5
	s_cmp_eq_u32 s20, 0
	s_cselect_b64 s[20:21], -1, 0
	s_and_b64 s[20:21], vcc, s[20:21]
	v_cmp_ne_u32_e32 vcc, 0, v0
	s_and_b64 s[44:45], vcc, s[20:21]
	s_and_saveexec_b64 s[20:21], s[44:45]
	s_cbranch_execz .LBB6_7154
; %bb.7153:                             ;   in Loop: Header=BB6_6991 Depth=1
	s_waitcnt vmcnt(0)
	buffer_wbinvl1_vol
.LBB6_7154:                             ;   in Loop: Header=BB6_6991 Depth=1
	s_or_b64 exec, exec, s[20:21]
	v_cmp_ne_u32_e32 vcc, 0, v0
	s_and_saveexec_b64 s[20:21], vcc
	s_cbranch_execz .LBB6_6989
; %bb.7155:                             ;   in Loop: Header=BB6_6991 Depth=1
	s_and_saveexec_b64 s[44:45], s[18:19]
	s_cbranch_execz .LBB6_6988
; %bb.7156:                             ;   in Loop: Header=BB6_6991 Depth=1
	flat_store_dword v[36:37], v35
	s_branch .LBB6_6988
.LBB6_7157:
	s_or_b64 exec, exec, s[40:41]
	buffer_load_dword v38, off, s[0:3], s33 offset:280 ; 4-byte Folded Reload
	buffer_load_dword v39, off, s[0:3], s33 offset:284 ; 4-byte Folded Reload
.LBB6_7158:
	s_or_b64 exec, exec, s[26:27]
.LBB6_7159:
	s_or_b64 exec, exec, s[22:23]
	v_and_b32_e32 v0, 0x800, v16
	v_cmp_eq_u32_e32 vcc, 0, v0
	s_and_saveexec_b64 s[6:7], vcc
	s_cbranch_execz .LBB6_7192
; %bb.7160:
	v_and_b32_e32 v0, 48, v16
	v_cmp_ne_u32_e32 vcc, 0, v0
	s_and_saveexec_b64 s[4:5], vcc
	s_cbranch_execz .LBB6_7162
; %bb.7161:
	buffer_load_dword v0, off, s[0:3], s33 offset:260 ; 4-byte Folded Reload
	buffer_load_dword v1, off, s[0:3], s33 offset:264 ; 4-byte Folded Reload
	s_waitcnt vmcnt(0) lgkmcnt(0)
	flat_store_dwordx2 v[0:1], v[23:24] offset:104
.LBB6_7162:
	s_or_b64 exec, exec, s[4:5]
	s_movk_i32 s4, 0x88
	v_and_b32_e32 v0, 0x88, v16
	v_cmp_eq_u32_e32 vcc, s4, v0
	s_and_saveexec_b64 s[10:11], vcc
	s_cbranch_execz .LBB6_7172
; %bb.7163:
	s_waitcnt lgkmcnt(0)
	v_add_u32_e32 v0, -1, v23
	v_and_b32_e32 v0, 7, v0
	v_mad_u64_u32 v[0:1], s[4:5], v0, 24, v[21:22]
	v_and_b32_e32 v4, 64, v16
	v_cmp_eq_u32_e64 s[4:5], 0, v4
	flat_load_dwordx2 v[2:3], v[0:1] offset:8 glc
	s_waitcnt vmcnt(0)
	s_mov_b32 s22, 0
	s_waitcnt lgkmcnt(0)
	v_cmp_ne_u64_e32 vcc, -1, v[2:3]
	s_and_b64 s[4:5], vcc, s[4:5]
	s_and_b64 exec, exec, s[4:5]
	s_cbranch_execz .LBB6_7172
; %bb.7164:
	s_mov_b64 s[4:5], 0
                                        ; implicit-def: $sgpr12_sgpr13
                                        ; implicit-def: $sgpr14_sgpr15
	s_branch .LBB6_7167
.LBB6_7165:                             ;   in Loop: Header=BB6_7167 Depth=1
	flat_load_dwordx2 v[3:4], v[0:1] offset:8 glc
	s_waitcnt vmcnt(0)
	s_andn2_b64 s[14:15], s[14:15], exec
	s_waitcnt lgkmcnt(0)
	v_cmp_eq_u64_e32 vcc, -1, v[3:4]
	s_orn2_b64 s[18:19], vcc, exec
.LBB6_7166:                             ;   in Loop: Header=BB6_7167 Depth=1
	s_or_b64 exec, exec, s[20:21]
	s_and_b64 s[16:17], exec, s[18:19]
	s_or_b64 s[4:5], s[16:17], s[4:5]
	s_andn2_b64 s[12:13], s[12:13], exec
	s_and_b64 s[16:17], s[14:15], exec
	s_or_b64 s[12:13], s[12:13], s[16:17]
	s_andn2_b64 exec, exec, s[4:5]
	s_cbranch_execz .LBB6_7170
.LBB6_7167:                             ; =>This Inner Loop Header: Depth=1
	s_cmpk_lt_i32 s22, 0x270f
	s_cselect_b64 s[16:17], -1, 0
	s_and_b64 vcc, exec, s[16:17]
	s_cbranch_vccnz .LBB6_7169
; %bb.7168:                             ;   in Loop: Header=BB6_7167 Depth=1
	s_trap 2
	ds_read_b64 v[2:3], v0
	s_andn2_b64 s[16:17], s[16:17], exec
	s_mov_b32 s22, 0
	s_waitcnt lgkmcnt(0)
	flat_load_dword v2, v[2:3] glc
	s_waitcnt vmcnt(0) lgkmcnt(0)
	buffer_wbinvl1_vol
	v_cmp_eq_u32_e32 vcc, 0, v2
	s_and_b64 s[18:19], vcc, exec
	s_or_b64 s[16:17], s[16:17], s[18:19]
	s_mov_b64 s[18:19], -1
	s_or_b64 s[14:15], s[14:15], exec
	s_and_saveexec_b64 s[20:21], s[16:17]
	s_cbranch_execz .LBB6_7166
	s_branch .LBB6_7165
.LBB6_7169:                             ;   in Loop: Header=BB6_7167 Depth=1
	s_add_i32 s22, s22, 1
                                        ; implicit-def: $vgpr2
	s_mov_b64 s[18:19], -1
	s_or_b64 s[14:15], s[14:15], exec
	s_and_saveexec_b64 s[20:21], s[16:17]
	s_cbranch_execz .LBB6_7166
	s_branch .LBB6_7165
.LBB6_7170:
	s_or_b64 exec, exec, s[4:5]
	s_and_saveexec_b64 s[4:5], s[12:13]
	s_xor_b64 s[4:5], exec, s[4:5]
	s_cbranch_execz .LBB6_7172
; %bb.7171:
	ds_write_b32 v0, v2
	s_trap 2
.LBB6_7172:
	s_or_b64 exec, exec, s[10:11]
	v_and_b32_e32 v0, 0x2000, v16
	v_cmp_ne_u32_e32 vcc, 0, v0
	s_and_saveexec_b64 s[4:5], vcc
	s_cbranch_execz .LBB6_7174
; %bb.7173:
	s_trap 2
	ds_read_b64 v[0:1], v0
	buffer_load_dword v2, off, s[0:3], s33 offset:316 ; 4-byte Folded Reload
	buffer_load_dword v3, off, s[0:3], s33 offset:320 ; 4-byte Folded Reload
	s_waitcnt vmcnt(0) lgkmcnt(0)
	flat_store_dwordx2 v[2:3], v[0:1] offset:16
.LBB6_7174:
	s_or_b64 exec, exec, s[4:5]
	s_waitcnt vmcnt(0)
	v_cmp_ne_u32_e32 vcc, 64, v45
	s_and_b64 exec, exec, vcc
	s_cbranch_execz .LBB6_7192
; %bb.7175:
	v_cmp_ne_u32_sdwa s[4:5], v45, v39 src0_sel:DWORD src1_sel:WORD_0
	s_and_saveexec_b64 s[10:11], s[4:5]
	s_xor_b64 s[4:5], exec, s[10:11]
	s_cbranch_execz .LBB6_7190
; %bb.7176:
	v_and_b32_e32 v0, 63, v38
	v_cmp_eq_u32_e32 vcc, 0, v0
	s_and_saveexec_b64 s[10:11], vcc
	s_cbranch_execz .LBB6_7189
; %bb.7177:
	s_mov_b64 s[14:15], exec
	v_mbcnt_lo_u32_b32 v0, s14, 0
	v_mbcnt_hi_u32_b32 v0, s15, v0
	v_cmp_eq_u32_e32 vcc, 0, v0
	s_waitcnt lgkmcnt(0)
	buffer_wbinvl1_vol
	s_and_saveexec_b64 s[12:13], vcc
	s_cbranch_execz .LBB6_7179
; %bb.7178:
	s_bcnt1_i32_b64 s14, s[14:15]
	v_mov_b32_e32 v0, s14
	v_mov_b32_e32 v1, 0
	ds_add_u64 v0, v[0:1]
	s_trap 2
.LBB6_7179:
	s_or_b64 exec, exec, s[12:13]
	v_lshrrev_b32_e32 v0, 6, v45
	s_trap 2
	ds_read_b64 v[2:3], v0
	s_waitcnt lgkmcnt(0)
	buffer_load_dword v4, off, s[0:3], s33 offset:76 ; 4-byte Folded Reload
	buffer_load_dword v5, off, s[0:3], s33 offset:80 ; 4-byte Folded Reload
	s_waitcnt vmcnt(1)
	v_add_co_u32_e32 v0, vcc, v4, v0
	s_waitcnt vmcnt(0)
	v_addc_co_u32_e32 v1, vcc, 0, v5, vcc
	v_cmp_lt_u64_e32 vcc, v[2:3], v[0:1]
	s_and_saveexec_b64 s[12:13], vcc
	s_cbranch_execz .LBB6_7188
; %bb.7180:
	s_mov_b32 s28, 0
	s_mov_b64 s[14:15], 0
                                        ; implicit-def: $sgpr16_sgpr17
                                        ; implicit-def: $sgpr18_sgpr19
	s_branch .LBB6_7182
.LBB6_7181:                             ;   in Loop: Header=BB6_7182 Depth=1
	s_or_b64 exec, exec, s[22:23]
	s_and_b64 s[20:21], exec, s[26:27]
	s_or_b64 s[14:15], s[20:21], s[14:15]
	s_andn2_b64 s[16:17], s[16:17], exec
	s_and_b64 s[20:21], s[18:19], exec
	s_or_b64 s[16:17], s[16:17], s[20:21]
	s_andn2_b64 exec, exec, s[14:15]
	s_cbranch_execz .LBB6_7186
.LBB6_7182:                             ; =>This Inner Loop Header: Depth=1
	s_add_i32 s28, s28, 1
	s_cmpk_lg_i32 s28, 0x2710
	s_cselect_b64 s[20:21], -1, 0
	s_and_b64 vcc, exec, s[20:21]
	s_cbranch_vccz .LBB6_7184
; %bb.7183:                             ;   in Loop: Header=BB6_7182 Depth=1
	s_mov_b64 s[26:27], -1
	s_or_b64 s[18:19], s[18:19], exec
	s_and_saveexec_b64 s[22:23], s[20:21]
	s_cbranch_execz .LBB6_7181
	s_branch .LBB6_7185
.LBB6_7184:                             ;   in Loop: Header=BB6_7182 Depth=1
	s_trap 2
	ds_read_b64 v[2:3], v0
	s_andn2_b64 s[20:21], s[20:21], exec
	s_mov_b32 s28, 0
	s_waitcnt lgkmcnt(0)
	flat_load_dword v2, v[2:3] glc
	s_waitcnt vmcnt(0) lgkmcnt(0)
	buffer_wbinvl1_vol
	v_cmp_eq_u32_e32 vcc, 0, v2
	s_and_b64 s[22:23], vcc, exec
	s_or_b64 s[20:21], s[20:21], s[22:23]
	s_mov_b64 s[26:27], -1
	s_or_b64 s[18:19], s[18:19], exec
	s_and_saveexec_b64 s[22:23], s[20:21]
	s_cbranch_execz .LBB6_7181
.LBB6_7185:                             ;   in Loop: Header=BB6_7182 Depth=1
	s_sleep 1
	s_trap 2
	ds_read_b64 v[2:3], v0
	s_waitcnt lgkmcnt(0)
	s_andn2_b64 s[18:19], s[18:19], exec
	v_cmp_ge_u64_e32 vcc, v[2:3], v[0:1]
	s_orn2_b64 s[26:27], vcc, exec
	s_branch .LBB6_7181
.LBB6_7186:
	s_or_b64 exec, exec, s[14:15]
	s_and_saveexec_b64 s[14:15], s[16:17]
	s_xor_b64 s[14:15], exec, s[14:15]
	s_cbranch_execz .LBB6_7188
; %bb.7187:
	v_mov_b32_e32 v0, 1
	ds_write_b32 v0, v0
	s_trap 2
.LBB6_7188:
	s_or_b64 exec, exec, s[12:13]
	;;#ASMSTART
	s_wakeup
	;;#ASMEND
.LBB6_7189:
	s_or_b64 exec, exec, s[10:11]
.LBB6_7190:
	s_andn2_saveexec_b64 s[4:5], s[4:5]
	s_cbranch_execz .LBB6_7192
; %bb.7191:
	s_waitcnt lgkmcnt(0)
	buffer_wbinvl1_vol
	s_barrier
.LBB6_7192:
	s_or_b64 exec, exec, s[6:7]
.LBB6_7193:
	s_andn2_saveexec_b64 s[26:27], s[24:25]
	s_cbranch_execz .LBB6_7195
; %bb.7194:
	s_getpc_b64 s[4:5]
	s_add_u32 s4, s4, __PRETTY_FUNCTION__._ZN10PrimitivesI14__hip_fp8_e4m37FuncSumIS0_E12FanSymmetricILi1EELi0E11ProtoSimpleILi1ELi1ELi0ELi4ELi0ELi0EELi0ELb0ELi0ELi0ELi0EEC2EiiPKiS9_PKvPvmhhhP15ncclDevWorkCollP14ncclDevWorkP2pii@rel32@lo+4
	s_addc_u32 s5, s5, __PRETTY_FUNCTION__._ZN10PrimitivesI14__hip_fp8_e4m37FuncSumIS0_E12FanSymmetricILi1EELi0E11ProtoSimpleILi1ELi1ELi0ELi4ELi0ELi0EELi0ELb0ELi0ELi0ELi0EEC2EiiPKiS9_PKvPvmhhhP15ncclDevWorkCollP14ncclDevWorkP2pii@rel32@hi+12
	s_getpc_b64 s[6:7]
	s_add_u32 s6, s6, __assert_fail@rel32@lo+4
	s_addc_u32 s7, s7, __assert_fail@rel32@hi+12
	v_mov_b32_e32 v0, s4
	v_mov_b32_e32 v1, s5
	s_swappc_b64 s[30:31], s[6:7]
	; divergent unreachable
.LBB6_7195:
	s_or_b64 exec, exec, s[26:27]
	buffer_load_dword v62, off, s[0:3], s33 ; 4-byte Folded Reload
	buffer_load_dword v61, off, s[0:3], s33 offset:4 ; 4-byte Folded Reload
	buffer_load_dword v60, off, s[0:3], s33 offset:8 ; 4-byte Folded Reload
	;; [unrolled: 1-line block ×14, first 2 shown]
	v_readlane_b32 s30, v63, 15
	v_readlane_b32 s31, v63, 16
	;; [unrolled: 1-line block ×17, first 2 shown]
	s_mov_b32 s32, s33
	v_readlane_b32 s4, v63, 17
	s_or_saveexec_b64 s[6:7], -1
	buffer_load_dword v63, off, s[0:3], s33 offset:376 ; 4-byte Folded Reload
	s_mov_b64 exec, s[6:7]
	s_mov_b32 s33, s4
	s_waitcnt vmcnt(0) lgkmcnt(0)
	s_setpc_b64 s[30:31]
.Lfunc_end6:
	.size	_ZN12_GLOBAL__N_17runRingI14__hip_fp8_e4m37FuncSumIS1_E11ProtoSimpleILi1ELi1ELi0ELi4ELi0ELi0EELi0ELi4ELi0EEEviiP15ncclDevWorkColl, .Lfunc_end6-_ZN12_GLOBAL__N_17runRingI14__hip_fp8_e4m37FuncSumIS1_E11ProtoSimpleILi1ELi1ELi0ELi4ELi0ELi0EELi0ELi4ELi0EEEviiP15ncclDevWorkColl
                                        ; -- End function
	.set .L_ZN12_GLOBAL__N_17runRingI14__hip_fp8_e4m37FuncSumIS1_E11ProtoSimpleILi1ELi1ELi0ELi4ELi0ELi0EELi0ELi4ELi0EEEviiP15ncclDevWorkColl.num_vgpr, max(64, .L__assert_fail.num_vgpr)
	.set .L_ZN12_GLOBAL__N_17runRingI14__hip_fp8_e4m37FuncSumIS1_E11ProtoSimpleILi1ELi1ELi0ELi4ELi0ELi0EELi0ELi4ELi0EEEviiP15ncclDevWorkColl.num_agpr, max(0, .L__assert_fail.num_agpr)
	.set .L_ZN12_GLOBAL__N_17runRingI14__hip_fp8_e4m37FuncSumIS1_E11ProtoSimpleILi1ELi1ELi0ELi4ELi0ELi0EELi0ELi4ELi0EEEviiP15ncclDevWorkColl.numbered_sgpr, max(96, .L__assert_fail.numbered_sgpr)
	.set .L_ZN12_GLOBAL__N_17runRingI14__hip_fp8_e4m37FuncSumIS1_E11ProtoSimpleILi1ELi1ELi0ELi4ELi0ELi0EELi0ELi4ELi0EEEviiP15ncclDevWorkColl.num_named_barrier, max(0, .L__assert_fail.num_named_barrier)
	.set .L_ZN12_GLOBAL__N_17runRingI14__hip_fp8_e4m37FuncSumIS1_E11ProtoSimpleILi1ELi1ELi0ELi4ELi0ELi0EELi0ELi4ELi0EEEviiP15ncclDevWorkColl.private_seg_size, 384+max(.L__assert_fail.private_seg_size)
	.set .L_ZN12_GLOBAL__N_17runRingI14__hip_fp8_e4m37FuncSumIS1_E11ProtoSimpleILi1ELi1ELi0ELi4ELi0ELi0EELi0ELi4ELi0EEEviiP15ncclDevWorkColl.uses_vcc, or(1, .L__assert_fail.uses_vcc)
	.set .L_ZN12_GLOBAL__N_17runRingI14__hip_fp8_e4m37FuncSumIS1_E11ProtoSimpleILi1ELi1ELi0ELi4ELi0ELi0EELi0ELi4ELi0EEEviiP15ncclDevWorkColl.uses_flat_scratch, or(0, .L__assert_fail.uses_flat_scratch)
	.set .L_ZN12_GLOBAL__N_17runRingI14__hip_fp8_e4m37FuncSumIS1_E11ProtoSimpleILi1ELi1ELi0ELi4ELi0ELi0EELi0ELi4ELi0EEEviiP15ncclDevWorkColl.has_dyn_sized_stack, or(0, .L__assert_fail.has_dyn_sized_stack)
	.set .L_ZN12_GLOBAL__N_17runRingI14__hip_fp8_e4m37FuncSumIS1_E11ProtoSimpleILi1ELi1ELi0ELi4ELi0ELi0EELi0ELi4ELi0EEEviiP15ncclDevWorkColl.has_recursion, or(1, .L__assert_fail.has_recursion)
	.set .L_ZN12_GLOBAL__N_17runRingI14__hip_fp8_e4m37FuncSumIS1_E11ProtoSimpleILi1ELi1ELi0ELi4ELi0ELi0EELi0ELi4ELi0EEEviiP15ncclDevWorkColl.has_indirect_call, or(0, .L__assert_fail.has_indirect_call)
	.section	.AMDGPU.csdata,"",@progbits
; Function info:
; codeLenInByte = 211356
; TotalNumSgprs: 100
; NumVgprs: 64
; ScratchSize: 448
; MemoryBound: 1
	.text
	.p2align	2                               ; -- Begin function _Z47ncclDevFunc_Reduce_RING_SIMPLE_Sum_f8e4m3_0_0_4v
	.type	_Z47ncclDevFunc_Reduce_RING_SIMPLE_Sum_f8e4m3_0_0_4v,@function
_Z47ncclDevFunc_Reduce_RING_SIMPLE_Sum_f8e4m3_0_0_4v: ; @_Z47ncclDevFunc_Reduce_RING_SIMPLE_Sum_f8e4m3_0_0_4v
; %bb.0:
	s_waitcnt vmcnt(0) expcnt(0) lgkmcnt(0)
	s_mov_b32 s4, s33
	s_mov_b32 s33, s32
	s_or_saveexec_b64 s[6:7], -1
	buffer_store_dword v43, off, s[0:3], s33 offset:16 ; 4-byte Folded Spill
	s_mov_b64 exec, s[6:7]
	v_writelane_b32 v43, s4, 25
	s_addk_i32 s32, 0x800
	buffer_store_dword v40, off, s[0:3], s33 offset:12 ; 4-byte Folded Spill
	buffer_store_dword v41, off, s[0:3], s33 offset:8 ; 4-byte Folded Spill
	;; [unrolled: 1-line block ×3, first 2 shown]
	buffer_store_dword v63, off, s[0:3], s33 ; 4-byte Folded Spill
	v_writelane_b32 v43, s34, 0
	v_writelane_b32 v43, s35, 1
	;; [unrolled: 1-line block ×25, first 2 shown]
	s_trap 2
	ds_read_b32 v0, v0
	v_mov_b32_e32 v40, v31
	s_mov_b32 s65, s12
	s_mov_b64 s[68:69], s[8:9]
	s_waitcnt lgkmcnt(0)
	v_cmp_gt_i32_e32 vcc, 1, v0
	s_cbranch_vccnz .LBB7_8
; %bb.1:
	s_mov_b32 s80, 0
	v_and_b32_e32 v41, 0x3ff, v40
	v_mov_b32_e32 v42, 6
	s_branch .LBB7_3
.LBB7_2:                                ;   in Loop: Header=BB7_3 Depth=1
	s_or_b64 exec, exec, s[70:71]
	s_trap 2
	ds_read_b32 v0, v0
	s_add_i32 s80, s80, 1
	s_waitcnt lgkmcnt(0)
	v_cmp_lt_i32_e32 vcc, s80, v0
	s_cbranch_vccz .LBB7_8
.LBB7_3:                                ; =>This Inner Loop Header: Depth=1
	s_trap 2
	ds_read_b32 v0, v0
	s_cmp_eq_u32 s80, 0
	s_cbranch_scc1 .LBB7_6
; %bb.4:                                ;   in Loop: Header=BB7_3 Depth=1
	s_trap 2
	s_waitcnt lgkmcnt(0)
	ds_read_b32 v1, v0
	s_waitcnt lgkmcnt(0)
	v_xor_b32_e32 v1, v1, v0
	v_and_b32_e32 v1, 0xff0000, v1
	v_cmp_eq_u32_e32 vcc, 0, v1
	s_cbranch_vccnz .LBB7_6
; %bb.5:                                ;   in Loop: Header=BB7_3 Depth=1
	s_waitcnt vmcnt(0)
	s_barrier
	ds_read_b32 v0, v0
.LBB7_6:                                ;   in Loop: Header=BB7_3 Depth=1
	s_waitcnt lgkmcnt(0)
	v_lshlrev_b32_sdwa v1, v42, v0 dst_sel:DWORD dst_unused:UNUSED_PAD src0_sel:DWORD src1_sel:BYTE_2
	v_cmp_lt_u32_e32 vcc, v41, v1
	s_and_saveexec_b64 s[70:71], vcc
	s_cbranch_execz .LBB7_2
; %bb.7:                                ;   in Loop: Header=BB7_3 Depth=1
	s_mov_b64 s[4:5], src_shared_base
	s_getpc_b64 s[6:7]
	s_add_u32 s6, s6, _ZN12_GLOBAL__N_17runRingI14__hip_fp8_e4m37FuncSumIS1_E11ProtoSimpleILi1ELi1ELi0ELi4ELi0ELi0EELi0ELi4ELi0EEEviiP15ncclDevWorkColl@rel32@lo+4
	s_addc_u32 s7, s7, _ZN12_GLOBAL__N_17runRingI14__hip_fp8_e4m37FuncSumIS1_E11ProtoSimpleILi1ELi1ELi0ELi4ELi0ELi0EELi0ELi4ELi0EEEviiP15ncclDevWorkColl@rel32@hi+12
	s_mov_b64 s[8:9], s[68:69]
	s_mov_b32 s12, s65
	v_mov_b32_e32 v31, v40
	v_mov_b32_e32 v0, v41
	;; [unrolled: 1-line block ×3, first 2 shown]
	s_swappc_b64 s[30:31], s[6:7]
	s_branch .LBB7_2
.LBB7_8:
	buffer_load_dword v63, off, s[0:3], s33 ; 4-byte Folded Reload
	buffer_load_dword v42, off, s[0:3], s33 offset:4 ; 4-byte Folded Reload
	buffer_load_dword v41, off, s[0:3], s33 offset:8 ; 4-byte Folded Reload
	;; [unrolled: 1-line block ×3, first 2 shown]
	v_readlane_b32 s30, v43, 23
	v_readlane_b32 s31, v43, 24
	;; [unrolled: 1-line block ×25, first 2 shown]
	s_mov_b32 s32, s33
	v_readlane_b32 s4, v43, 25
	s_or_saveexec_b64 s[6:7], -1
	buffer_load_dword v43, off, s[0:3], s33 offset:16 ; 4-byte Folded Reload
	s_mov_b64 exec, s[6:7]
	s_mov_b32 s33, s4
	s_waitcnt vmcnt(0)
	s_setpc_b64 s[30:31]
.Lfunc_end7:
	.size	_Z47ncclDevFunc_Reduce_RING_SIMPLE_Sum_f8e4m3_0_0_4v, .Lfunc_end7-_Z47ncclDevFunc_Reduce_RING_SIMPLE_Sum_f8e4m3_0_0_4v
                                        ; -- End function
	.set .L_Z47ncclDevFunc_Reduce_RING_SIMPLE_Sum_f8e4m3_0_0_4v.num_vgpr, max(64, .L_ZN12_GLOBAL__N_17runRingI14__hip_fp8_e4m37FuncSumIS1_E11ProtoSimpleILi1ELi1ELi0ELi4ELi0ELi0EELi0ELi4ELi0EEEviiP15ncclDevWorkColl.num_vgpr)
	.set .L_Z47ncclDevFunc_Reduce_RING_SIMPLE_Sum_f8e4m3_0_0_4v.num_agpr, max(0, .L_ZN12_GLOBAL__N_17runRingI14__hip_fp8_e4m37FuncSumIS1_E11ProtoSimpleILi1ELi1ELi0ELi4ELi0ELi0EELi0ELi4ELi0EEEviiP15ncclDevWorkColl.num_agpr)
	.set .L_Z47ncclDevFunc_Reduce_RING_SIMPLE_Sum_f8e4m3_0_0_4v.numbered_sgpr, max(81, .L_ZN12_GLOBAL__N_17runRingI14__hip_fp8_e4m37FuncSumIS1_E11ProtoSimpleILi1ELi1ELi0ELi4ELi0ELi0EELi0ELi4ELi0EEEviiP15ncclDevWorkColl.numbered_sgpr)
	.set .L_Z47ncclDevFunc_Reduce_RING_SIMPLE_Sum_f8e4m3_0_0_4v.num_named_barrier, max(0, .L_ZN12_GLOBAL__N_17runRingI14__hip_fp8_e4m37FuncSumIS1_E11ProtoSimpleILi1ELi1ELi0ELi4ELi0ELi0EELi0ELi4ELi0EEEviiP15ncclDevWorkColl.num_named_barrier)
	.set .L_Z47ncclDevFunc_Reduce_RING_SIMPLE_Sum_f8e4m3_0_0_4v.private_seg_size, 32+max(.L_ZN12_GLOBAL__N_17runRingI14__hip_fp8_e4m37FuncSumIS1_E11ProtoSimpleILi1ELi1ELi0ELi4ELi0ELi0EELi0ELi4ELi0EEEviiP15ncclDevWorkColl.private_seg_size)
	.set .L_Z47ncclDevFunc_Reduce_RING_SIMPLE_Sum_f8e4m3_0_0_4v.uses_vcc, or(1, .L_ZN12_GLOBAL__N_17runRingI14__hip_fp8_e4m37FuncSumIS1_E11ProtoSimpleILi1ELi1ELi0ELi4ELi0ELi0EELi0ELi4ELi0EEEviiP15ncclDevWorkColl.uses_vcc)
	.set .L_Z47ncclDevFunc_Reduce_RING_SIMPLE_Sum_f8e4m3_0_0_4v.uses_flat_scratch, or(0, .L_ZN12_GLOBAL__N_17runRingI14__hip_fp8_e4m37FuncSumIS1_E11ProtoSimpleILi1ELi1ELi0ELi4ELi0ELi0EELi0ELi4ELi0EEEviiP15ncclDevWorkColl.uses_flat_scratch)
	.set .L_Z47ncclDevFunc_Reduce_RING_SIMPLE_Sum_f8e4m3_0_0_4v.has_dyn_sized_stack, or(0, .L_ZN12_GLOBAL__N_17runRingI14__hip_fp8_e4m37FuncSumIS1_E11ProtoSimpleILi1ELi1ELi0ELi4ELi0ELi0EELi0ELi4ELi0EEEviiP15ncclDevWorkColl.has_dyn_sized_stack)
	.set .L_Z47ncclDevFunc_Reduce_RING_SIMPLE_Sum_f8e4m3_0_0_4v.has_recursion, or(1, .L_ZN12_GLOBAL__N_17runRingI14__hip_fp8_e4m37FuncSumIS1_E11ProtoSimpleILi1ELi1ELi0ELi4ELi0ELi0EELi0ELi4ELi0EEEviiP15ncclDevWorkColl.has_recursion)
	.set .L_Z47ncclDevFunc_Reduce_RING_SIMPLE_Sum_f8e4m3_0_0_4v.has_indirect_call, or(0, .L_ZN12_GLOBAL__N_17runRingI14__hip_fp8_e4m37FuncSumIS1_E11ProtoSimpleILi1ELi1ELi0ELi4ELi0ELi0EELi0ELi4ELi0EEEviiP15ncclDevWorkColl.has_indirect_call)
	.section	.AMDGPU.csdata,"",@progbits
; Function info:
; codeLenInByte = 784
; TotalNumSgprs: 100
; NumVgprs: 64
; ScratchSize: 480
; MemoryBound: 0
	.section	.AMDGPU.gpr_maximums,"",@progbits
	.set amdgpu.max_num_vgpr, 64
	.set amdgpu.max_num_agpr, 0
	.set amdgpu.max_num_sgpr, 96
	.section	.AMDGPU.csdata,"",@progbits
	.type	__const.__assert_fail.fmt,@object ; @__const.__assert_fail.fmt
	.section	.rodata.str1.16,"aMS",@progbits,1
	.p2align	4, 0x0
__const.__assert_fail.fmt:
	.asciz	"%s:%u: %s: Device-side assertion `%s' failed.\n"
	.size	__const.__assert_fail.fmt, 47

	.type	.str.3,@object                  ; @.str.3
	.section	.rodata.str1.1,"aMS",@progbits,1
.str.3:
	.asciz	"2*(nrecv+nsend) <= nthreads"
	.size	.str.3, 28

	.type	.str.4,@object                  ; @.str.4
.str.4:
	.asciz	"/root/src/amdgpu-assembly/repos/ROCm__rccl/hipify/src/device/prims_simple.h"
	.size	.str.4, 76

	.type	__PRETTY_FUNCTION__._ZN10PrimitivesI14__hip_fp8_e4m37FuncSumIS0_E12FanSymmetricILi1EELi0E11ProtoSimpleILi1ELi1ELi0ELi1ELi0ELi0EELi0ELb0ELi0ELi0ELi0EEC2EiiPKiS9_PKvPvmhhhP15ncclDevWorkCollP14ncclDevWorkP2pii,@object ; @__PRETTY_FUNCTION__._ZN10PrimitivesI14__hip_fp8_e4m37FuncSumIS0_E12FanSymmetricILi1EELi0E11ProtoSimpleILi1ELi1ELi0ELi1ELi0ELi0EELi0ELb0ELi0ELi0ELi0EEC2EiiPKiS9_PKvPvmhhhP15ncclDevWorkCollP14ncclDevWorkP2pii
__PRETTY_FUNCTION__._ZN10PrimitivesI14__hip_fp8_e4m37FuncSumIS0_E12FanSymmetricILi1EELi0E11ProtoSimpleILi1ELi1ELi0ELi1ELi0ELi0EELi0ELb0ELi0ELi0ELi0EEC2EiiPKiS9_PKvPvmhhhP15ncclDevWorkCollP14ncclDevWorkP2pii:
	.asciz	"Primitives<__hip_fp8_e4m3, FuncSum<__hip_fp8_e4m3>, FanSymmetric<1>, 0, ProtoSimple<1, 1, 0, 1>, 0>::Primitives(int, int, const int *, const int *, const void *, void *, uint64_t, uint8_t, uint8_t, uint8_t, struct ncclDevWorkColl *, struct ncclDevWorkP2p *, int, int) [T = __hip_fp8_e4m3, RedOp = FuncSum<__hip_fp8_e4m3>, Fan = FanSymmetric<1>, Direct = 0, Proto = ProtoSimple<1, 1, 0, 1>, P2p = 0, isNetOffload = false, Metadata = 0, Pipeline = 0, useAcc = 0]"
	.size	__PRETTY_FUNCTION__._ZN10PrimitivesI14__hip_fp8_e4m37FuncSumIS0_E12FanSymmetricILi1EELi0E11ProtoSimpleILi1ELi1ELi0ELi1ELi0ELi0EELi0ELb0ELi0ELi0ELi0EEC2EiiPKiS9_PKvPvmhhhP15ncclDevWorkCollP14ncclDevWorkP2pii, 461

	.type	__PRETTY_FUNCTION__._ZN10PrimitivesI14__hip_fp8_e4m37FuncSumIS0_E12FanSymmetricILi1EELi0E11ProtoSimpleILi1ELi1ELi0ELi2ELi0ELi0EELi0ELb0ELi0ELi0ELi0EEC2EiiPKiS9_PKvPvmhhhP15ncclDevWorkCollP14ncclDevWorkP2pii,@object ; @__PRETTY_FUNCTION__._ZN10PrimitivesI14__hip_fp8_e4m37FuncSumIS0_E12FanSymmetricILi1EELi0E11ProtoSimpleILi1ELi1ELi0ELi2ELi0ELi0EELi0ELb0ELi0ELi0ELi0EEC2EiiPKiS9_PKvPvmhhhP15ncclDevWorkCollP14ncclDevWorkP2pii
__PRETTY_FUNCTION__._ZN10PrimitivesI14__hip_fp8_e4m37FuncSumIS0_E12FanSymmetricILi1EELi0E11ProtoSimpleILi1ELi1ELi0ELi2ELi0ELi0EELi0ELb0ELi0ELi0ELi0EEC2EiiPKiS9_PKvPvmhhhP15ncclDevWorkCollP14ncclDevWorkP2pii:
	.asciz	"Primitives<__hip_fp8_e4m3, FuncSum<__hip_fp8_e4m3>, FanSymmetric<1>, 0, ProtoSimple<1, 1, 0, 2>, 0>::Primitives(int, int, const int *, const int *, const void *, void *, uint64_t, uint8_t, uint8_t, uint8_t, struct ncclDevWorkColl *, struct ncclDevWorkP2p *, int, int) [T = __hip_fp8_e4m3, RedOp = FuncSum<__hip_fp8_e4m3>, Fan = FanSymmetric<1>, Direct = 0, Proto = ProtoSimple<1, 1, 0, 2>, P2p = 0, isNetOffload = false, Metadata = 0, Pipeline = 0, useAcc = 0]"
	.size	__PRETTY_FUNCTION__._ZN10PrimitivesI14__hip_fp8_e4m37FuncSumIS0_E12FanSymmetricILi1EELi0E11ProtoSimpleILi1ELi1ELi0ELi2ELi0ELi0EELi0ELb0ELi0ELi0ELi0EEC2EiiPKiS9_PKvPvmhhhP15ncclDevWorkCollP14ncclDevWorkP2pii, 461

	.type	__PRETTY_FUNCTION__._ZN10PrimitivesI14__hip_fp8_e4m37FuncSumIS0_E12FanSymmetricILi1EELi0E11ProtoSimpleILi1ELi1ELi0ELi4ELi0ELi0EELi0ELb0ELi0ELi0ELi0EEC2EiiPKiS9_PKvPvmhhhP15ncclDevWorkCollP14ncclDevWorkP2pii,@object ; @__PRETTY_FUNCTION__._ZN10PrimitivesI14__hip_fp8_e4m37FuncSumIS0_E12FanSymmetricILi1EELi0E11ProtoSimpleILi1ELi1ELi0ELi4ELi0ELi0EELi0ELb0ELi0ELi0ELi0EEC2EiiPKiS9_PKvPvmhhhP15ncclDevWorkCollP14ncclDevWorkP2pii
__PRETTY_FUNCTION__._ZN10PrimitivesI14__hip_fp8_e4m37FuncSumIS0_E12FanSymmetricILi1EELi0E11ProtoSimpleILi1ELi1ELi0ELi4ELi0ELi0EELi0ELb0ELi0ELi0ELi0EEC2EiiPKiS9_PKvPvmhhhP15ncclDevWorkCollP14ncclDevWorkP2pii:
	.asciz	"Primitives<__hip_fp8_e4m3, FuncSum<__hip_fp8_e4m3>, FanSymmetric<1>, 0, ProtoSimple<1, 1, 0, 4>, 0>::Primitives(int, int, const int *, const int *, const void *, void *, uint64_t, uint8_t, uint8_t, uint8_t, struct ncclDevWorkColl *, struct ncclDevWorkP2p *, int, int) [T = __hip_fp8_e4m3, RedOp = FuncSum<__hip_fp8_e4m3>, Fan = FanSymmetric<1>, Direct = 0, Proto = ProtoSimple<1, 1, 0, 4>, P2p = 0, isNetOffload = false, Metadata = 0, Pipeline = 0, useAcc = 0]"
	.size	__PRETTY_FUNCTION__._ZN10PrimitivesI14__hip_fp8_e4m37FuncSumIS0_E12FanSymmetricILi1EELi0E11ProtoSimpleILi1ELi1ELi0ELi4ELi0ELi0EELi0ELb0ELi0ELi0ELi0EEC2EiiPKiS9_PKvPvmhhhP15ncclDevWorkCollP14ncclDevWorkP2pii, 461

	.type	__hip_cuid_972e9d738d2aa5c8,@object ; @__hip_cuid_972e9d738d2aa5c8
	.section	.bss,"aw",@nobits
	.globl	__hip_cuid_972e9d738d2aa5c8
__hip_cuid_972e9d738d2aa5c8:
	.byte	0                               ; 0x0
	.size	__hip_cuid_972e9d738d2aa5c8, 1

	.ident	"AMD clang version 22.0.0git (https://github.com/RadeonOpenCompute/llvm-project roc-7.2.4 26084 f58b06dce1f9c15707c5f808fd002e18c2accf7e)"
	.section	".note.GNU-stack","",@progbits
	.addrsig
	.addrsig_sym _Z47ncclDevFunc_Reduce_RING_SIMPLE_Sum_f8e4m3_0_0_1v
	.addrsig_sym _Z47ncclDevFunc_Reduce_RING_SIMPLE_Sum_f8e4m3_0_0_2v
	.addrsig_sym _Z47ncclDevFunc_Reduce_RING_SIMPLE_Sum_f8e4m3_0_0_4v
	.addrsig_sym ncclShmem
	.addrsig_sym __hip_cuid_972e9d738d2aa5c8
	.amdgpu_metadata
---
amdhsa.kernels:  []
amdhsa.target:   amdgcn-amd-amdhsa--gfx906
amdhsa.version:
  - 1
  - 2
...

	.end_amdgpu_metadata
